;; amdgpu-corpus repo=vllm-project/vllm kind=compiled arch=gfx1030 opt=O3
	.amdgcn_target "amdgcn-amd-amdhsa--gfx1030"
	.amdhsa_code_object_version 6
	.section	.text._ZL16dequantize_blockILi32ELi2EXadL_ZL15dequantize_q4_0PKviiR7__half2EEfEvS1_PT2_l,"axG",@progbits,_ZL16dequantize_blockILi32ELi2EXadL_ZL15dequantize_q4_0PKviiR7__half2EEfEvS1_PT2_l,comdat
	.globl	_ZL16dequantize_blockILi32ELi2EXadL_ZL15dequantize_q4_0PKviiR7__half2EEfEvS1_PT2_l ; -- Begin function _ZL16dequantize_blockILi32ELi2EXadL_ZL15dequantize_q4_0PKviiR7__half2EEfEvS1_PT2_l
	.p2align	8
	.type	_ZL16dequantize_blockILi32ELi2EXadL_ZL15dequantize_q4_0PKviiR7__half2EEfEvS1_PT2_l,@function
_ZL16dequantize_blockILi32ELi2EXadL_ZL15dequantize_q4_0PKviiR7__half2EEfEvS1_PT2_l: ; @_ZL16dequantize_blockILi32ELi2EXadL_ZL15dequantize_q4_0PKviiR7__half2EEfEvS1_PT2_l
; %bb.0:
	s_clause 0x1
	s_load_dword s2, s[4:5], 0x24
	s_load_dwordx2 s[0:1], s[4:5], 0x10
	v_mov_b32_e32 v1, 0
	s_waitcnt lgkmcnt(0)
	s_and_b32 s2, s2, 0xffff
	v_mad_u64_u32 v[4:5], null, s2, s6, v[0:1]
	v_lshlrev_b64 v[2:3], 1, v[4:5]
	v_cmp_gt_i64_e32 vcc_lo, s[0:1], v[2:3]
	s_and_saveexec_b32 s0, vcc_lo
	s_cbranch_execz .LBB0_2
; %bb.1:
	s_load_dwordx4 s[0:3], s[4:5], 0x0
	v_alignbit_b32 v0, v5, v4, 4
	v_and_b32_e32 v7, 15, v4
	s_waitcnt lgkmcnt(0)
	v_mad_i64_i32 v[5:6], null, v0, 18, s[0:1]
	v_add_co_u32 v3, vcc_lo, v5, v7
	v_add_co_ci_u32_e64 v4, null, 0, v6, vcc_lo
	s_clause 0x1
	global_load_ubyte v0, v[3:4], off offset:2
	global_load_ushort v3, v[5:6], off
	s_waitcnt vmcnt(1)
	v_and_b32_e32 v4, 15, v0
	v_lshrrev_b32_e32 v0, 4, v0
	v_cvt_f32_ubyte0_e32 v4, v4
	v_cvt_f32_ubyte0_e32 v0, v0
	v_cvt_f16_f32_e32 v4, v4
	v_cvt_f16_f32_e32 v5, v0
	v_mov_b32_e32 v0, v1
	v_and_or_b32 v1, 0xffffffe0, v2, v7
	s_waitcnt vmcnt(0)
	v_lshl_or_b32 v2, v3, 16, v3
	v_pack_b32_f16 v4, v4, v5
	v_ashrrev_i64 v[0:1], 30, v[0:1]
	v_pk_add_f16 v3, 0xc800, v4 op_sel_hi:[0,1]
	v_add_co_u32 v0, vcc_lo, s2, v0
	v_pk_mul_f16 v2, v3, v2
	v_add_co_ci_u32_e64 v1, null, s3, v1, vcc_lo
	v_cvt_f32_f16_e32 v3, v2
	v_cvt_f32_f16_sdwa v2, v2 dst_sel:DWORD dst_unused:UNUSED_PAD src0_sel:WORD_1
	global_store_dword v[0:1], v3, off
	global_store_dword v[0:1], v2, off offset:64
.LBB0_2:
	s_endpgm
	.section	.rodata,"a",@progbits
	.p2align	6, 0x0
	.amdhsa_kernel _ZL16dequantize_blockILi32ELi2EXadL_ZL15dequantize_q4_0PKviiR7__half2EEfEvS1_PT2_l
		.amdhsa_group_segment_fixed_size 0
		.amdhsa_private_segment_fixed_size 0
		.amdhsa_kernarg_size 280
		.amdhsa_user_sgpr_count 6
		.amdhsa_user_sgpr_private_segment_buffer 1
		.amdhsa_user_sgpr_dispatch_ptr 0
		.amdhsa_user_sgpr_queue_ptr 0
		.amdhsa_user_sgpr_kernarg_segment_ptr 1
		.amdhsa_user_sgpr_dispatch_id 0
		.amdhsa_user_sgpr_flat_scratch_init 0
		.amdhsa_user_sgpr_private_segment_size 0
		.amdhsa_wavefront_size32 1
		.amdhsa_uses_dynamic_stack 0
		.amdhsa_system_sgpr_private_segment_wavefront_offset 0
		.amdhsa_system_sgpr_workgroup_id_x 1
		.amdhsa_system_sgpr_workgroup_id_y 0
		.amdhsa_system_sgpr_workgroup_id_z 0
		.amdhsa_system_sgpr_workgroup_info 0
		.amdhsa_system_vgpr_workitem_id 0
		.amdhsa_next_free_vgpr 8
		.amdhsa_next_free_sgpr 7
		.amdhsa_reserve_vcc 1
		.amdhsa_reserve_flat_scratch 0
		.amdhsa_float_round_mode_32 0
		.amdhsa_float_round_mode_16_64 0
		.amdhsa_float_denorm_mode_32 3
		.amdhsa_float_denorm_mode_16_64 3
		.amdhsa_dx10_clamp 1
		.amdhsa_ieee_mode 1
		.amdhsa_fp16_overflow 0
		.amdhsa_workgroup_processor_mode 1
		.amdhsa_memory_ordered 1
		.amdhsa_forward_progress 1
		.amdhsa_shared_vgpr_count 0
		.amdhsa_exception_fp_ieee_invalid_op 0
		.amdhsa_exception_fp_denorm_src 0
		.amdhsa_exception_fp_ieee_div_zero 0
		.amdhsa_exception_fp_ieee_overflow 0
		.amdhsa_exception_fp_ieee_underflow 0
		.amdhsa_exception_fp_ieee_inexact 0
		.amdhsa_exception_int_div_zero 0
	.end_amdhsa_kernel
	.section	.text._ZL16dequantize_blockILi32ELi2EXadL_ZL15dequantize_q4_0PKviiR7__half2EEfEvS1_PT2_l,"axG",@progbits,_ZL16dequantize_blockILi32ELi2EXadL_ZL15dequantize_q4_0PKviiR7__half2EEfEvS1_PT2_l,comdat
.Lfunc_end0:
	.size	_ZL16dequantize_blockILi32ELi2EXadL_ZL15dequantize_q4_0PKviiR7__half2EEfEvS1_PT2_l, .Lfunc_end0-_ZL16dequantize_blockILi32ELi2EXadL_ZL15dequantize_q4_0PKviiR7__half2EEfEvS1_PT2_l
                                        ; -- End function
	.set _ZL16dequantize_blockILi32ELi2EXadL_ZL15dequantize_q4_0PKviiR7__half2EEfEvS1_PT2_l.num_vgpr, 8
	.set _ZL16dequantize_blockILi32ELi2EXadL_ZL15dequantize_q4_0PKviiR7__half2EEfEvS1_PT2_l.num_agpr, 0
	.set _ZL16dequantize_blockILi32ELi2EXadL_ZL15dequantize_q4_0PKviiR7__half2EEfEvS1_PT2_l.numbered_sgpr, 7
	.set _ZL16dequantize_blockILi32ELi2EXadL_ZL15dequantize_q4_0PKviiR7__half2EEfEvS1_PT2_l.num_named_barrier, 0
	.set _ZL16dequantize_blockILi32ELi2EXadL_ZL15dequantize_q4_0PKviiR7__half2EEfEvS1_PT2_l.private_seg_size, 0
	.set _ZL16dequantize_blockILi32ELi2EXadL_ZL15dequantize_q4_0PKviiR7__half2EEfEvS1_PT2_l.uses_vcc, 1
	.set _ZL16dequantize_blockILi32ELi2EXadL_ZL15dequantize_q4_0PKviiR7__half2EEfEvS1_PT2_l.uses_flat_scratch, 0
	.set _ZL16dequantize_blockILi32ELi2EXadL_ZL15dequantize_q4_0PKviiR7__half2EEfEvS1_PT2_l.has_dyn_sized_stack, 0
	.set _ZL16dequantize_blockILi32ELi2EXadL_ZL15dequantize_q4_0PKviiR7__half2EEfEvS1_PT2_l.has_recursion, 0
	.set _ZL16dequantize_blockILi32ELi2EXadL_ZL15dequantize_q4_0PKviiR7__half2EEfEvS1_PT2_l.has_indirect_call, 0
	.section	.AMDGPU.csdata,"",@progbits
; Kernel info:
; codeLenInByte = 272
; TotalNumSgprs: 9
; NumVgprs: 8
; ScratchSize: 0
; MemoryBound: 0
; FloatMode: 240
; IeeeMode: 1
; LDSByteSize: 0 bytes/workgroup (compile time only)
; SGPRBlocks: 0
; VGPRBlocks: 0
; NumSGPRsForWavesPerEU: 9
; NumVGPRsForWavesPerEU: 8
; Occupancy: 16
; WaveLimiterHint : 0
; COMPUTE_PGM_RSRC2:SCRATCH_EN: 0
; COMPUTE_PGM_RSRC2:USER_SGPR: 6
; COMPUTE_PGM_RSRC2:TRAP_HANDLER: 0
; COMPUTE_PGM_RSRC2:TGID_X_EN: 1
; COMPUTE_PGM_RSRC2:TGID_Y_EN: 0
; COMPUTE_PGM_RSRC2:TGID_Z_EN: 0
; COMPUTE_PGM_RSRC2:TIDIG_COMP_CNT: 0
	.section	.text._ZL16dequantize_blockILi32ELi2EXadL_ZL15dequantize_q4_1PKviiR7__half2EEfEvS1_PT2_l,"axG",@progbits,_ZL16dequantize_blockILi32ELi2EXadL_ZL15dequantize_q4_1PKviiR7__half2EEfEvS1_PT2_l,comdat
	.globl	_ZL16dequantize_blockILi32ELi2EXadL_ZL15dequantize_q4_1PKviiR7__half2EEfEvS1_PT2_l ; -- Begin function _ZL16dequantize_blockILi32ELi2EXadL_ZL15dequantize_q4_1PKviiR7__half2EEfEvS1_PT2_l
	.p2align	8
	.type	_ZL16dequantize_blockILi32ELi2EXadL_ZL15dequantize_q4_1PKviiR7__half2EEfEvS1_PT2_l,@function
_ZL16dequantize_blockILi32ELi2EXadL_ZL15dequantize_q4_1PKviiR7__half2EEfEvS1_PT2_l: ; @_ZL16dequantize_blockILi32ELi2EXadL_ZL15dequantize_q4_1PKviiR7__half2EEfEvS1_PT2_l
; %bb.0:
	s_clause 0x1
	s_load_dword s2, s[4:5], 0x24
	s_load_dwordx2 s[0:1], s[4:5], 0x10
	v_mov_b32_e32 v1, 0
	s_waitcnt lgkmcnt(0)
	s_and_b32 s2, s2, 0xffff
	v_mad_u64_u32 v[4:5], null, s2, s6, v[0:1]
	v_lshlrev_b64 v[2:3], 1, v[4:5]
	v_cmp_gt_i64_e32 vcc_lo, s[0:1], v[2:3]
	s_and_saveexec_b32 s0, vcc_lo
	s_cbranch_execz .LBB1_2
; %bb.1:
	s_load_dwordx4 s[0:3], s[4:5], 0x0
	v_alignbit_b32 v0, v5, v4, 4
	v_and_b32_e32 v7, 15, v4
	s_waitcnt lgkmcnt(0)
	v_mad_i64_i32 v[5:6], null, v0, 20, s[0:1]
	v_add_co_u32 v3, vcc_lo, v5, v7
	v_add_co_ci_u32_e64 v4, null, 0, v6, vcc_lo
	s_clause 0x1
	global_load_ubyte v0, v[3:4], off offset:4
	global_load_dword v3, v[5:6], off
	v_mov_b32_e32 v6, 0x10001
	s_waitcnt vmcnt(1)
	v_and_b32_e32 v4, 15, v0
	v_lshrrev_b32_e32 v0, 4, v0
	s_waitcnt vmcnt(0)
	v_lshrrev_b32_e32 v8, 16, v3
	v_cvt_f32_ubyte0_e32 v4, v4
	v_cvt_f32_ubyte0_e32 v5, v0
	v_mov_b32_e32 v0, v1
	v_and_or_b32 v1, 0xffffffe0, v2, v7
	v_mul_u32_u24_sdwa v2, v3, v6 dst_sel:DWORD dst_unused:UNUSED_PAD src0_sel:WORD_0 src1_sel:DWORD
	v_cvt_f16_f32_e32 v4, v4
	v_cvt_f16_f32_e32 v5, v5
	v_and_or_b32 v3, 0xffff0000, v3, v8
	v_ashrrev_i64 v[0:1], 30, v[0:1]
	v_pack_b32_f16 v4, v4, v5
	v_add_co_u32 v0, vcc_lo, s2, v0
	v_pk_fma_f16 v2, v4, v2, v3
	v_add_co_ci_u32_e64 v1, null, s3, v1, vcc_lo
	v_cvt_f32_f16_e32 v3, v2
	v_cvt_f32_f16_sdwa v2, v2 dst_sel:DWORD dst_unused:UNUSED_PAD src0_sel:WORD_1
	global_store_dword v[0:1], v3, off
	global_store_dword v[0:1], v2, off offset:64
.LBB1_2:
	s_endpgm
	.section	.rodata,"a",@progbits
	.p2align	6, 0x0
	.amdhsa_kernel _ZL16dequantize_blockILi32ELi2EXadL_ZL15dequantize_q4_1PKviiR7__half2EEfEvS1_PT2_l
		.amdhsa_group_segment_fixed_size 0
		.amdhsa_private_segment_fixed_size 0
		.amdhsa_kernarg_size 280
		.amdhsa_user_sgpr_count 6
		.amdhsa_user_sgpr_private_segment_buffer 1
		.amdhsa_user_sgpr_dispatch_ptr 0
		.amdhsa_user_sgpr_queue_ptr 0
		.amdhsa_user_sgpr_kernarg_segment_ptr 1
		.amdhsa_user_sgpr_dispatch_id 0
		.amdhsa_user_sgpr_flat_scratch_init 0
		.amdhsa_user_sgpr_private_segment_size 0
		.amdhsa_wavefront_size32 1
		.amdhsa_uses_dynamic_stack 0
		.amdhsa_system_sgpr_private_segment_wavefront_offset 0
		.amdhsa_system_sgpr_workgroup_id_x 1
		.amdhsa_system_sgpr_workgroup_id_y 0
		.amdhsa_system_sgpr_workgroup_id_z 0
		.amdhsa_system_sgpr_workgroup_info 0
		.amdhsa_system_vgpr_workitem_id 0
		.amdhsa_next_free_vgpr 9
		.amdhsa_next_free_sgpr 7
		.amdhsa_reserve_vcc 1
		.amdhsa_reserve_flat_scratch 0
		.amdhsa_float_round_mode_32 0
		.amdhsa_float_round_mode_16_64 0
		.amdhsa_float_denorm_mode_32 3
		.amdhsa_float_denorm_mode_16_64 3
		.amdhsa_dx10_clamp 1
		.amdhsa_ieee_mode 1
		.amdhsa_fp16_overflow 0
		.amdhsa_workgroup_processor_mode 1
		.amdhsa_memory_ordered 1
		.amdhsa_forward_progress 1
		.amdhsa_shared_vgpr_count 0
		.amdhsa_exception_fp_ieee_invalid_op 0
		.amdhsa_exception_fp_denorm_src 0
		.amdhsa_exception_fp_ieee_div_zero 0
		.amdhsa_exception_fp_ieee_overflow 0
		.amdhsa_exception_fp_ieee_underflow 0
		.amdhsa_exception_fp_ieee_inexact 0
		.amdhsa_exception_int_div_zero 0
	.end_amdhsa_kernel
	.section	.text._ZL16dequantize_blockILi32ELi2EXadL_ZL15dequantize_q4_1PKviiR7__half2EEfEvS1_PT2_l,"axG",@progbits,_ZL16dequantize_blockILi32ELi2EXadL_ZL15dequantize_q4_1PKviiR7__half2EEfEvS1_PT2_l,comdat
.Lfunc_end1:
	.size	_ZL16dequantize_blockILi32ELi2EXadL_ZL15dequantize_q4_1PKviiR7__half2EEfEvS1_PT2_l, .Lfunc_end1-_ZL16dequantize_blockILi32ELi2EXadL_ZL15dequantize_q4_1PKviiR7__half2EEfEvS1_PT2_l
                                        ; -- End function
	.set _ZL16dequantize_blockILi32ELi2EXadL_ZL15dequantize_q4_1PKviiR7__half2EEfEvS1_PT2_l.num_vgpr, 9
	.set _ZL16dequantize_blockILi32ELi2EXadL_ZL15dequantize_q4_1PKviiR7__half2EEfEvS1_PT2_l.num_agpr, 0
	.set _ZL16dequantize_blockILi32ELi2EXadL_ZL15dequantize_q4_1PKviiR7__half2EEfEvS1_PT2_l.numbered_sgpr, 7
	.set _ZL16dequantize_blockILi32ELi2EXadL_ZL15dequantize_q4_1PKviiR7__half2EEfEvS1_PT2_l.num_named_barrier, 0
	.set _ZL16dequantize_blockILi32ELi2EXadL_ZL15dequantize_q4_1PKviiR7__half2EEfEvS1_PT2_l.private_seg_size, 0
	.set _ZL16dequantize_blockILi32ELi2EXadL_ZL15dequantize_q4_1PKviiR7__half2EEfEvS1_PT2_l.uses_vcc, 1
	.set _ZL16dequantize_blockILi32ELi2EXadL_ZL15dequantize_q4_1PKviiR7__half2EEfEvS1_PT2_l.uses_flat_scratch, 0
	.set _ZL16dequantize_blockILi32ELi2EXadL_ZL15dequantize_q4_1PKviiR7__half2EEfEvS1_PT2_l.has_dyn_sized_stack, 0
	.set _ZL16dequantize_blockILi32ELi2EXadL_ZL15dequantize_q4_1PKviiR7__half2EEfEvS1_PT2_l.has_recursion, 0
	.set _ZL16dequantize_blockILi32ELi2EXadL_ZL15dequantize_q4_1PKviiR7__half2EEfEvS1_PT2_l.has_indirect_call, 0
	.section	.AMDGPU.csdata,"",@progbits
; Kernel info:
; codeLenInByte = 284
; TotalNumSgprs: 9
; NumVgprs: 9
; ScratchSize: 0
; MemoryBound: 0
; FloatMode: 240
; IeeeMode: 1
; LDSByteSize: 0 bytes/workgroup (compile time only)
; SGPRBlocks: 0
; VGPRBlocks: 1
; NumSGPRsForWavesPerEU: 9
; NumVGPRsForWavesPerEU: 9
; Occupancy: 16
; WaveLimiterHint : 0
; COMPUTE_PGM_RSRC2:SCRATCH_EN: 0
; COMPUTE_PGM_RSRC2:USER_SGPR: 6
; COMPUTE_PGM_RSRC2:TRAP_HANDLER: 0
; COMPUTE_PGM_RSRC2:TGID_X_EN: 1
; COMPUTE_PGM_RSRC2:TGID_Y_EN: 0
; COMPUTE_PGM_RSRC2:TGID_Z_EN: 0
; COMPUTE_PGM_RSRC2:TIDIG_COMP_CNT: 0
	.section	.text._ZL16dequantize_blockILi32ELi2EXadL_ZL15dequantize_q5_0PKviiR7__half2EEfEvS1_PT2_l,"axG",@progbits,_ZL16dequantize_blockILi32ELi2EXadL_ZL15dequantize_q5_0PKviiR7__half2EEfEvS1_PT2_l,comdat
	.globl	_ZL16dequantize_blockILi32ELi2EXadL_ZL15dequantize_q5_0PKviiR7__half2EEfEvS1_PT2_l ; -- Begin function _ZL16dequantize_blockILi32ELi2EXadL_ZL15dequantize_q5_0PKviiR7__half2EEfEvS1_PT2_l
	.p2align	8
	.type	_ZL16dequantize_blockILi32ELi2EXadL_ZL15dequantize_q5_0PKviiR7__half2EEfEvS1_PT2_l,@function
_ZL16dequantize_blockILi32ELi2EXadL_ZL15dequantize_q5_0PKviiR7__half2EEfEvS1_PT2_l: ; @_ZL16dequantize_blockILi32ELi2EXadL_ZL15dequantize_q5_0PKviiR7__half2EEfEvS1_PT2_l
; %bb.0:
	s_clause 0x1
	s_load_dword s2, s[4:5], 0x24
	s_load_dwordx2 s[0:1], s[4:5], 0x10
	v_mov_b32_e32 v1, 0
	s_waitcnt lgkmcnt(0)
	s_and_b32 s2, s2, 0xffff
	v_mad_u64_u32 v[2:3], null, s2, s6, v[0:1]
	v_lshlrev_b64 v[0:1], 1, v[2:3]
	v_cmp_gt_i64_e32 vcc_lo, s[0:1], v[0:1]
	s_and_saveexec_b32 s0, vcc_lo
	s_cbranch_execz .LBB2_2
; %bb.1:
	s_load_dwordx4 s[0:3], s[4:5], 0x0
	v_alignbit_b32 v1, v3, v2, 4
	v_and_b32_e32 v5, 15, v2
	v_and_or_b32 v0, 0xffffffe0, v0, v5
	s_waitcnt lgkmcnt(0)
	v_mad_i64_i32 v[3:4], null, v1, 22, s[0:1]
	s_clause 0x1
	global_load_dword v6, v[3:4], off
	global_load_ushort v7, v[3:4], off offset:4
	v_add_co_u32 v1, vcc_lo, v3, v5
	v_add_co_ci_u32_e64 v2, null, 0, v4, vcc_lo
	v_add_nc_u32_e32 v3, 12, v5
	global_load_ubyte v1, v[1:2], off offset:6
	s_waitcnt vmcnt(1)
	v_perm_b32 v2, v6, v7, 0x1000706
	v_lshrrev_b32_e32 v4, v5, v2
	v_lshrrev_b32_e32 v2, v3, v2
	s_waitcnt vmcnt(0)
	v_and_b32_e32 v3, 15, v1
	v_lshrrev_b16 v1, 4, v1
	v_lshlrev_b32_e32 v4, 4, v4
	v_and_or_b32 v1, v2, 16, v1
	v_and_or_b32 v2, v4, 16, v3
	v_and_b32_e32 v3, 0xffff, v6
	v_cvt_f32_ubyte0_e32 v1, v1
	v_cvt_f32_ubyte0_e32 v2, v2
	v_lshl_or_b32 v3, v6, 16, v3
	v_cvt_f16_f32_e32 v1, v1
	v_cvt_f16_f32_e32 v2, v2
	v_pack_b32_f16 v2, v2, v1
	v_ashrrev_i32_e32 v1, 31, v0
	v_pk_add_f16 v2, 0xcc00, v2 op_sel_hi:[0,1]
	v_lshlrev_b64 v[0:1], 2, v[0:1]
	v_pk_mul_f16 v2, v2, v3
	v_add_co_u32 v0, vcc_lo, s2, v0
	v_add_co_ci_u32_e64 v1, null, s3, v1, vcc_lo
	v_cvt_f32_f16_e32 v3, v2
	v_cvt_f32_f16_sdwa v2, v2 dst_sel:DWORD dst_unused:UNUSED_PAD src0_sel:WORD_1
	global_store_dword v[0:1], v3, off
	global_store_dword v[0:1], v2, off offset:64
.LBB2_2:
	s_endpgm
	.section	.rodata,"a",@progbits
	.p2align	6, 0x0
	.amdhsa_kernel _ZL16dequantize_blockILi32ELi2EXadL_ZL15dequantize_q5_0PKviiR7__half2EEfEvS1_PT2_l
		.amdhsa_group_segment_fixed_size 0
		.amdhsa_private_segment_fixed_size 0
		.amdhsa_kernarg_size 280
		.amdhsa_user_sgpr_count 6
		.amdhsa_user_sgpr_private_segment_buffer 1
		.amdhsa_user_sgpr_dispatch_ptr 0
		.amdhsa_user_sgpr_queue_ptr 0
		.amdhsa_user_sgpr_kernarg_segment_ptr 1
		.amdhsa_user_sgpr_dispatch_id 0
		.amdhsa_user_sgpr_flat_scratch_init 0
		.amdhsa_user_sgpr_private_segment_size 0
		.amdhsa_wavefront_size32 1
		.amdhsa_uses_dynamic_stack 0
		.amdhsa_system_sgpr_private_segment_wavefront_offset 0
		.amdhsa_system_sgpr_workgroup_id_x 1
		.amdhsa_system_sgpr_workgroup_id_y 0
		.amdhsa_system_sgpr_workgroup_id_z 0
		.amdhsa_system_sgpr_workgroup_info 0
		.amdhsa_system_vgpr_workitem_id 0
		.amdhsa_next_free_vgpr 8
		.amdhsa_next_free_sgpr 7
		.amdhsa_reserve_vcc 1
		.amdhsa_reserve_flat_scratch 0
		.amdhsa_float_round_mode_32 0
		.amdhsa_float_round_mode_16_64 0
		.amdhsa_float_denorm_mode_32 3
		.amdhsa_float_denorm_mode_16_64 3
		.amdhsa_dx10_clamp 1
		.amdhsa_ieee_mode 1
		.amdhsa_fp16_overflow 0
		.amdhsa_workgroup_processor_mode 1
		.amdhsa_memory_ordered 1
		.amdhsa_forward_progress 1
		.amdhsa_shared_vgpr_count 0
		.amdhsa_exception_fp_ieee_invalid_op 0
		.amdhsa_exception_fp_denorm_src 0
		.amdhsa_exception_fp_ieee_div_zero 0
		.amdhsa_exception_fp_ieee_overflow 0
		.amdhsa_exception_fp_ieee_underflow 0
		.amdhsa_exception_fp_ieee_inexact 0
		.amdhsa_exception_int_div_zero 0
	.end_amdhsa_kernel
	.section	.text._ZL16dequantize_blockILi32ELi2EXadL_ZL15dequantize_q5_0PKviiR7__half2EEfEvS1_PT2_l,"axG",@progbits,_ZL16dequantize_blockILi32ELi2EXadL_ZL15dequantize_q5_0PKviiR7__half2EEfEvS1_PT2_l,comdat
.Lfunc_end2:
	.size	_ZL16dequantize_blockILi32ELi2EXadL_ZL15dequantize_q5_0PKviiR7__half2EEfEvS1_PT2_l, .Lfunc_end2-_ZL16dequantize_blockILi32ELi2EXadL_ZL15dequantize_q5_0PKviiR7__half2EEfEvS1_PT2_l
                                        ; -- End function
	.set _ZL16dequantize_blockILi32ELi2EXadL_ZL15dequantize_q5_0PKviiR7__half2EEfEvS1_PT2_l.num_vgpr, 8
	.set _ZL16dequantize_blockILi32ELi2EXadL_ZL15dequantize_q5_0PKviiR7__half2EEfEvS1_PT2_l.num_agpr, 0
	.set _ZL16dequantize_blockILi32ELi2EXadL_ZL15dequantize_q5_0PKviiR7__half2EEfEvS1_PT2_l.numbered_sgpr, 7
	.set _ZL16dequantize_blockILi32ELi2EXadL_ZL15dequantize_q5_0PKviiR7__half2EEfEvS1_PT2_l.num_named_barrier, 0
	.set _ZL16dequantize_blockILi32ELi2EXadL_ZL15dequantize_q5_0PKviiR7__half2EEfEvS1_PT2_l.private_seg_size, 0
	.set _ZL16dequantize_blockILi32ELi2EXadL_ZL15dequantize_q5_0PKviiR7__half2EEfEvS1_PT2_l.uses_vcc, 1
	.set _ZL16dequantize_blockILi32ELi2EXadL_ZL15dequantize_q5_0PKviiR7__half2EEfEvS1_PT2_l.uses_flat_scratch, 0
	.set _ZL16dequantize_blockILi32ELi2EXadL_ZL15dequantize_q5_0PKviiR7__half2EEfEvS1_PT2_l.has_dyn_sized_stack, 0
	.set _ZL16dequantize_blockILi32ELi2EXadL_ZL15dequantize_q5_0PKviiR7__half2EEfEvS1_PT2_l.has_recursion, 0
	.set _ZL16dequantize_blockILi32ELi2EXadL_ZL15dequantize_q5_0PKviiR7__half2EEfEvS1_PT2_l.has_indirect_call, 0
	.section	.AMDGPU.csdata,"",@progbits
; Kernel info:
; codeLenInByte = 336
; TotalNumSgprs: 9
; NumVgprs: 8
; ScratchSize: 0
; MemoryBound: 0
; FloatMode: 240
; IeeeMode: 1
; LDSByteSize: 0 bytes/workgroup (compile time only)
; SGPRBlocks: 0
; VGPRBlocks: 0
; NumSGPRsForWavesPerEU: 9
; NumVGPRsForWavesPerEU: 8
; Occupancy: 16
; WaveLimiterHint : 0
; COMPUTE_PGM_RSRC2:SCRATCH_EN: 0
; COMPUTE_PGM_RSRC2:USER_SGPR: 6
; COMPUTE_PGM_RSRC2:TRAP_HANDLER: 0
; COMPUTE_PGM_RSRC2:TGID_X_EN: 1
; COMPUTE_PGM_RSRC2:TGID_Y_EN: 0
; COMPUTE_PGM_RSRC2:TGID_Z_EN: 0
; COMPUTE_PGM_RSRC2:TIDIG_COMP_CNT: 0
	.section	.text._ZL16dequantize_blockILi32ELi2EXadL_ZL15dequantize_q5_1PKviiR7__half2EEfEvS1_PT2_l,"axG",@progbits,_ZL16dequantize_blockILi32ELi2EXadL_ZL15dequantize_q5_1PKviiR7__half2EEfEvS1_PT2_l,comdat
	.globl	_ZL16dequantize_blockILi32ELi2EXadL_ZL15dequantize_q5_1PKviiR7__half2EEfEvS1_PT2_l ; -- Begin function _ZL16dequantize_blockILi32ELi2EXadL_ZL15dequantize_q5_1PKviiR7__half2EEfEvS1_PT2_l
	.p2align	8
	.type	_ZL16dequantize_blockILi32ELi2EXadL_ZL15dequantize_q5_1PKviiR7__half2EEfEvS1_PT2_l,@function
_ZL16dequantize_blockILi32ELi2EXadL_ZL15dequantize_q5_1PKviiR7__half2EEfEvS1_PT2_l: ; @_ZL16dequantize_blockILi32ELi2EXadL_ZL15dequantize_q5_1PKviiR7__half2EEfEvS1_PT2_l
; %bb.0:
	s_clause 0x1
	s_load_dword s2, s[4:5], 0x24
	s_load_dwordx2 s[0:1], s[4:5], 0x10
	v_mov_b32_e32 v1, 0
	s_waitcnt lgkmcnt(0)
	s_and_b32 s2, s2, 0xffff
	v_mad_u64_u32 v[2:3], null, s2, s6, v[0:1]
	v_lshlrev_b64 v[0:1], 1, v[2:3]
	v_cmp_gt_i64_e32 vcc_lo, s[0:1], v[0:1]
	s_and_saveexec_b32 s0, vcc_lo
	s_cbranch_execz .LBB3_2
; %bb.1:
	s_load_dwordx4 s[0:3], s[4:5], 0x0
	v_alignbit_b32 v1, v3, v2, 4
	v_and_b32_e32 v5, 15, v2
	s_waitcnt lgkmcnt(0)
	v_mad_i64_i32 v[3:4], null, v1, 24, s[0:1]
	global_load_dwordx2 v[1:2], v[3:4], off
	v_add_co_u32 v3, vcc_lo, v3, v5
	v_add_co_ci_u32_e64 v4, null, 0, v4, vcc_lo
	global_load_ubyte v3, v[3:4], off offset:8
	v_add_nc_u32_e32 v4, 12, v5
	s_waitcnt vmcnt(1)
	v_lshrrev_b32_e32 v6, v5, v2
	v_lshrrev_b32_e32 v2, v4, v2
	v_lshlrev_b32_e32 v4, 4, v6
	s_waitcnt vmcnt(0)
	v_and_b32_e32 v6, 15, v3
	v_lshrrev_b16 v3, 4, v3
	v_and_or_b32 v4, v4, 16, v6
	v_and_or_b32 v2, v2, 16, v3
	v_cvt_f32_ubyte0_e32 v3, v4
	v_cvt_f32_ubyte0_e32 v4, v2
	v_and_or_b32 v2, 0xffffffe0, v0, v5
	v_mov_b32_e32 v0, 0x10001
	v_lshrrev_b32_e32 v5, 16, v1
	v_cvt_f16_f32_e32 v6, v3
	v_cvt_f16_f32_e32 v4, v4
	v_ashrrev_i32_e32 v3, 31, v2
	v_mul_u32_u24_sdwa v7, v1, v0 dst_sel:DWORD dst_unused:UNUSED_PAD src0_sel:WORD_0 src1_sel:DWORD
	v_and_or_b32 v5, 0xffff0000, v1, v5
	v_pack_b32_f16 v4, v6, v4
	v_lshlrev_b64 v[0:1], 2, v[2:3]
	v_pk_fma_f16 v2, v4, v7, v5
	v_add_co_u32 v0, vcc_lo, s2, v0
	v_add_co_ci_u32_e64 v1, null, s3, v1, vcc_lo
	v_cvt_f32_f16_e32 v3, v2
	v_cvt_f32_f16_sdwa v2, v2 dst_sel:DWORD dst_unused:UNUSED_PAD src0_sel:WORD_1
	global_store_dword v[0:1], v3, off
	global_store_dword v[0:1], v2, off offset:64
.LBB3_2:
	s_endpgm
	.section	.rodata,"a",@progbits
	.p2align	6, 0x0
	.amdhsa_kernel _ZL16dequantize_blockILi32ELi2EXadL_ZL15dequantize_q5_1PKviiR7__half2EEfEvS1_PT2_l
		.amdhsa_group_segment_fixed_size 0
		.amdhsa_private_segment_fixed_size 0
		.amdhsa_kernarg_size 280
		.amdhsa_user_sgpr_count 6
		.amdhsa_user_sgpr_private_segment_buffer 1
		.amdhsa_user_sgpr_dispatch_ptr 0
		.amdhsa_user_sgpr_queue_ptr 0
		.amdhsa_user_sgpr_kernarg_segment_ptr 1
		.amdhsa_user_sgpr_dispatch_id 0
		.amdhsa_user_sgpr_flat_scratch_init 0
		.amdhsa_user_sgpr_private_segment_size 0
		.amdhsa_wavefront_size32 1
		.amdhsa_uses_dynamic_stack 0
		.amdhsa_system_sgpr_private_segment_wavefront_offset 0
		.amdhsa_system_sgpr_workgroup_id_x 1
		.amdhsa_system_sgpr_workgroup_id_y 0
		.amdhsa_system_sgpr_workgroup_id_z 0
		.amdhsa_system_sgpr_workgroup_info 0
		.amdhsa_system_vgpr_workitem_id 0
		.amdhsa_next_free_vgpr 8
		.amdhsa_next_free_sgpr 7
		.amdhsa_reserve_vcc 1
		.amdhsa_reserve_flat_scratch 0
		.amdhsa_float_round_mode_32 0
		.amdhsa_float_round_mode_16_64 0
		.amdhsa_float_denorm_mode_32 3
		.amdhsa_float_denorm_mode_16_64 3
		.amdhsa_dx10_clamp 1
		.amdhsa_ieee_mode 1
		.amdhsa_fp16_overflow 0
		.amdhsa_workgroup_processor_mode 1
		.amdhsa_memory_ordered 1
		.amdhsa_forward_progress 1
		.amdhsa_shared_vgpr_count 0
		.amdhsa_exception_fp_ieee_invalid_op 0
		.amdhsa_exception_fp_denorm_src 0
		.amdhsa_exception_fp_ieee_div_zero 0
		.amdhsa_exception_fp_ieee_overflow 0
		.amdhsa_exception_fp_ieee_underflow 0
		.amdhsa_exception_fp_ieee_inexact 0
		.amdhsa_exception_int_div_zero 0
	.end_amdhsa_kernel
	.section	.text._ZL16dequantize_blockILi32ELi2EXadL_ZL15dequantize_q5_1PKviiR7__half2EEfEvS1_PT2_l,"axG",@progbits,_ZL16dequantize_blockILi32ELi2EXadL_ZL15dequantize_q5_1PKviiR7__half2EEfEvS1_PT2_l,comdat
.Lfunc_end3:
	.size	_ZL16dequantize_blockILi32ELi2EXadL_ZL15dequantize_q5_1PKviiR7__half2EEfEvS1_PT2_l, .Lfunc_end3-_ZL16dequantize_blockILi32ELi2EXadL_ZL15dequantize_q5_1PKviiR7__half2EEfEvS1_PT2_l
                                        ; -- End function
	.set _ZL16dequantize_blockILi32ELi2EXadL_ZL15dequantize_q5_1PKviiR7__half2EEfEvS1_PT2_l.num_vgpr, 8
	.set _ZL16dequantize_blockILi32ELi2EXadL_ZL15dequantize_q5_1PKviiR7__half2EEfEvS1_PT2_l.num_agpr, 0
	.set _ZL16dequantize_blockILi32ELi2EXadL_ZL15dequantize_q5_1PKviiR7__half2EEfEvS1_PT2_l.numbered_sgpr, 7
	.set _ZL16dequantize_blockILi32ELi2EXadL_ZL15dequantize_q5_1PKviiR7__half2EEfEvS1_PT2_l.num_named_barrier, 0
	.set _ZL16dequantize_blockILi32ELi2EXadL_ZL15dequantize_q5_1PKviiR7__half2EEfEvS1_PT2_l.private_seg_size, 0
	.set _ZL16dequantize_blockILi32ELi2EXadL_ZL15dequantize_q5_1PKviiR7__half2EEfEvS1_PT2_l.uses_vcc, 1
	.set _ZL16dequantize_blockILi32ELi2EXadL_ZL15dequantize_q5_1PKviiR7__half2EEfEvS1_PT2_l.uses_flat_scratch, 0
	.set _ZL16dequantize_blockILi32ELi2EXadL_ZL15dequantize_q5_1PKviiR7__half2EEfEvS1_PT2_l.has_dyn_sized_stack, 0
	.set _ZL16dequantize_blockILi32ELi2EXadL_ZL15dequantize_q5_1PKviiR7__half2EEfEvS1_PT2_l.has_recursion, 0
	.set _ZL16dequantize_blockILi32ELi2EXadL_ZL15dequantize_q5_1PKviiR7__half2EEfEvS1_PT2_l.has_indirect_call, 0
	.section	.AMDGPU.csdata,"",@progbits
; Kernel info:
; codeLenInByte = 316
; TotalNumSgprs: 9
; NumVgprs: 8
; ScratchSize: 0
; MemoryBound: 0
; FloatMode: 240
; IeeeMode: 1
; LDSByteSize: 0 bytes/workgroup (compile time only)
; SGPRBlocks: 0
; VGPRBlocks: 0
; NumSGPRsForWavesPerEU: 9
; NumVGPRsForWavesPerEU: 8
; Occupancy: 16
; WaveLimiterHint : 0
; COMPUTE_PGM_RSRC2:SCRATCH_EN: 0
; COMPUTE_PGM_RSRC2:USER_SGPR: 6
; COMPUTE_PGM_RSRC2:TRAP_HANDLER: 0
; COMPUTE_PGM_RSRC2:TGID_X_EN: 1
; COMPUTE_PGM_RSRC2:TGID_Y_EN: 0
; COMPUTE_PGM_RSRC2:TGID_Z_EN: 0
; COMPUTE_PGM_RSRC2:TIDIG_COMP_CNT: 0
	.section	.text._ZL16dequantize_blockILi32ELi1EXadL_ZL15dequantize_q8_0PKviiR7__half2EEfEvS1_PT2_l,"axG",@progbits,_ZL16dequantize_blockILi32ELi1EXadL_ZL15dequantize_q8_0PKviiR7__half2EEfEvS1_PT2_l,comdat
	.globl	_ZL16dequantize_blockILi32ELi1EXadL_ZL15dequantize_q8_0PKviiR7__half2EEfEvS1_PT2_l ; -- Begin function _ZL16dequantize_blockILi32ELi1EXadL_ZL15dequantize_q8_0PKviiR7__half2EEfEvS1_PT2_l
	.p2align	8
	.type	_ZL16dequantize_blockILi32ELi1EXadL_ZL15dequantize_q8_0PKviiR7__half2EEfEvS1_PT2_l,@function
_ZL16dequantize_blockILi32ELi1EXadL_ZL15dequantize_q8_0PKviiR7__half2EEfEvS1_PT2_l: ; @_ZL16dequantize_blockILi32ELi1EXadL_ZL15dequantize_q8_0PKviiR7__half2EEfEvS1_PT2_l
; %bb.0:
	s_clause 0x1
	s_load_dword s2, s[4:5], 0x24
	s_load_dwordx2 s[0:1], s[4:5], 0x10
	v_mov_b32_e32 v1, 0
	s_waitcnt lgkmcnt(0)
	s_and_b32 s2, s2, 0xffff
	v_mad_u64_u32 v[2:3], null, s2, s6, v[0:1]
	v_lshlrev_b64 v[4:5], 1, v[2:3]
	v_cmp_gt_i64_e32 vcc_lo, s[0:1], v[4:5]
	s_and_saveexec_b32 s0, vcc_lo
	s_cbranch_execz .LBB4_2
; %bb.1:
	s_load_dwordx4 s[0:3], s[4:5], 0x0
	v_alignbit_b32 v0, v3, v2, 4
	v_lshlrev_b32_e32 v2, 1, v2
	s_waitcnt lgkmcnt(0)
	v_mad_i64_i32 v[5:6], null, v0, 34, s[0:1]
	v_and_b32_e32 v0, 30, v4
	v_add_co_u32 v3, vcc_lo, v5, v0
	v_add_co_ci_u32_e64 v4, null, 0, v6, vcc_lo
	s_clause 0x1
	global_load_ushort v0, v[3:4], off offset:2
	global_load_ushort v3, v[5:6], off
	s_waitcnt vmcnt(1)
	v_ashrrev_i16 v4, 8, v0
	v_cvt_f16_i16_sdwa v0, sext(v0) dst_sel:DWORD dst_unused:UNUSED_PAD src0_sel:BYTE_0
	s_waitcnt vmcnt(0)
	v_lshl_or_b32 v3, v3, 16, v3
	v_cvt_f16_i16_e32 v4, v4
	v_pack_b32_f16 v4, v0, v4
	v_ashrrev_i64 v[0:1], 30, v[1:2]
	v_pk_mul_f16 v3, v4, v3
	v_add_co_u32 v0, vcc_lo, s2, v0
	v_add_co_ci_u32_e64 v1, null, s3, v1, vcc_lo
	v_cvt_f32_f16_e32 v2, v3
	v_cvt_f32_f16_sdwa v3, v3 dst_sel:DWORD dst_unused:UNUSED_PAD src0_sel:WORD_1
	global_store_dwordx2 v[0:1], v[2:3], off
.LBB4_2:
	s_endpgm
	.section	.rodata,"a",@progbits
	.p2align	6, 0x0
	.amdhsa_kernel _ZL16dequantize_blockILi32ELi1EXadL_ZL15dequantize_q8_0PKviiR7__half2EEfEvS1_PT2_l
		.amdhsa_group_segment_fixed_size 0
		.amdhsa_private_segment_fixed_size 0
		.amdhsa_kernarg_size 280
		.amdhsa_user_sgpr_count 6
		.amdhsa_user_sgpr_private_segment_buffer 1
		.amdhsa_user_sgpr_dispatch_ptr 0
		.amdhsa_user_sgpr_queue_ptr 0
		.amdhsa_user_sgpr_kernarg_segment_ptr 1
		.amdhsa_user_sgpr_dispatch_id 0
		.amdhsa_user_sgpr_flat_scratch_init 0
		.amdhsa_user_sgpr_private_segment_size 0
		.amdhsa_wavefront_size32 1
		.amdhsa_uses_dynamic_stack 0
		.amdhsa_system_sgpr_private_segment_wavefront_offset 0
		.amdhsa_system_sgpr_workgroup_id_x 1
		.amdhsa_system_sgpr_workgroup_id_y 0
		.amdhsa_system_sgpr_workgroup_id_z 0
		.amdhsa_system_sgpr_workgroup_info 0
		.amdhsa_system_vgpr_workitem_id 0
		.amdhsa_next_free_vgpr 7
		.amdhsa_next_free_sgpr 7
		.amdhsa_reserve_vcc 1
		.amdhsa_reserve_flat_scratch 0
		.amdhsa_float_round_mode_32 0
		.amdhsa_float_round_mode_16_64 0
		.amdhsa_float_denorm_mode_32 3
		.amdhsa_float_denorm_mode_16_64 3
		.amdhsa_dx10_clamp 1
		.amdhsa_ieee_mode 1
		.amdhsa_fp16_overflow 0
		.amdhsa_workgroup_processor_mode 1
		.amdhsa_memory_ordered 1
		.amdhsa_forward_progress 1
		.amdhsa_shared_vgpr_count 0
		.amdhsa_exception_fp_ieee_invalid_op 0
		.amdhsa_exception_fp_denorm_src 0
		.amdhsa_exception_fp_ieee_div_zero 0
		.amdhsa_exception_fp_ieee_overflow 0
		.amdhsa_exception_fp_ieee_underflow 0
		.amdhsa_exception_fp_ieee_inexact 0
		.amdhsa_exception_int_div_zero 0
	.end_amdhsa_kernel
	.section	.text._ZL16dequantize_blockILi32ELi1EXadL_ZL15dequantize_q8_0PKviiR7__half2EEfEvS1_PT2_l,"axG",@progbits,_ZL16dequantize_blockILi32ELi1EXadL_ZL15dequantize_q8_0PKviiR7__half2EEfEvS1_PT2_l,comdat
.Lfunc_end4:
	.size	_ZL16dequantize_blockILi32ELi1EXadL_ZL15dequantize_q8_0PKviiR7__half2EEfEvS1_PT2_l, .Lfunc_end4-_ZL16dequantize_blockILi32ELi1EXadL_ZL15dequantize_q8_0PKviiR7__half2EEfEvS1_PT2_l
                                        ; -- End function
	.set _ZL16dequantize_blockILi32ELi1EXadL_ZL15dequantize_q8_0PKviiR7__half2EEfEvS1_PT2_l.num_vgpr, 7
	.set _ZL16dequantize_blockILi32ELi1EXadL_ZL15dequantize_q8_0PKviiR7__half2EEfEvS1_PT2_l.num_agpr, 0
	.set _ZL16dequantize_blockILi32ELi1EXadL_ZL15dequantize_q8_0PKviiR7__half2EEfEvS1_PT2_l.numbered_sgpr, 7
	.set _ZL16dequantize_blockILi32ELi1EXadL_ZL15dequantize_q8_0PKviiR7__half2EEfEvS1_PT2_l.num_named_barrier, 0
	.set _ZL16dequantize_blockILi32ELi1EXadL_ZL15dequantize_q8_0PKviiR7__half2EEfEvS1_PT2_l.private_seg_size, 0
	.set _ZL16dequantize_blockILi32ELi1EXadL_ZL15dequantize_q8_0PKviiR7__half2EEfEvS1_PT2_l.uses_vcc, 1
	.set _ZL16dequantize_blockILi32ELi1EXadL_ZL15dequantize_q8_0PKviiR7__half2EEfEvS1_PT2_l.uses_flat_scratch, 0
	.set _ZL16dequantize_blockILi32ELi1EXadL_ZL15dequantize_q8_0PKviiR7__half2EEfEvS1_PT2_l.has_dyn_sized_stack, 0
	.set _ZL16dequantize_blockILi32ELi1EXadL_ZL15dequantize_q8_0PKviiR7__half2EEfEvS1_PT2_l.has_recursion, 0
	.set _ZL16dequantize_blockILi32ELi1EXadL_ZL15dequantize_q8_0PKviiR7__half2EEfEvS1_PT2_l.has_indirect_call, 0
	.section	.AMDGPU.csdata,"",@progbits
; Kernel info:
; codeLenInByte = 236
; TotalNumSgprs: 9
; NumVgprs: 7
; ScratchSize: 0
; MemoryBound: 0
; FloatMode: 240
; IeeeMode: 1
; LDSByteSize: 0 bytes/workgroup (compile time only)
; SGPRBlocks: 0
; VGPRBlocks: 0
; NumSGPRsForWavesPerEU: 9
; NumVGPRsForWavesPerEU: 7
; Occupancy: 16
; WaveLimiterHint : 0
; COMPUTE_PGM_RSRC2:SCRATCH_EN: 0
; COMPUTE_PGM_RSRC2:USER_SGPR: 6
; COMPUTE_PGM_RSRC2:TRAP_HANDLER: 0
; COMPUTE_PGM_RSRC2:TGID_X_EN: 1
; COMPUTE_PGM_RSRC2:TGID_Y_EN: 0
; COMPUTE_PGM_RSRC2:TGID_Z_EN: 0
; COMPUTE_PGM_RSRC2:TIDIG_COMP_CNT: 0
	.section	.text._ZL21dequantize_block_q2_KIfEvPKvPT_,"axG",@progbits,_ZL21dequantize_block_q2_KIfEvPKvPT_,comdat
	.globl	_ZL21dequantize_block_q2_KIfEvPKvPT_ ; -- Begin function _ZL21dequantize_block_q2_KIfEvPKvPT_
	.p2align	8
	.type	_ZL21dequantize_block_q2_KIfEvPKvPT_,@function
_ZL21dequantize_block_q2_KIfEvPKvPT_:   ; @_ZL21dequantize_block_q2_KIfEvPKvPT_
; %bb.0:
	s_load_dwordx4 s[0:3], s[4:5], 0x0
	v_lshrrev_b32_e32 v1, 5, v0
	v_bfe_u32 v2, v0, 4, 1
	s_mul_i32 s4, s6, 0x54
	s_mul_hi_u32 s5, s6, 0x54
	v_lshl_or_b32 v2, v1, 3, v2
	v_lshlrev_b32_e32 v1, 9, v1
	s_waitcnt lgkmcnt(0)
	s_add_u32 s0, s0, s4
	s_addc_u32 s1, s1, s5
	s_clause 0x4
	global_load_ubyte v3, v2, s[0:1]
	global_load_ubyte v4, v0, s[0:1] offset:16
	global_load_ubyte v5, v2, s[0:1] offset:2
	;; [unrolled: 1-line block ×4, first 2 shown]
	s_load_dword s4, s[0:1], 0x50
	s_mov_b32 s1, 0
	s_lshl_b32 s0, s6, 8
	v_and_b32_e32 v0, 31, v0
	s_lshl_b64 s[0:1], s[0:1], 2
	s_add_u32 s0, s2, s0
	s_addc_u32 s1, s3, s1
	v_lshlrev_b32_e32 v0, 2, v0
	v_add_co_u32 v1, s0, s0, v1
	v_add_co_u32 v0, vcc_lo, v1, v0
	s_waitcnt lgkmcnt(0)
	s_lshr_b32 s2, s4, 16
	s_waitcnt vmcnt(4)
	v_and_b32_e32 v7, 15, v3
	s_waitcnt vmcnt(3)
	v_and_b32_e32 v8, 3, v4
	;; [unrolled: 2-line block ×3, first 2 shown]
	v_bfe_u32 v10, v4, 2, 2
	s_waitcnt vmcnt(1)
	v_and_b32_e32 v11, 15, v6
	v_bfe_u32 v12, v4, 4, 2
	s_waitcnt vmcnt(0)
	v_and_b32_e32 v13, 15, v2
	v_lshrrev_b32_e32 v4, 6, v4
	v_lshrrev_b16 v3, 4, v3
	v_mul_u32_u24_sdwa v7, v8, v7 dst_sel:DWORD dst_unused:UNUSED_PAD src0_sel:DWORD src1_sel:WORD_0
	v_lshrrev_b16 v5, 4, v5
	v_mul_u32_u24_sdwa v8, v10, v9 dst_sel:DWORD dst_unused:UNUSED_PAD src0_sel:DWORD src1_sel:WORD_0
	;; [unrolled: 2-line block ×4, first 2 shown]
	v_cvt_f16_u16_e32 v3, v3
	v_cvt_f32_ubyte0_e32 v7, v7
	v_cvt_f16_u16_e32 v5, v5
	v_cvt_f32_ubyte0_e32 v8, v8
	;; [unrolled: 2-line block ×4, first 2 shown]
	v_mul_f16_e32 v3, s2, v3
	v_cvt_f16_f32_e32 v7, v7
	v_mul_f16_e32 v5, s2, v5
	v_cvt_f16_f32_e32 v8, v8
	;; [unrolled: 2-line block ×4, first 2 shown]
	v_add_co_ci_u32_e64 v10, null, s1, 0, s0
	v_fma_f16 v3, s4, v7, -v3
	v_fma_f16 v5, s4, v8, -v5
	v_fma_f16 v6, s4, v9, -v6
	v_fma_f16 v2, s4, v4, -v2
	v_add_co_ci_u32_e64 v1, null, 0, v10, vcc_lo
	v_cvt_f32_f16_e32 v3, v3
	v_cvt_f32_f16_e32 v4, v5
	;; [unrolled: 1-line block ×4, first 2 shown]
	global_store_dword v[0:1], v3, off
	global_store_dword v[0:1], v4, off offset:128
	global_store_dword v[0:1], v5, off offset:256
	;; [unrolled: 1-line block ×3, first 2 shown]
	s_endpgm
	.section	.rodata,"a",@progbits
	.p2align	6, 0x0
	.amdhsa_kernel _ZL21dequantize_block_q2_KIfEvPKvPT_
		.amdhsa_group_segment_fixed_size 0
		.amdhsa_private_segment_fixed_size 0
		.amdhsa_kernarg_size 16
		.amdhsa_user_sgpr_count 6
		.amdhsa_user_sgpr_private_segment_buffer 1
		.amdhsa_user_sgpr_dispatch_ptr 0
		.amdhsa_user_sgpr_queue_ptr 0
		.amdhsa_user_sgpr_kernarg_segment_ptr 1
		.amdhsa_user_sgpr_dispatch_id 0
		.amdhsa_user_sgpr_flat_scratch_init 0
		.amdhsa_user_sgpr_private_segment_size 0
		.amdhsa_wavefront_size32 1
		.amdhsa_uses_dynamic_stack 0
		.amdhsa_system_sgpr_private_segment_wavefront_offset 0
		.amdhsa_system_sgpr_workgroup_id_x 1
		.amdhsa_system_sgpr_workgroup_id_y 0
		.amdhsa_system_sgpr_workgroup_id_z 0
		.amdhsa_system_sgpr_workgroup_info 0
		.amdhsa_system_vgpr_workitem_id 0
		.amdhsa_next_free_vgpr 14
		.amdhsa_next_free_sgpr 7
		.amdhsa_reserve_vcc 1
		.amdhsa_reserve_flat_scratch 0
		.amdhsa_float_round_mode_32 0
		.amdhsa_float_round_mode_16_64 0
		.amdhsa_float_denorm_mode_32 3
		.amdhsa_float_denorm_mode_16_64 3
		.amdhsa_dx10_clamp 1
		.amdhsa_ieee_mode 1
		.amdhsa_fp16_overflow 0
		.amdhsa_workgroup_processor_mode 1
		.amdhsa_memory_ordered 1
		.amdhsa_forward_progress 1
		.amdhsa_shared_vgpr_count 0
		.amdhsa_exception_fp_ieee_invalid_op 0
		.amdhsa_exception_fp_denorm_src 0
		.amdhsa_exception_fp_ieee_div_zero 0
		.amdhsa_exception_fp_ieee_overflow 0
		.amdhsa_exception_fp_ieee_underflow 0
		.amdhsa_exception_fp_ieee_inexact 0
		.amdhsa_exception_int_div_zero 0
	.end_amdhsa_kernel
	.section	.text._ZL21dequantize_block_q2_KIfEvPKvPT_,"axG",@progbits,_ZL21dequantize_block_q2_KIfEvPKvPT_,comdat
.Lfunc_end5:
	.size	_ZL21dequantize_block_q2_KIfEvPKvPT_, .Lfunc_end5-_ZL21dequantize_block_q2_KIfEvPKvPT_
                                        ; -- End function
	.set _ZL21dequantize_block_q2_KIfEvPKvPT_.num_vgpr, 14
	.set _ZL21dequantize_block_q2_KIfEvPKvPT_.num_agpr, 0
	.set _ZL21dequantize_block_q2_KIfEvPKvPT_.numbered_sgpr, 7
	.set _ZL21dequantize_block_q2_KIfEvPKvPT_.num_named_barrier, 0
	.set _ZL21dequantize_block_q2_KIfEvPKvPT_.private_seg_size, 0
	.set _ZL21dequantize_block_q2_KIfEvPKvPT_.uses_vcc, 1
	.set _ZL21dequantize_block_q2_KIfEvPKvPT_.uses_flat_scratch, 0
	.set _ZL21dequantize_block_q2_KIfEvPKvPT_.has_dyn_sized_stack, 0
	.set _ZL21dequantize_block_q2_KIfEvPKvPT_.has_recursion, 0
	.set _ZL21dequantize_block_q2_KIfEvPKvPT_.has_indirect_call, 0
	.section	.AMDGPU.csdata,"",@progbits
; Kernel info:
; codeLenInByte = 452
; TotalNumSgprs: 9
; NumVgprs: 14
; ScratchSize: 0
; MemoryBound: 0
; FloatMode: 240
; IeeeMode: 1
; LDSByteSize: 0 bytes/workgroup (compile time only)
; SGPRBlocks: 0
; VGPRBlocks: 1
; NumSGPRsForWavesPerEU: 9
; NumVGPRsForWavesPerEU: 14
; Occupancy: 16
; WaveLimiterHint : 0
; COMPUTE_PGM_RSRC2:SCRATCH_EN: 0
; COMPUTE_PGM_RSRC2:USER_SGPR: 6
; COMPUTE_PGM_RSRC2:TRAP_HANDLER: 0
; COMPUTE_PGM_RSRC2:TGID_X_EN: 1
; COMPUTE_PGM_RSRC2:TGID_Y_EN: 0
; COMPUTE_PGM_RSRC2:TGID_Z_EN: 0
; COMPUTE_PGM_RSRC2:TIDIG_COMP_CNT: 0
	.section	.text._ZL21dequantize_block_q3_KIfEvPKvPT_,"axG",@progbits,_ZL21dequantize_block_q3_KIfEvPKvPT_,comdat
	.globl	_ZL21dequantize_block_q3_KIfEvPKvPT_ ; -- Begin function _ZL21dequantize_block_q3_KIfEvPKvPT_
	.p2align	8
	.type	_ZL21dequantize_block_q3_KIfEvPKvPT_,@function
_ZL21dequantize_block_q3_KIfEvPKvPT_:   ; @_ZL21dequantize_block_q3_KIfEvPKvPT_
; %bb.0:
	v_lshrrev_b32_e32 v4, 5, v0
	v_lshrrev_b32_e32 v6, 3, v0
	s_load_dwordx4 s[0:3], s[4:5], 0x0
	v_bfe_u32 v7, v0, 2, 1
	s_mov_b32 s7, 0
	v_lshlrev_b32_e32 v1, 2, v4
	s_mov_b32 s4, exec_lo
                                        ; implicit-def: $vgpr9
                                        ; implicit-def: $vgpr8
	v_sub_nc_u32_e32 v5, v6, v1
	v_mov_b32_e32 v1, s6
	v_mov_b32_e32 v2, s7
	v_lshlrev_b32_e32 v3, 1, v5
	v_lshl_add_u32 v11, v4, 3, v3
	v_or_b32_e32 v10, v11, v7
	v_cmpx_lt_i32_e32 3, v10
	s_xor_b32 s4, exec_lo, s4
	s_cbranch_execz .LBB6_10
; %bb.1:
	v_mov_b32_e32 v1, s6
	s_mov_b32 s5, exec_lo
	v_mov_b32_e32 v2, s7
                                        ; implicit-def: $vgpr9
                                        ; implicit-def: $vgpr8
	v_cmpx_lt_u32_e32 7, v11
	s_xor_b32 s5, exec_lo, s5
	s_cbranch_execz .LBB6_7
; %bb.2:
	s_mul_i32 s7, s6, 0x6e
	s_mul_hi_u32 s9, s6, 0x6e
	s_waitcnt lgkmcnt(0)
	s_add_u32 s8, s0, s7
	s_addc_u32 s9, s1, s9
	v_add_co_u32 v1, s7, s8, v10
	global_load_ubyte v9, v10, s[8:9] offset:88
	v_add_co_ci_u32_e64 v2, null, s9, 0, s7
	s_mov_b32 s7, 0
	s_mov_b32 s8, exec_lo
                                        ; implicit-def: $vgpr8
	v_cmpx_lt_u32_e32 11, v11
	s_xor_b32 s8, exec_lo, s8
	s_cbranch_execz .LBB6_4
; %bb.3:
	global_load_ubyte v1, v[1:2], off offset:92
	s_waitcnt vmcnt(0)
	v_lshrrev_b16 v8, 2, v1
                                        ; implicit-def: $vgpr1_vgpr2
.LBB6_4:
	s_andn2_saveexec_b32 s8, s8
	s_cbranch_execz .LBB6_6
; %bb.5:
	global_load_ubyte v8, v[1:2], off offset:96
.LBB6_6:
	s_or_b32 exec_lo, exec_lo, s8
	v_mov_b32_e32 v1, s6
	s_waitcnt vmcnt(0)
	v_lshrrev_b16 v9, 4, v9
	v_mov_b32_e32 v2, s7
                                        ; implicit-def: $vgpr10
.LBB6_7:
	s_andn2_saveexec_b32 s5, s5
	s_cbranch_execz .LBB6_9
; %bb.8:
	s_mul_i32 s7, s6, 0x6e
	s_mul_hi_u32 s9, s6, 0x6e
	s_waitcnt lgkmcnt(0)
	s_add_u32 s8, s0, s7
	s_addc_u32 s9, s1, s9
	s_clause 0x1
	global_load_ubyte v2, v10, s[8:9] offset:96
	global_load_ubyte v8, v10, s[8:9] offset:100
	s_waitcnt vmcnt(1)
	v_and_b32_e32 v9, 15, v2
	s_waitcnt vmcnt(0)
	v_lshlrev_b16 v8, 2, v8
.LBB6_9:
	s_or_b32 exec_lo, exec_lo, s5
                                        ; implicit-def: $vgpr10
.LBB6_10:
	s_andn2_saveexec_b32 s4, s4
	s_cbranch_execz .LBB6_12
; %bb.11:
	s_mul_i32 s5, s6, 0x6e
	v_ashrrev_i32_e32 v2, 31, v10
	s_mul_hi_u32 s7, s6, 0x6e
	s_waitcnt lgkmcnt(0)
	s_add_u32 s5, s0, s5
	s_addc_u32 s7, s1, s7
	v_add_co_u32 v8, vcc_lo, s5, v10
	v_add_co_ci_u32_e64 v9, null, s7, v2, vcc_lo
	s_clause 0x1
	global_load_ubyte v2, v[8:9], off offset:96
	global_load_ubyte v8, v[8:9], off offset:104
	s_waitcnt vmcnt(1)
	v_and_b32_e32 v9, 15, v2
	s_waitcnt vmcnt(0)
	v_lshlrev_b16 v8, 4, v8
.LBB6_12:
	s_or_b32 exec_lo, exec_lo, s4
	v_lshlrev_b32_e32 v10, 2, v0
	s_waitcnt lgkmcnt(0)
	v_mad_u64_u32 v[1:2], null, 0x6e, v1, s[0:1]
	v_and_b32_e32 v0, 0x3e0, v0
	v_lshlrev_b32_e64 v6, v6, 1
	v_and_b32_e32 v10, 12, v10
	s_lshl_b32 s0, s6, 8
	s_mov_b32 s1, 0
	v_lshlrev_b32_e32 v4, 9, v4
	v_add_co_u32 v0, vcc_lo, v1, v0
	v_lshl_or_b32 v7, v7, 4, v10
	v_add_co_ci_u32_e64 v11, null, 0, v2, vcc_lo
	s_lshl_b64 s[0:1], s[0:1], 2
	v_add_co_u32 v10, vcc_lo, v0, v7
	v_add_co_ci_u32_e64 v11, null, 0, v11, vcc_lo
	v_add_co_u32 v12, vcc_lo, v1, v7
	v_add_co_ci_u32_e64 v13, null, 0, v2, vcc_lo
	s_clause 0x2
	global_load_dword v10, v[10:11], off offset:32
	global_load_dword v11, v[12:13], off
	global_load_ushort v2, v[1:2], off offset:108
	v_and_b32_e32 v1, 48, v8
	v_lshlrev_b32_e32 v0, 5, v5
	v_mov_b32_e32 v8, 32
	s_add_u32 s0, s2, s0
	s_addc_u32 s1, s3, s1
	v_or_b32_e32 v5, v1, v9
	v_mov_b32_e32 v9, 0xffff
	v_ashrrev_i32_e32 v1, 31, v0
	v_add_co_u32 v4, s0, s0, v4
	v_sub_nc_u32_sdwa v5, v5, v8 dst_sel:DWORD dst_unused:UNUSED_PAD src0_sel:BYTE_0 src1_sel:DWORD
	v_add_co_ci_u32_e64 v8, null, s1, 0, s0
	v_lshlrev_b64 v[0:1], 2, v[0:1]
	v_lshlrev_b32_e32 v7, 2, v7
	v_cvt_f32_i32_e32 v5, v5
	v_cvt_f16_f32_e32 v5, v5
	s_waitcnt vmcnt(2)
	v_lshrrev_b32_sdwa v12, v3, v10 dst_sel:DWORD dst_unused:UNUSED_PAD src0_sel:DWORD src1_sel:BYTE_0
	s_waitcnt vmcnt(1)
	v_and_b32_sdwa v15, v6, v11 dst_sel:DWORD dst_unused:UNUSED_PAD src0_sel:DWORD src1_sel:BYTE_0
	v_lshrrev_b32_sdwa v13, v3, v10 dst_sel:DWORD dst_unused:UNUSED_PAD src0_sel:DWORD src1_sel:BYTE_1
	v_lshrrev_b32_sdwa v14, v3, v10 dst_sel:DWORD dst_unused:UNUSED_PAD src0_sel:DWORD src1_sel:BYTE_2
	v_and_b32_sdwa v9, v9, v11 dst_sel:DWORD dst_unused:UNUSED_PAD src0_sel:DWORD src1_sel:BYTE_1
	v_lshrrev_b32_sdwa v3, v3, v10 dst_sel:DWORD dst_unused:UNUSED_PAD src0_sel:DWORD src1_sel:BYTE_3
	v_and_b32_sdwa v10, v6, v11 dst_sel:DWORD dst_unused:UNUSED_PAD src0_sel:DWORD src1_sel:BYTE_2
	v_cmp_eq_u32_e32 vcc_lo, 0, v15
	v_and_b32_sdwa v11, v6, v11 dst_sel:DWORD dst_unused:UNUSED_PAD src0_sel:DWORD src1_sel:BYTE_3
	v_and_b32_e32 v6, v6, v9
	s_waitcnt vmcnt(0)
	v_mul_f16_e32 v2, v2, v5
	v_cndmask_b32_e64 v9, 0, -4, vcc_lo
	v_cmp_eq_u32_e32 vcc_lo, 0, v10
	v_and_or_b32 v9, v12, 3, v9
	v_cndmask_b32_e64 v10, 0, -4, vcc_lo
	v_cmp_eq_u32_e32 vcc_lo, 0, v11
	v_cvt_f32_i32_e32 v9, v9
	v_and_or_b32 v10, v14, 3, v10
	v_cndmask_b32_e64 v11, 0, -4, vcc_lo
	v_cmp_eq_u32_e32 vcc_lo, 0, v6
	v_cvt_f16_f32_e32 v5, v9
	v_cvt_f32_i32_e32 v10, v10
	v_and_or_b32 v3, v3, 3, v11
	v_cndmask_b32_e64 v6, 0, -4, vcc_lo
	v_add_co_u32 v0, vcc_lo, v4, v0
	v_cvt_f16_f32_e32 v9, v10
	v_cvt_f32_i32_e32 v3, v3
	v_and_or_b32 v6, v13, 3, v6
	v_add_co_ci_u32_e64 v1, null, v8, v1, vcc_lo
	v_mul_f16_e32 v8, v2, v5
	v_cvt_f16_f32_e32 v3, v3
	v_cvt_f32_i32_e32 v6, v6
	v_mul_f16_e32 v9, v2, v9
	v_add_co_u32 v4, vcc_lo, v0, v7
	v_mul_f16_e32 v3, v2, v3
	v_cvt_f16_f32_e32 v6, v6
	v_add_co_ci_u32_e64 v5, null, 0, v1, vcc_lo
	v_cvt_f32_f16_e32 v0, v8
	v_cvt_f32_f16_e32 v3, v3
	v_mul_f16_e32 v6, v2, v6
	v_cvt_f32_f16_e32 v2, v9
	v_cvt_f32_f16_e32 v1, v6
	global_store_dwordx4 v[4:5], v[0:3], off
	s_endpgm
	.section	.rodata,"a",@progbits
	.p2align	6, 0x0
	.amdhsa_kernel _ZL21dequantize_block_q3_KIfEvPKvPT_
		.amdhsa_group_segment_fixed_size 0
		.amdhsa_private_segment_fixed_size 0
		.amdhsa_kernarg_size 16
		.amdhsa_user_sgpr_count 6
		.amdhsa_user_sgpr_private_segment_buffer 1
		.amdhsa_user_sgpr_dispatch_ptr 0
		.amdhsa_user_sgpr_queue_ptr 0
		.amdhsa_user_sgpr_kernarg_segment_ptr 1
		.amdhsa_user_sgpr_dispatch_id 0
		.amdhsa_user_sgpr_flat_scratch_init 0
		.amdhsa_user_sgpr_private_segment_size 0
		.amdhsa_wavefront_size32 1
		.amdhsa_uses_dynamic_stack 0
		.amdhsa_system_sgpr_private_segment_wavefront_offset 0
		.amdhsa_system_sgpr_workgroup_id_x 1
		.amdhsa_system_sgpr_workgroup_id_y 0
		.amdhsa_system_sgpr_workgroup_id_z 0
		.amdhsa_system_sgpr_workgroup_info 0
		.amdhsa_system_vgpr_workitem_id 0
		.amdhsa_next_free_vgpr 16
		.amdhsa_next_free_sgpr 10
		.amdhsa_reserve_vcc 1
		.amdhsa_reserve_flat_scratch 0
		.amdhsa_float_round_mode_32 0
		.amdhsa_float_round_mode_16_64 0
		.amdhsa_float_denorm_mode_32 3
		.amdhsa_float_denorm_mode_16_64 3
		.amdhsa_dx10_clamp 1
		.amdhsa_ieee_mode 1
		.amdhsa_fp16_overflow 0
		.amdhsa_workgroup_processor_mode 1
		.amdhsa_memory_ordered 1
		.amdhsa_forward_progress 1
		.amdhsa_shared_vgpr_count 0
		.amdhsa_exception_fp_ieee_invalid_op 0
		.amdhsa_exception_fp_denorm_src 0
		.amdhsa_exception_fp_ieee_div_zero 0
		.amdhsa_exception_fp_ieee_overflow 0
		.amdhsa_exception_fp_ieee_underflow 0
		.amdhsa_exception_fp_ieee_inexact 0
		.amdhsa_exception_int_div_zero 0
	.end_amdhsa_kernel
	.section	.text._ZL21dequantize_block_q3_KIfEvPKvPT_,"axG",@progbits,_ZL21dequantize_block_q3_KIfEvPKvPT_,comdat
.Lfunc_end6:
	.size	_ZL21dequantize_block_q3_KIfEvPKvPT_, .Lfunc_end6-_ZL21dequantize_block_q3_KIfEvPKvPT_
                                        ; -- End function
	.set _ZL21dequantize_block_q3_KIfEvPKvPT_.num_vgpr, 16
	.set _ZL21dequantize_block_q3_KIfEvPKvPT_.num_agpr, 0
	.set _ZL21dequantize_block_q3_KIfEvPKvPT_.numbered_sgpr, 10
	.set _ZL21dequantize_block_q3_KIfEvPKvPT_.num_named_barrier, 0
	.set _ZL21dequantize_block_q3_KIfEvPKvPT_.private_seg_size, 0
	.set _ZL21dequantize_block_q3_KIfEvPKvPT_.uses_vcc, 1
	.set _ZL21dequantize_block_q3_KIfEvPKvPT_.uses_flat_scratch, 0
	.set _ZL21dequantize_block_q3_KIfEvPKvPT_.has_dyn_sized_stack, 0
	.set _ZL21dequantize_block_q3_KIfEvPKvPT_.has_recursion, 0
	.set _ZL21dequantize_block_q3_KIfEvPKvPT_.has_indirect_call, 0
	.section	.AMDGPU.csdata,"",@progbits
; Kernel info:
; codeLenInByte = 904
; TotalNumSgprs: 12
; NumVgprs: 16
; ScratchSize: 0
; MemoryBound: 0
; FloatMode: 240
; IeeeMode: 1
; LDSByteSize: 0 bytes/workgroup (compile time only)
; SGPRBlocks: 0
; VGPRBlocks: 1
; NumSGPRsForWavesPerEU: 12
; NumVGPRsForWavesPerEU: 16
; Occupancy: 16
; WaveLimiterHint : 0
; COMPUTE_PGM_RSRC2:SCRATCH_EN: 0
; COMPUTE_PGM_RSRC2:USER_SGPR: 6
; COMPUTE_PGM_RSRC2:TRAP_HANDLER: 0
; COMPUTE_PGM_RSRC2:TGID_X_EN: 1
; COMPUTE_PGM_RSRC2:TGID_Y_EN: 0
; COMPUTE_PGM_RSRC2:TGID_Z_EN: 0
; COMPUTE_PGM_RSRC2:TIDIG_COMP_CNT: 0
	.section	.text._ZL21dequantize_block_q4_KIfEvPKvPT_,"axG",@progbits,_ZL21dequantize_block_q4_KIfEvPKvPT_,comdat
	.globl	_ZL21dequantize_block_q4_KIfEvPKvPT_ ; -- Begin function _ZL21dequantize_block_q4_KIfEvPKvPT_
	.p2align	8
	.type	_ZL21dequantize_block_q4_KIfEvPKvPT_,@function
_ZL21dequantize_block_q4_KIfEvPKvPT_:   ; @_ZL21dequantize_block_q4_KIfEvPKvPT_
; %bb.0:
	s_load_dwordx2 s[0:1], s[4:5], 0x0
	v_lshrrev_b32_e32 v3, 3, v0
	s_mul_i32 s3, s6, 0x90
	s_mul_hi_u32 s2, s6, 0x90
	v_cmp_lt_u32_e32 vcc_lo, 15, v0
                                        ; implicit-def: $vgpr5
                                        ; implicit-def: $vgpr4
	v_lshlrev_b32_e32 v1, 1, v3
	s_waitcnt lgkmcnt(0)
	s_add_u32 s0, s0, s3
	s_addc_u32 s1, s1, s2
	v_add_co_u32 v1, s2, s0, v1
	v_add_co_ci_u32_e64 v2, null, s1, 0, s2
	s_and_saveexec_b32 s2, vcc_lo
	s_xor_b32 s2, exec_lo, s2
	s_cbranch_execz .LBB7_2
; %bb.1:
	s_clause 0x2
	global_load_ubyte v4, v[1:2], off
	global_load_ubyte v5, v[1:2], off offset:4
	global_load_ubyte v6, v[1:2], off offset:8
	s_waitcnt vmcnt(2)
	v_lshrrev_b16 v4, 2, v4
	s_waitcnt vmcnt(1)
	v_lshrrev_b16 v5, 2, v5
	s_waitcnt vmcnt(0)
	v_and_b32_e32 v7, 15, v6
	v_lshrrev_b16 v6, 4, v6
	v_and_b32_e32 v4, 48, v4
	v_and_b32_e32 v5, 48, v5
	v_or_b32_e32 v4, v4, v7
	v_or_b32_e32 v5, v5, v6
.LBB7_2:
	s_andn2_saveexec_b32 s2, s2
	s_cbranch_execz .LBB7_4
; %bb.3:
	s_clause 0x1
	global_load_ubyte v4, v[1:2], off offset:4
	global_load_ubyte v5, v[1:2], off offset:8
	s_waitcnt vmcnt(1)
	v_and_b32_e32 v4, 63, v4
	s_waitcnt vmcnt(0)
	v_and_b32_e32 v5, 63, v5
.LBB7_4:
	s_or_b32 exec_lo, exec_lo, s2
	s_load_dwordx2 s[2:3], s[4:5], 0x8
	s_load_dword s4, s[0:1], 0x0
                                        ; implicit-def: $vgpr7
                                        ; implicit-def: $vgpr6
	s_and_saveexec_b32 s5, vcc_lo
	s_xor_b32 s5, exec_lo, s5
	s_cbranch_execz .LBB7_6
; %bb.5:
	s_clause 0x2
	global_load_ubyte v6, v[1:2], off offset:1
	global_load_ubyte v7, v[1:2], off offset:5
	;; [unrolled: 1-line block ×3, first 2 shown]
	s_waitcnt vmcnt(2)
	v_lshrrev_b16 v2, 2, v6
	s_waitcnt vmcnt(1)
	v_lshrrev_b16 v6, 2, v7
	s_waitcnt vmcnt(0)
	v_and_b32_e32 v7, 15, v1
	v_lshrrev_b16 v1, 4, v1
	v_and_b32_e32 v2, 48, v2
	v_and_b32_e32 v8, 48, v6
	v_or_b32_e32 v6, v2, v7
	v_or_b32_e32 v7, v8, v1
                                        ; implicit-def: $vgpr1_vgpr2
.LBB7_6:
	s_andn2_saveexec_b32 s5, s5
	s_cbranch_execz .LBB7_8
; %bb.7:
	s_clause 0x1
	global_load_ubyte v6, v[1:2], off offset:5
	global_load_ubyte v1, v[1:2], off offset:9
	s_waitcnt vmcnt(1)
	v_and_b32_e32 v6, 63, v6
	s_waitcnt vmcnt(0)
	v_and_b32_e32 v7, 63, v1
.LBB7_8:
	s_or_b32 exec_lo, exec_lo, s5
	v_lshlrev_b32_e32 v0, 2, v0
	v_lshlrev_b32_e32 v1, 5, v3
	;; [unrolled: 1-line block ×3, first 2 shown]
	s_waitcnt lgkmcnt(0)
	s_lshr_b32 s5, s4, 16
	v_cvt_f16_u16_sdwa v4, v4 dst_sel:DWORD dst_unused:UNUSED_PAD src0_sel:BYTE_0
	v_and_b32_e32 v2, 28, v0
	v_add_co_u32 v0, s0, s0, v1
	v_add_co_ci_u32_e64 v1, null, s1, 0, s0
	s_mov_b32 s1, 0
	v_add_co_u32 v0, vcc_lo, v0, v2
	v_add_co_ci_u32_e64 v1, null, 0, v1, vcc_lo
	s_lshl_b32 s0, s6, 8
	v_lshlrev_b32_e32 v2, 2, v2
	s_lshl_b64 s[0:1], s[0:1], 2
	global_load_dword v0, v[0:1], off offset:16
	s_add_u32 s0, s2, s0
	v_cvt_f16_u16_sdwa v1, v5 dst_sel:DWORD dst_unused:UNUSED_PAD src0_sel:BYTE_0
	v_add_co_u32 v3, s0, s0, v3
	v_cvt_f16_u16_sdwa v5, v6 dst_sel:DWORD dst_unused:UNUSED_PAD src0_sel:BYTE_0
	v_cvt_f16_u16_sdwa v6, v7 dst_sel:DWORD dst_unused:UNUSED_PAD src0_sel:BYTE_0
	v_mov_b32_e32 v7, 15
	v_add_co_u32 v8, vcc_lo, v3, v2
	v_mul_f16_e32 v1, s5, v1
	v_mul_f16_e32 v4, s4, v4
	;; [unrolled: 1-line block ×4, first 2 shown]
	s_addc_u32 s1, s3, s1
	v_add_co_ci_u32_e64 v9, null, s1, 0, s0
	v_add_co_ci_u32_e64 v9, null, 0, v9, vcc_lo
	s_waitcnt vmcnt(0)
	v_lshrrev_b32_e32 v2, 8, v0
	v_and_b32_e32 v3, 15, v0
	v_lshrrev_b16 v10, 4, v0
	v_lshrrev_b32_e32 v11, 24, v0
	v_and_b32_sdwa v7, v0, v7 dst_sel:DWORD dst_unused:UNUSED_PAD src0_sel:WORD_1 src1_sel:DWORD
	v_lshrrev_b32_e32 v0, 20, v0
	v_cvt_f16_u16_e32 v3, v3
	v_and_b32_e32 v10, 15, v10
	v_and_b32_e32 v12, 15, v2
	v_lshrrev_b16 v2, 4, v2
	v_and_b32_e32 v13, 15, v11
	v_cvt_f16_u16_e32 v7, v7
	v_and_b32_e32 v0, 15, v0
	v_lshrrev_b16 v11, 4, v11
	v_fma_f16 v3, v4, v3, -v1
	v_cvt_f16_u16_e32 v10, v10
	v_cvt_f16_u16_e32 v12, v12
	v_and_b32_e32 v2, 15, v2
	v_cvt_f16_u16_e32 v13, v13
	v_fma_f16 v7, v4, v7, -v1
	v_cvt_f16_u16_e32 v14, v0
	v_cvt_f16_u16_e32 v11, v11
	v_cvt_f32_f16_e32 v0, v3
	v_fma_f16 v3, v5, v10, -v6
	v_fma_f16 v10, v4, v12, -v1
	v_cvt_f16_u16_e32 v12, v2
	v_fma_f16 v13, v4, v13, -v1
	v_cvt_f32_f16_e32 v2, v7
	v_fma_f16 v7, v5, v14, -v6
	v_fma_f16 v11, v5, v11, -v6
	;; [unrolled: 1-line block ×3, first 2 shown]
	v_cvt_f32_f16_e32 v4, v3
	v_cvt_f32_f16_e32 v1, v10
	v_cvt_f32_f16_e32 v3, v13
	v_cvt_f32_f16_e32 v6, v7
	v_cvt_f32_f16_e32 v5, v5
	v_cvt_f32_f16_e32 v7, v11
	global_store_dwordx4 v[8:9], v[0:3], off
	global_store_dwordx4 v[8:9], v[4:7], off offset:128
	s_endpgm
	.section	.rodata,"a",@progbits
	.p2align	6, 0x0
	.amdhsa_kernel _ZL21dequantize_block_q4_KIfEvPKvPT_
		.amdhsa_group_segment_fixed_size 0
		.amdhsa_private_segment_fixed_size 0
		.amdhsa_kernarg_size 16
		.amdhsa_user_sgpr_count 6
		.amdhsa_user_sgpr_private_segment_buffer 1
		.amdhsa_user_sgpr_dispatch_ptr 0
		.amdhsa_user_sgpr_queue_ptr 0
		.amdhsa_user_sgpr_kernarg_segment_ptr 1
		.amdhsa_user_sgpr_dispatch_id 0
		.amdhsa_user_sgpr_flat_scratch_init 0
		.amdhsa_user_sgpr_private_segment_size 0
		.amdhsa_wavefront_size32 1
		.amdhsa_uses_dynamic_stack 0
		.amdhsa_system_sgpr_private_segment_wavefront_offset 0
		.amdhsa_system_sgpr_workgroup_id_x 1
		.amdhsa_system_sgpr_workgroup_id_y 0
		.amdhsa_system_sgpr_workgroup_id_z 0
		.amdhsa_system_sgpr_workgroup_info 0
		.amdhsa_system_vgpr_workitem_id 0
		.amdhsa_next_free_vgpr 15
		.amdhsa_next_free_sgpr 7
		.amdhsa_reserve_vcc 1
		.amdhsa_reserve_flat_scratch 0
		.amdhsa_float_round_mode_32 0
		.amdhsa_float_round_mode_16_64 0
		.amdhsa_float_denorm_mode_32 3
		.amdhsa_float_denorm_mode_16_64 3
		.amdhsa_dx10_clamp 1
		.amdhsa_ieee_mode 1
		.amdhsa_fp16_overflow 0
		.amdhsa_workgroup_processor_mode 1
		.amdhsa_memory_ordered 1
		.amdhsa_forward_progress 1
		.amdhsa_shared_vgpr_count 0
		.amdhsa_exception_fp_ieee_invalid_op 0
		.amdhsa_exception_fp_denorm_src 0
		.amdhsa_exception_fp_ieee_div_zero 0
		.amdhsa_exception_fp_ieee_overflow 0
		.amdhsa_exception_fp_ieee_underflow 0
		.amdhsa_exception_fp_ieee_inexact 0
		.amdhsa_exception_int_div_zero 0
	.end_amdhsa_kernel
	.section	.text._ZL21dequantize_block_q4_KIfEvPKvPT_,"axG",@progbits,_ZL21dequantize_block_q4_KIfEvPKvPT_,comdat
.Lfunc_end7:
	.size	_ZL21dequantize_block_q4_KIfEvPKvPT_, .Lfunc_end7-_ZL21dequantize_block_q4_KIfEvPKvPT_
                                        ; -- End function
	.set _ZL21dequantize_block_q4_KIfEvPKvPT_.num_vgpr, 15
	.set _ZL21dequantize_block_q4_KIfEvPKvPT_.num_agpr, 0
	.set _ZL21dequantize_block_q4_KIfEvPKvPT_.numbered_sgpr, 7
	.set _ZL21dequantize_block_q4_KIfEvPKvPT_.num_named_barrier, 0
	.set _ZL21dequantize_block_q4_KIfEvPKvPT_.private_seg_size, 0
	.set _ZL21dequantize_block_q4_KIfEvPKvPT_.uses_vcc, 1
	.set _ZL21dequantize_block_q4_KIfEvPKvPT_.uses_flat_scratch, 0
	.set _ZL21dequantize_block_q4_KIfEvPKvPT_.has_dyn_sized_stack, 0
	.set _ZL21dequantize_block_q4_KIfEvPKvPT_.has_recursion, 0
	.set _ZL21dequantize_block_q4_KIfEvPKvPT_.has_indirect_call, 0
	.section	.AMDGPU.csdata,"",@progbits
; Kernel info:
; codeLenInByte = 760
; TotalNumSgprs: 9
; NumVgprs: 15
; ScratchSize: 0
; MemoryBound: 0
; FloatMode: 240
; IeeeMode: 1
; LDSByteSize: 0 bytes/workgroup (compile time only)
; SGPRBlocks: 0
; VGPRBlocks: 1
; NumSGPRsForWavesPerEU: 9
; NumVGPRsForWavesPerEU: 15
; Occupancy: 16
; WaveLimiterHint : 1
; COMPUTE_PGM_RSRC2:SCRATCH_EN: 0
; COMPUTE_PGM_RSRC2:USER_SGPR: 6
; COMPUTE_PGM_RSRC2:TRAP_HANDLER: 0
; COMPUTE_PGM_RSRC2:TGID_X_EN: 1
; COMPUTE_PGM_RSRC2:TGID_Y_EN: 0
; COMPUTE_PGM_RSRC2:TGID_Z_EN: 0
; COMPUTE_PGM_RSRC2:TIDIG_COMP_CNT: 0
	.section	.text._ZL21dequantize_block_q5_KIfEvPKvPT_,"axG",@progbits,_ZL21dequantize_block_q5_KIfEvPKvPT_,comdat
	.globl	_ZL21dequantize_block_q5_KIfEvPKvPT_ ; -- Begin function _ZL21dequantize_block_q5_KIfEvPKvPT_
	.p2align	8
	.type	_ZL21dequantize_block_q5_KIfEvPKvPT_,@function
_ZL21dequantize_block_q5_KIfEvPKvPT_:   ; @_ZL21dequantize_block_q5_KIfEvPKvPT_
; %bb.0:
	s_load_dwordx2 s[0:1], s[4:5], 0x0
	v_lshrrev_b32_e32 v4, 4, v0
	s_mul_i32 s3, s6, 0xb0
	s_mul_hi_u32 s2, s6, 0xb0
	v_cmp_lt_u32_e32 vcc_lo, 31, v0
                                        ; implicit-def: $vgpr6
                                        ; implicit-def: $vgpr5
	v_lshlrev_b32_e32 v3, 1, v4
	s_waitcnt lgkmcnt(0)
	s_add_u32 s0, s0, s3
	s_addc_u32 s1, s1, s2
	v_add_co_u32 v1, s2, s0, v3
	v_add_co_ci_u32_e64 v2, null, s1, 0, s2
	s_and_saveexec_b32 s2, vcc_lo
	s_xor_b32 s2, exec_lo, s2
	s_cbranch_execz .LBB8_2
; %bb.1:
	s_clause 0x2
	global_load_ubyte v5, v[1:2], off
	global_load_ubyte v6, v[1:2], off offset:4
	global_load_ubyte v7, v[1:2], off offset:8
	s_waitcnt vmcnt(2)
	v_lshrrev_b16 v5, 2, v5
	s_waitcnt vmcnt(1)
	v_lshrrev_b16 v6, 2, v6
	s_waitcnt vmcnt(0)
	v_and_b32_e32 v8, 15, v7
	v_lshrrev_b16 v7, 4, v7
	v_and_b32_e32 v5, 48, v5
	v_and_b32_e32 v6, 48, v6
	v_or_b32_e32 v5, v5, v8
	v_or_b32_e32 v6, v6, v7
.LBB8_2:
	s_andn2_saveexec_b32 s2, s2
	s_cbranch_execz .LBB8_4
; %bb.3:
	s_clause 0x1
	global_load_ubyte v5, v[1:2], off offset:4
	global_load_ubyte v6, v[1:2], off offset:8
	s_waitcnt vmcnt(1)
	v_and_b32_e32 v5, 63, v5
	s_waitcnt vmcnt(0)
	v_and_b32_e32 v6, 63, v6
.LBB8_4:
	s_or_b32 exec_lo, exec_lo, s2
	s_load_dwordx2 s[2:3], s[4:5], 0x8
	s_load_dword s4, s[0:1], 0x0
                                        ; implicit-def: $vgpr8
                                        ; implicit-def: $vgpr7
	s_and_saveexec_b32 s5, vcc_lo
	s_xor_b32 s5, exec_lo, s5
	s_cbranch_execz .LBB8_6
; %bb.5:
	s_clause 0x2
	global_load_ubyte v7, v[1:2], off offset:1
	global_load_ubyte v8, v[1:2], off offset:5
	;; [unrolled: 1-line block ×3, first 2 shown]
	s_waitcnt vmcnt(2)
	v_lshrrev_b16 v2, 2, v7
	s_waitcnt vmcnt(1)
	v_lshrrev_b16 v7, 2, v8
	s_waitcnt vmcnt(0)
	v_and_b32_e32 v8, 15, v1
	v_lshrrev_b16 v1, 4, v1
	v_and_b32_e32 v2, 48, v2
	v_and_b32_e32 v9, 48, v7
	v_or_b32_e32 v7, v2, v8
	v_or_b32_e32 v8, v9, v1
                                        ; implicit-def: $vgpr1_vgpr2
.LBB8_6:
	s_andn2_saveexec_b32 s5, s5
	s_cbranch_execz .LBB8_8
; %bb.7:
	s_clause 0x1
	global_load_ubyte v7, v[1:2], off offset:5
	global_load_ubyte v1, v[1:2], off offset:9
	s_waitcnt vmcnt(1)
	v_and_b32_e32 v7, 63, v7
	s_waitcnt vmcnt(0)
	v_and_b32_e32 v8, 63, v1
.LBB8_8:
	s_or_b32 exec_lo, exec_lo, s5
	v_lshlrev_b32_e32 v0, 1, v0
	v_lshlrev_b32_e32 v1, 5, v4
	v_lshlrev_b32_e64 v9, v3, 1
	v_mov_b32_e32 v11, 0xffff
	v_lshlrev_b32_e64 v3, v3, 2
	v_and_b32_e32 v2, 30, v0
	v_add_co_u32 v0, s5, s0, v1
	v_add_co_ci_u32_e64 v1, null, s1, 0, s5
	v_mov_b32_e32 v10, 15
	v_add_co_u32 v0, vcc_lo, v0, v2
	v_add_co_ci_u32_e64 v1, null, 0, v1, vcc_lo
	v_cvt_f16_u16_sdwa v8, v8 dst_sel:DWORD dst_unused:UNUSED_PAD src0_sel:BYTE_0
	s_waitcnt lgkmcnt(0)
	s_lshr_b32 s5, s4, 16
	s_clause 0x1
	global_load_ushort v0, v[0:1], off offset:48
	global_load_ushort v1, v2, s[0:1] offset:16
	v_cvt_f16_u16_sdwa v6, v6 dst_sel:DWORD dst_unused:UNUSED_PAD src0_sel:BYTE_0
	v_cvt_f16_u16_sdwa v5, v5 dst_sel:DWORD dst_unused:UNUSED_PAD src0_sel:BYTE_0
	;; [unrolled: 1-line block ×3, first 2 shown]
	s_mov_b32 s1, 0
	s_lshl_b32 s0, s6, 8
	v_lshlrev_b32_e32 v4, 8, v4
	s_lshl_b64 s[0:1], s[0:1], 2
	v_mul_f16_e32 v6, s5, v6
	v_mul_f16_e32 v5, s4, v5
	s_add_u32 s0, s2, s0
	v_mul_f16_e32 v7, s4, v7
	s_addc_u32 s1, s3, s1
	v_add_co_u32 v4, s0, s0, v4
	v_lshlrev_b32_e32 v2, 2, v2
	s_waitcnt vmcnt(1)
	v_lshrrev_b16 v14, 4, v0
	s_waitcnt vmcnt(0)
	v_and_b32_sdwa v13, v9, v1 dst_sel:DWORD dst_unused:UNUSED_PAD src0_sel:DWORD src1_sel:BYTE_0
	v_and_b32_sdwa v11, v11, v1 dst_sel:DWORD dst_unused:UNUSED_PAD src0_sel:DWORD src1_sel:BYTE_1
	v_and_b32_sdwa v1, v3, v1 dst_sel:DWORD dst_unused:UNUSED_PAD src0_sel:DWORD src1_sel:BYTE_0
	v_and_b32_e32 v12, 15, v0
	v_and_b32_sdwa v10, v0, v10 dst_sel:DWORD dst_unused:UNUSED_PAD src0_sel:BYTE_1 src1_sel:DWORD
	v_cmp_eq_u32_e32 vcc_lo, 0, v13
	v_and_b32_e32 v9, v9, v11
	v_and_b32_e32 v3, v3, v11
	v_lshrrev_b16 v0, 12, v0
	v_and_b32_e32 v14, 15, v14
	v_cndmask_b32_e64 v13, 16, 0, vcc_lo
	v_cmp_eq_u32_e32 vcc_lo, 0, v1
	v_or_b32_e32 v11, v13, v12
	v_cndmask_b32_e64 v1, 16, 0, vcc_lo
	v_cmp_eq_u32_e32 vcc_lo, 0, v9
	v_or_b32_e32 v1, v1, v14
	v_cndmask_b32_e64 v9, 16, 0, vcc_lo
	v_cmp_eq_u32_e32 vcc_lo, 0, v3
	v_cvt_f32_ubyte0_e32 v1, v1
	v_or_b32_e32 v9, v9, v10
	v_cndmask_b32_e64 v3, 16, 0, vcc_lo
	v_add_co_ci_u32_e64 v10, null, s1, 0, s0
	v_cvt_f16_f32_e32 v1, v1
	v_cvt_f32_ubyte0_e32 v9, v9
	v_or_b32_e32 v0, v3, v0
	v_mul_f16_e32 v3, s5, v8
	v_cvt_f32_ubyte0_e32 v8, v11
	v_cvt_f16_f32_e32 v9, v9
	v_cvt_f32_ubyte0_e32 v0, v0
	v_fma_f16 v11, v7, v1, -v3
	v_cvt_f16_f32_e32 v8, v8
	v_cvt_f16_f32_e32 v0, v0
	v_fma_f16 v8, v5, v8, -v6
	v_fma_f16 v5, v5, v9, -v6
	;; [unrolled: 1-line block ×3, first 2 shown]
	v_add_co_u32 v0, vcc_lo, v4, v2
	v_add_co_ci_u32_e64 v1, null, 0, v10, vcc_lo
	v_cvt_f32_f16_e32 v2, v8
	v_cvt_f32_f16_e32 v3, v5
	;; [unrolled: 1-line block ×4, first 2 shown]
	global_store_dwordx2 v[0:1], v[2:3], off
	global_store_dwordx2 v[0:1], v[4:5], off offset:128
	s_endpgm
	.section	.rodata,"a",@progbits
	.p2align	6, 0x0
	.amdhsa_kernel _ZL21dequantize_block_q5_KIfEvPKvPT_
		.amdhsa_group_segment_fixed_size 0
		.amdhsa_private_segment_fixed_size 0
		.amdhsa_kernarg_size 16
		.amdhsa_user_sgpr_count 6
		.amdhsa_user_sgpr_private_segment_buffer 1
		.amdhsa_user_sgpr_dispatch_ptr 0
		.amdhsa_user_sgpr_queue_ptr 0
		.amdhsa_user_sgpr_kernarg_segment_ptr 1
		.amdhsa_user_sgpr_dispatch_id 0
		.amdhsa_user_sgpr_flat_scratch_init 0
		.amdhsa_user_sgpr_private_segment_size 0
		.amdhsa_wavefront_size32 1
		.amdhsa_uses_dynamic_stack 0
		.amdhsa_system_sgpr_private_segment_wavefront_offset 0
		.amdhsa_system_sgpr_workgroup_id_x 1
		.amdhsa_system_sgpr_workgroup_id_y 0
		.amdhsa_system_sgpr_workgroup_id_z 0
		.amdhsa_system_sgpr_workgroup_info 0
		.amdhsa_system_vgpr_workitem_id 0
		.amdhsa_next_free_vgpr 15
		.amdhsa_next_free_sgpr 7
		.amdhsa_reserve_vcc 1
		.amdhsa_reserve_flat_scratch 0
		.amdhsa_float_round_mode_32 0
		.amdhsa_float_round_mode_16_64 0
		.amdhsa_float_denorm_mode_32 3
		.amdhsa_float_denorm_mode_16_64 3
		.amdhsa_dx10_clamp 1
		.amdhsa_ieee_mode 1
		.amdhsa_fp16_overflow 0
		.amdhsa_workgroup_processor_mode 1
		.amdhsa_memory_ordered 1
		.amdhsa_forward_progress 1
		.amdhsa_shared_vgpr_count 0
		.amdhsa_exception_fp_ieee_invalid_op 0
		.amdhsa_exception_fp_denorm_src 0
		.amdhsa_exception_fp_ieee_div_zero 0
		.amdhsa_exception_fp_ieee_overflow 0
		.amdhsa_exception_fp_ieee_underflow 0
		.amdhsa_exception_fp_ieee_inexact 0
		.amdhsa_exception_int_div_zero 0
	.end_amdhsa_kernel
	.section	.text._ZL21dequantize_block_q5_KIfEvPKvPT_,"axG",@progbits,_ZL21dequantize_block_q5_KIfEvPKvPT_,comdat
.Lfunc_end8:
	.size	_ZL21dequantize_block_q5_KIfEvPKvPT_, .Lfunc_end8-_ZL21dequantize_block_q5_KIfEvPKvPT_
                                        ; -- End function
	.set _ZL21dequantize_block_q5_KIfEvPKvPT_.num_vgpr, 15
	.set _ZL21dequantize_block_q5_KIfEvPKvPT_.num_agpr, 0
	.set _ZL21dequantize_block_q5_KIfEvPKvPT_.numbered_sgpr, 7
	.set _ZL21dequantize_block_q5_KIfEvPKvPT_.num_named_barrier, 0
	.set _ZL21dequantize_block_q5_KIfEvPKvPT_.private_seg_size, 0
	.set _ZL21dequantize_block_q5_KIfEvPKvPT_.uses_vcc, 1
	.set _ZL21dequantize_block_q5_KIfEvPKvPT_.uses_flat_scratch, 0
	.set _ZL21dequantize_block_q5_KIfEvPKvPT_.has_dyn_sized_stack, 0
	.set _ZL21dequantize_block_q5_KIfEvPKvPT_.has_recursion, 0
	.set _ZL21dequantize_block_q5_KIfEvPKvPT_.has_indirect_call, 0
	.section	.AMDGPU.csdata,"",@progbits
; Kernel info:
; codeLenInByte = 812
; TotalNumSgprs: 9
; NumVgprs: 15
; ScratchSize: 0
; MemoryBound: 0
; FloatMode: 240
; IeeeMode: 1
; LDSByteSize: 0 bytes/workgroup (compile time only)
; SGPRBlocks: 0
; VGPRBlocks: 1
; NumSGPRsForWavesPerEU: 9
; NumVGPRsForWavesPerEU: 15
; Occupancy: 16
; WaveLimiterHint : 1
; COMPUTE_PGM_RSRC2:SCRATCH_EN: 0
; COMPUTE_PGM_RSRC2:USER_SGPR: 6
; COMPUTE_PGM_RSRC2:TRAP_HANDLER: 0
; COMPUTE_PGM_RSRC2:TGID_X_EN: 1
; COMPUTE_PGM_RSRC2:TGID_Y_EN: 0
; COMPUTE_PGM_RSRC2:TGID_Z_EN: 0
; COMPUTE_PGM_RSRC2:TIDIG_COMP_CNT: 0
	.section	.text._ZL21dequantize_block_q6_KIfEvPKvPT_,"axG",@progbits,_ZL21dequantize_block_q6_KIfEvPKvPT_,comdat
	.globl	_ZL21dequantize_block_q6_KIfEvPKvPT_ ; -- Begin function _ZL21dequantize_block_q6_KIfEvPKvPT_
	.p2align	8
	.type	_ZL21dequantize_block_q6_KIfEvPKvPT_,@function
_ZL21dequantize_block_q6_KIfEvPKvPT_:   ; @_ZL21dequantize_block_q6_KIfEvPKvPT_
; %bb.0:
	s_load_dwordx4 s[0:3], s[4:5], 0x0
	v_lshrrev_b32_e32 v3, 5, v0
	s_mov_b32 s5, 0
	s_lshl_b32 s4, s6, 8
	s_mul_hi_u32 s7, s6, 0xd2
	s_lshl_b64 s[4:5], s[4:5], 2
	v_lshlrev_b32_e32 v1, 6, v3
	s_mulk_i32 s6, 0xd2
	v_and_b32_e32 v4, 31, v0
	v_mov_b32_e32 v9, 0
	v_mov_b32_e32 v15, 32
	s_waitcnt lgkmcnt(0)
	s_add_u32 s2, s2, s4
	s_addc_u32 s3, s3, s5
	s_add_u32 s0, s0, s6
	s_addc_u32 s1, s1, s7
	v_add_co_u32 v1, s4, s0, v1
	v_add_co_ci_u32_e64 v2, null, s1, 0, s4
	global_load_ubyte v5, v0, s[0:1] offset:128
	v_add_co_u32 v1, vcc_lo, v1, v4
	v_add_co_ci_u32_e64 v2, null, 0, v2, vcc_lo
	v_bfe_u32 v0, v0, 4, 1
	v_lshlrev_b32_e32 v4, 2, v4
	s_clause 0x1
	global_load_ubyte v6, v[1:2], off
	global_load_ubyte v1, v[1:2], off offset:32
	v_lshl_or_b32 v0, v3, 3, v0
	s_clause 0x4
	global_load_sbyte v2, v0, s[0:1] offset:192
	global_load_sbyte v7, v0, s[0:1] offset:194
	;; [unrolled: 1-line block ×4, first 2 shown]
	global_load_ushort v9, v9, s[0:1] offset:208
	s_waitcnt vmcnt(7)
	v_lshlrev_b16 v10, 4, v5
	v_lshlrev_b16 v11, 2, v5
	v_lshrrev_b16 v12, 2, v5
	v_and_b32_e32 v5, 48, v5
	v_and_b32_e32 v10, 48, v10
	;; [unrolled: 1-line block ×3, first 2 shown]
	s_waitcnt vmcnt(6)
	v_and_b32_e32 v13, 15, v6
	s_waitcnt vmcnt(5)
	v_and_b32_e32 v14, 15, v1
	v_lshrrev_b16 v6, 4, v6
	v_and_b32_e32 v12, 48, v12
	v_lshrrev_b16 v1, 4, v1
	v_or_b32_e32 v10, v13, v10
	v_or_b32_e32 v11, v14, v11
	;; [unrolled: 1-line block ×4, first 2 shown]
	v_sub_nc_u32_sdwa v6, v10, v15 dst_sel:DWORD dst_unused:UNUSED_PAD src0_sel:WORD_0 src1_sel:DWORD
	v_sub_nc_u32_sdwa v10, v11, v15 dst_sel:DWORD dst_unused:UNUSED_PAD src0_sel:WORD_0 src1_sel:DWORD
	;; [unrolled: 1-line block ×4, first 2 shown]
	s_waitcnt vmcnt(4)
	v_mul_i32_i24_e32 v2, v6, v2
	s_waitcnt vmcnt(3)
	v_mul_i32_i24_e32 v6, v10, v7
	;; [unrolled: 2-line block ×4, first 2 shown]
	v_cvt_f32_i32_e32 v2, v2
	v_lshlrev_b32_e32 v1, 9, v3
	v_cvt_f32_i32_e32 v3, v6
	v_cvt_f32_i32_e32 v5, v5
	;; [unrolled: 1-line block ×3, first 2 shown]
	v_cvt_f16_f32_e32 v2, v2
	v_add_co_u32 v1, s0, s2, v1
	v_cvt_f16_f32_e32 v3, v3
	v_cvt_f16_f32_e32 v5, v5
	;; [unrolled: 1-line block ×3, first 2 shown]
	v_add_co_ci_u32_e64 v6, null, s3, 0, s0
	s_waitcnt vmcnt(0)
	v_mul_f16_e32 v2, v9, v2
	v_mul_f16_e32 v3, v9, v3
	;; [unrolled: 1-line block ×4, first 2 shown]
	v_add_co_u32 v0, vcc_lo, v1, v4
	v_add_co_ci_u32_e64 v1, null, 0, v6, vcc_lo
	v_cvt_f32_f16_e32 v2, v2
	v_cvt_f32_f16_e32 v3, v3
	;; [unrolled: 1-line block ×4, first 2 shown]
	global_store_dword v[0:1], v2, off
	global_store_dword v[0:1], v3, off offset:128
	global_store_dword v[0:1], v4, off offset:256
	;; [unrolled: 1-line block ×3, first 2 shown]
	s_endpgm
	.section	.rodata,"a",@progbits
	.p2align	6, 0x0
	.amdhsa_kernel _ZL21dequantize_block_q6_KIfEvPKvPT_
		.amdhsa_group_segment_fixed_size 0
		.amdhsa_private_segment_fixed_size 0
		.amdhsa_kernarg_size 16
		.amdhsa_user_sgpr_count 6
		.amdhsa_user_sgpr_private_segment_buffer 1
		.amdhsa_user_sgpr_dispatch_ptr 0
		.amdhsa_user_sgpr_queue_ptr 0
		.amdhsa_user_sgpr_kernarg_segment_ptr 1
		.amdhsa_user_sgpr_dispatch_id 0
		.amdhsa_user_sgpr_flat_scratch_init 0
		.amdhsa_user_sgpr_private_segment_size 0
		.amdhsa_wavefront_size32 1
		.amdhsa_uses_dynamic_stack 0
		.amdhsa_system_sgpr_private_segment_wavefront_offset 0
		.amdhsa_system_sgpr_workgroup_id_x 1
		.amdhsa_system_sgpr_workgroup_id_y 0
		.amdhsa_system_sgpr_workgroup_id_z 0
		.amdhsa_system_sgpr_workgroup_info 0
		.amdhsa_system_vgpr_workitem_id 0
		.amdhsa_next_free_vgpr 16
		.amdhsa_next_free_sgpr 8
		.amdhsa_reserve_vcc 1
		.amdhsa_reserve_flat_scratch 0
		.amdhsa_float_round_mode_32 0
		.amdhsa_float_round_mode_16_64 0
		.amdhsa_float_denorm_mode_32 3
		.amdhsa_float_denorm_mode_16_64 3
		.amdhsa_dx10_clamp 1
		.amdhsa_ieee_mode 1
		.amdhsa_fp16_overflow 0
		.amdhsa_workgroup_processor_mode 1
		.amdhsa_memory_ordered 1
		.amdhsa_forward_progress 1
		.amdhsa_shared_vgpr_count 0
		.amdhsa_exception_fp_ieee_invalid_op 0
		.amdhsa_exception_fp_denorm_src 0
		.amdhsa_exception_fp_ieee_div_zero 0
		.amdhsa_exception_fp_ieee_overflow 0
		.amdhsa_exception_fp_ieee_underflow 0
		.amdhsa_exception_fp_ieee_inexact 0
		.amdhsa_exception_int_div_zero 0
	.end_amdhsa_kernel
	.section	.text._ZL21dequantize_block_q6_KIfEvPKvPT_,"axG",@progbits,_ZL21dequantize_block_q6_KIfEvPKvPT_,comdat
.Lfunc_end9:
	.size	_ZL21dequantize_block_q6_KIfEvPKvPT_, .Lfunc_end9-_ZL21dequantize_block_q6_KIfEvPKvPT_
                                        ; -- End function
	.set _ZL21dequantize_block_q6_KIfEvPKvPT_.num_vgpr, 16
	.set _ZL21dequantize_block_q6_KIfEvPKvPT_.num_agpr, 0
	.set _ZL21dequantize_block_q6_KIfEvPKvPT_.numbered_sgpr, 8
	.set _ZL21dequantize_block_q6_KIfEvPKvPT_.num_named_barrier, 0
	.set _ZL21dequantize_block_q6_KIfEvPKvPT_.private_seg_size, 0
	.set _ZL21dequantize_block_q6_KIfEvPKvPT_.uses_vcc, 1
	.set _ZL21dequantize_block_q6_KIfEvPKvPT_.uses_flat_scratch, 0
	.set _ZL21dequantize_block_q6_KIfEvPKvPT_.has_dyn_sized_stack, 0
	.set _ZL21dequantize_block_q6_KIfEvPKvPT_.has_recursion, 0
	.set _ZL21dequantize_block_q6_KIfEvPKvPT_.has_indirect_call, 0
	.section	.AMDGPU.csdata,"",@progbits
; Kernel info:
; codeLenInByte = 492
; TotalNumSgprs: 10
; NumVgprs: 16
; ScratchSize: 0
; MemoryBound: 0
; FloatMode: 240
; IeeeMode: 1
; LDSByteSize: 0 bytes/workgroup (compile time only)
; SGPRBlocks: 0
; VGPRBlocks: 1
; NumSGPRsForWavesPerEU: 10
; NumVGPRsForWavesPerEU: 16
; Occupancy: 16
; WaveLimiterHint : 0
; COMPUTE_PGM_RSRC2:SCRATCH_EN: 0
; COMPUTE_PGM_RSRC2:USER_SGPR: 6
; COMPUTE_PGM_RSRC2:TRAP_HANDLER: 0
; COMPUTE_PGM_RSRC2:TGID_X_EN: 1
; COMPUTE_PGM_RSRC2:TGID_Y_EN: 0
; COMPUTE_PGM_RSRC2:TGID_Z_EN: 0
; COMPUTE_PGM_RSRC2:TIDIG_COMP_CNT: 0
	.section	.text._ZL24dequantize_block_iq2_xxsIfEvPKvPT_,"axG",@progbits,_ZL24dequantize_block_iq2_xxsIfEvPKvPT_,comdat
	.globl	_ZL24dequantize_block_iq2_xxsIfEvPKvPT_ ; -- Begin function _ZL24dequantize_block_iq2_xxsIfEvPKvPT_
	.p2align	8
	.type	_ZL24dequantize_block_iq2_xxsIfEvPKvPT_,@function
_ZL24dequantize_block_iq2_xxsIfEvPKvPT_: ; @_ZL24dequantize_block_iq2_xxsIfEvPKvPT_
; %bb.0:
	s_load_dwordx4 s[0:3], s[4:5], 0x0
	v_and_b32_e32 v3, 7, v0
	s_mov_b32 s5, 0
	s_lshl_b32 s4, s6, 8
	s_mul_hi_u32 s7, s6, 0x42
	s_lshl_b64 s[4:5], s[4:5], 2
	v_lshlrev_b32_e32 v5, 3, v3
	s_mulk_i32 s6, 0x42
	v_lshrrev_b32_e32 v4, 3, v0
	v_mov_b32_e32 v6, 0
	v_and_b32_e32 v0, 0x3f8, v0
	v_lshlrev_b32_e32 v3, 7, v3
	v_lshlrev_b32_e32 v0, 2, v0
	s_waitcnt lgkmcnt(0)
	s_add_u32 s4, s2, s4
	s_addc_u32 s5, s3, s5
	s_add_u32 s0, s0, s6
	s_addc_u32 s1, s1, s7
	v_add_co_u32 v1, s2, s0, v5
	v_add_co_ci_u32_e64 v2, null, s1, 0, s2
	v_add_co_u32 v1, vcc_lo, v1, v4
	v_add_co_ci_u32_e64 v2, null, 0, v2, vcc_lo
	s_clause 0x2
	global_load_ubyte v1, v[1:2], off offset:2
	global_load_ushort v6, v6, s[0:1]
	global_load_dword v5, v5, s[0:1] offset:6
	v_mul_u32_u24_e32 v2, 7, v4
	s_getpc_b64 s[0:1]
	s_add_u32 s0, s0, _ZL11iq2xxs_grid@rel32@lo+4
	s_addc_u32 s1, s1, _ZL11iq2xxs_grid@rel32@hi+12
	s_getpc_b64 s[2:3]
	s_add_u32 s2, s2, _ZL12ksigns_iq2xs@rel32@lo+4
	s_addc_u32 s3, s3, _ZL12ksigns_iq2xs@rel32@hi+12
	s_waitcnt vmcnt(2)
	v_lshlrev_b32_e32 v1, 3, v1
	s_waitcnt vmcnt(0)
	v_bfe_u32 v7, v5, v2, 7
	v_lshrrev_b32_e32 v4, 28, v5
	v_cvt_f32_f16_e32 v5, v6
	global_load_dwordx2 v[1:2], v1, s[0:1]
	global_load_sbyte v10, v7, s[2:3]
	v_add_co_u32 v3, s0, s4, v3
	v_cvt_f32_ubyte0_e32 v4, v4
	v_add_co_ci_u32_e64 v6, null, s5, 0, s0
	v_add_co_u32 v8, vcc_lo, v3, v0
	v_add_f32_e32 v4, 0.5, v4
	v_add_co_ci_u32_e64 v9, null, 0, v6, vcc_lo
	v_mul_f32_e32 v4, v4, v5
	v_mul_f32_e32 v0, 0x3e800000, v4
	s_waitcnt vmcnt(1)
	v_cvt_f32_ubyte0_e32 v3, v1
	s_waitcnt vmcnt(0)
	v_and_b32_e32 v4, 1, v10
	v_cvt_f32_ubyte1_e32 v5, v1
	v_and_b32_e32 v6, 2, v10
	v_cvt_f32_ubyte2_e32 v11, v1
	v_cvt_f32_ubyte3_e32 v1, v1
	v_cvt_f32_ubyte0_e32 v14, v2
	v_cvt_f32_ubyte1_e32 v16, v2
	v_cvt_f32_ubyte2_e32 v18, v2
	v_cvt_f32_ubyte3_e32 v2, v2
	v_mul_f32_e32 v3, v0, v3
	v_cmp_eq_u16_e32 vcc_lo, 0, v4
	v_and_b32_e32 v12, 4, v10
	v_mul_f32_e32 v5, v0, v5
	v_mul_f32_e32 v11, v0, v11
	v_mul_f32_e32 v19, v0, v1
	v_mul_f32_e32 v14, v0, v14
	v_mul_f32_e32 v16, v0, v16
	v_mul_f32_e32 v18, v0, v18
	v_mul_f32_e32 v20, v0, v2
	v_cndmask_b32_e64 v0, -v3, v3, vcc_lo
	v_cmp_eq_u16_e32 vcc_lo, 0, v6
	v_and_b32_e32 v13, 8, v10
	v_and_b32_e32 v15, 16, v10
	;; [unrolled: 1-line block ×3, first 2 shown]
	v_cndmask_b32_e64 v1, -v5, v5, vcc_lo
	v_cmp_eq_u16_e32 vcc_lo, 0, v12
	v_cndmask_b32_e64 v2, -v11, v11, vcc_lo
	v_cmp_eq_u16_e32 vcc_lo, 0, v13
	;; [unrolled: 2-line block ×4, first 2 shown]
	v_cndmask_b32_e64 v5, -v16, v16, vcc_lo
	v_cmp_gt_u32_e32 vcc_lo, 64, v7
	v_cndmask_b32_e64 v6, -v18, v18, vcc_lo
	v_cmp_gt_i16_e32 vcc_lo, 0, v10
	v_cndmask_b32_e64 v7, v20, -v20, vcc_lo
	global_store_dwordx4 v[8:9], v[0:3], off
	global_store_dwordx4 v[8:9], v[4:7], off offset:16
	s_endpgm
	.section	.rodata,"a",@progbits
	.p2align	6, 0x0
	.amdhsa_kernel _ZL24dequantize_block_iq2_xxsIfEvPKvPT_
		.amdhsa_group_segment_fixed_size 0
		.amdhsa_private_segment_fixed_size 0
		.amdhsa_kernarg_size 16
		.amdhsa_user_sgpr_count 6
		.amdhsa_user_sgpr_private_segment_buffer 1
		.amdhsa_user_sgpr_dispatch_ptr 0
		.amdhsa_user_sgpr_queue_ptr 0
		.amdhsa_user_sgpr_kernarg_segment_ptr 1
		.amdhsa_user_sgpr_dispatch_id 0
		.amdhsa_user_sgpr_flat_scratch_init 0
		.amdhsa_user_sgpr_private_segment_size 0
		.amdhsa_wavefront_size32 1
		.amdhsa_uses_dynamic_stack 0
		.amdhsa_system_sgpr_private_segment_wavefront_offset 0
		.amdhsa_system_sgpr_workgroup_id_x 1
		.amdhsa_system_sgpr_workgroup_id_y 0
		.amdhsa_system_sgpr_workgroup_id_z 0
		.amdhsa_system_sgpr_workgroup_info 0
		.amdhsa_system_vgpr_workitem_id 0
		.amdhsa_next_free_vgpr 21
		.amdhsa_next_free_sgpr 8
		.amdhsa_reserve_vcc 1
		.amdhsa_reserve_flat_scratch 0
		.amdhsa_float_round_mode_32 0
		.amdhsa_float_round_mode_16_64 0
		.amdhsa_float_denorm_mode_32 3
		.amdhsa_float_denorm_mode_16_64 3
		.amdhsa_dx10_clamp 1
		.amdhsa_ieee_mode 1
		.amdhsa_fp16_overflow 0
		.amdhsa_workgroup_processor_mode 1
		.amdhsa_memory_ordered 1
		.amdhsa_forward_progress 1
		.amdhsa_shared_vgpr_count 0
		.amdhsa_exception_fp_ieee_invalid_op 0
		.amdhsa_exception_fp_denorm_src 0
		.amdhsa_exception_fp_ieee_div_zero 0
		.amdhsa_exception_fp_ieee_overflow 0
		.amdhsa_exception_fp_ieee_underflow 0
		.amdhsa_exception_fp_ieee_inexact 0
		.amdhsa_exception_int_div_zero 0
	.end_amdhsa_kernel
	.section	.text._ZL24dequantize_block_iq2_xxsIfEvPKvPT_,"axG",@progbits,_ZL24dequantize_block_iq2_xxsIfEvPKvPT_,comdat
.Lfunc_end10:
	.size	_ZL24dequantize_block_iq2_xxsIfEvPKvPT_, .Lfunc_end10-_ZL24dequantize_block_iq2_xxsIfEvPKvPT_
                                        ; -- End function
	.set _ZL24dequantize_block_iq2_xxsIfEvPKvPT_.num_vgpr, 21
	.set _ZL24dequantize_block_iq2_xxsIfEvPKvPT_.num_agpr, 0
	.set _ZL24dequantize_block_iq2_xxsIfEvPKvPT_.numbered_sgpr, 8
	.set _ZL24dequantize_block_iq2_xxsIfEvPKvPT_.num_named_barrier, 0
	.set _ZL24dequantize_block_iq2_xxsIfEvPKvPT_.private_seg_size, 0
	.set _ZL24dequantize_block_iq2_xxsIfEvPKvPT_.uses_vcc, 1
	.set _ZL24dequantize_block_iq2_xxsIfEvPKvPT_.uses_flat_scratch, 0
	.set _ZL24dequantize_block_iq2_xxsIfEvPKvPT_.has_dyn_sized_stack, 0
	.set _ZL24dequantize_block_iq2_xxsIfEvPKvPT_.has_recursion, 0
	.set _ZL24dequantize_block_iq2_xxsIfEvPKvPT_.has_indirect_call, 0
	.section	.AMDGPU.csdata,"",@progbits
; Kernel info:
; codeLenInByte = 496
; TotalNumSgprs: 10
; NumVgprs: 21
; ScratchSize: 0
; MemoryBound: 0
; FloatMode: 240
; IeeeMode: 1
; LDSByteSize: 0 bytes/workgroup (compile time only)
; SGPRBlocks: 0
; VGPRBlocks: 2
; NumSGPRsForWavesPerEU: 10
; NumVGPRsForWavesPerEU: 21
; Occupancy: 16
; WaveLimiterHint : 0
; COMPUTE_PGM_RSRC2:SCRATCH_EN: 0
; COMPUTE_PGM_RSRC2:USER_SGPR: 6
; COMPUTE_PGM_RSRC2:TRAP_HANDLER: 0
; COMPUTE_PGM_RSRC2:TGID_X_EN: 1
; COMPUTE_PGM_RSRC2:TGID_Y_EN: 0
; COMPUTE_PGM_RSRC2:TGID_Z_EN: 0
; COMPUTE_PGM_RSRC2:TIDIG_COMP_CNT: 0
	.section	.text._ZL23dequantize_block_iq2_xsIfEvPKvPT_,"axG",@progbits,_ZL23dequantize_block_iq2_xsIfEvPKvPT_,comdat
	.globl	_ZL23dequantize_block_iq2_xsIfEvPKvPT_ ; -- Begin function _ZL23dequantize_block_iq2_xsIfEvPKvPT_
	.p2align	8
	.type	_ZL23dequantize_block_iq2_xsIfEvPKvPT_,@function
_ZL23dequantize_block_iq2_xsIfEvPKvPT_: ; @_ZL23dequantize_block_iq2_xsIfEvPKvPT_
; %bb.0:
	s_load_dwordx4 s[0:3], s[4:5], 0x0
	v_and_b32_e32 v5, 7, v0
	s_mov_b32 s5, 0
	s_lshl_b32 s4, s6, 8
	v_lshrrev_b32_e32 v6, 2, v0
	s_lshl_b64 s[4:5], s[4:5], 2
	v_lshlrev_b32_e32 v1, 3, v5
	s_mul_hi_u32 s7, s6, 0x4a
	s_mulk_i32 s6, 0x4a
	v_and_b32_e32 v2, 0xfe, v6
	v_and_b32_e32 v0, 0x3f8, v0
	v_lshlrev_b32_e32 v0, 2, v0
	s_waitcnt lgkmcnt(0)
	s_add_u32 s4, s2, s4
	s_addc_u32 s5, s3, s5
	s_add_u32 s0, s0, s6
	s_addc_u32 s1, s1, s7
	v_add_co_u32 v1, s2, s0, v1
	v_add_co_ci_u32_e64 v3, null, s1, 0, s2
	v_add_co_u32 v1, vcc_lo, v1, v2
	v_add_co_ci_u32_e64 v2, null, 0, v3, vcc_lo
	global_load_ushort v7, v[1:2], off offset:2
	v_mov_b32_e32 v1, 0
	s_clause 0x1
	global_load_ushort v8, v1, s[0:1]
	global_load_ubyte v9, v5, s[0:1] offset:66
	v_mov_b32_e32 v1, 3
	s_getpc_b64 s[0:1]
	s_add_u32 s0, s0, _ZL10iq2xs_grid@rel32@lo+4
	s_addc_u32 s1, s1, _ZL10iq2xs_grid@rel32@hi+12
	s_getpc_b64 s[2:3]
	s_add_u32 s2, s2, _ZL12ksigns_iq2xs@rel32@lo+4
	s_addc_u32 s3, s3, _ZL12ksigns_iq2xs@rel32@hi+12
	s_waitcnt vmcnt(2)
	v_and_b32_e32 v2, 0x1ff, v7
	v_lshrrev_b16 v3, 9, v7
	v_lshlrev_b32_sdwa v1, v1, v2 dst_sel:DWORD dst_unused:UNUSED_PAD src0_sel:DWORD src1_sel:WORD_0
	v_and_b32_e32 v3, 0xffff, v3
	global_load_dwordx2 v[1:2], v1, s[0:1]
	v_add_co_u32 v3, s0, s2, v3
	v_add_co_ci_u32_e64 v4, null, s3, 0, s0
	global_load_sbyte v10, v[3:4], off
	v_and_b32_e32 v3, 0xfc, v6
	v_lshlrev_b32_e32 v4, 7, v5
	s_waitcnt vmcnt(3)
	v_cvt_f32_f16_e32 v5, v8
	s_waitcnt vmcnt(2)
	v_bfe_u32 v3, v9, v3, 4
	v_add_co_u32 v4, s0, s4, v4
	v_add_co_ci_u32_e64 v6, null, s5, 0, s0
	v_cvt_f32_ubyte0_e32 v3, v3
	v_add_co_u32 v8, vcc_lo, v4, v0
	v_add_co_ci_u32_e64 v9, null, 0, v6, vcc_lo
	v_add_f32_e32 v3, 0.5, v3
	v_mul_f32_e32 v3, v3, v5
	v_mul_f32_e32 v0, 0x3e800000, v3
	s_waitcnt vmcnt(1)
	v_cvt_f32_ubyte0_e32 v3, v1
	v_cvt_f32_ubyte1_e32 v4, v1
	v_cvt_f32_ubyte2_e32 v5, v1
	v_cvt_f32_ubyte3_e32 v1, v1
	v_cvt_f32_ubyte0_e32 v6, v2
	v_cvt_f32_ubyte1_e32 v11, v2
	v_cvt_f32_ubyte2_e32 v12, v2
	v_cvt_f32_ubyte3_e32 v2, v2
	s_waitcnt vmcnt(0)
	v_and_b32_e32 v13, 1, v10
	v_mul_f32_e32 v3, v0, v3
	v_and_b32_e32 v14, 2, v10
	v_mul_f32_e32 v4, v0, v4
	v_mul_f32_e32 v5, v0, v5
	v_cmp_eq_u16_e32 vcc_lo, 0, v13
	v_and_b32_e32 v15, 4, v10
	v_mul_f32_e32 v16, v0, v1
	v_mul_f32_e32 v6, v0, v6
	;; [unrolled: 1-line block ×5, first 2 shown]
	v_cndmask_b32_e64 v0, -v3, v3, vcc_lo
	v_cmp_eq_u16_e32 vcc_lo, 0, v14
	v_and_b32_e32 v17, 8, v10
	v_and_b32_e32 v18, 16, v10
	;; [unrolled: 1-line block ×3, first 2 shown]
	v_cndmask_b32_e64 v1, -v4, v4, vcc_lo
	v_cmp_eq_u16_e32 vcc_lo, 0, v15
	v_cndmask_b32_e64 v2, -v5, v5, vcc_lo
	v_cmp_eq_u16_e32 vcc_lo, 0, v17
	v_cndmask_b32_e64 v3, -v16, v16, vcc_lo
	v_cmp_eq_u16_e32 vcc_lo, 0, v18
	v_cndmask_b32_e64 v4, -v6, v6, vcc_lo
	v_cmp_eq_u16_e32 vcc_lo, 0, v19
	v_cndmask_b32_e64 v5, -v11, v11, vcc_lo
	v_cmp_gt_i16_e32 vcc_lo, 0, v7
	v_cndmask_b32_e64 v6, v12, -v12, vcc_lo
	v_cmp_gt_i16_e32 vcc_lo, 0, v10
	v_cndmask_b32_e64 v7, v20, -v20, vcc_lo
	global_store_dwordx4 v[8:9], v[0:3], off
	global_store_dwordx4 v[8:9], v[4:7], off offset:16
	s_endpgm
	.section	.rodata,"a",@progbits
	.p2align	6, 0x0
	.amdhsa_kernel _ZL23dequantize_block_iq2_xsIfEvPKvPT_
		.amdhsa_group_segment_fixed_size 0
		.amdhsa_private_segment_fixed_size 0
		.amdhsa_kernarg_size 16
		.amdhsa_user_sgpr_count 6
		.amdhsa_user_sgpr_private_segment_buffer 1
		.amdhsa_user_sgpr_dispatch_ptr 0
		.amdhsa_user_sgpr_queue_ptr 0
		.amdhsa_user_sgpr_kernarg_segment_ptr 1
		.amdhsa_user_sgpr_dispatch_id 0
		.amdhsa_user_sgpr_flat_scratch_init 0
		.amdhsa_user_sgpr_private_segment_size 0
		.amdhsa_wavefront_size32 1
		.amdhsa_uses_dynamic_stack 0
		.amdhsa_system_sgpr_private_segment_wavefront_offset 0
		.amdhsa_system_sgpr_workgroup_id_x 1
		.amdhsa_system_sgpr_workgroup_id_y 0
		.amdhsa_system_sgpr_workgroup_id_z 0
		.amdhsa_system_sgpr_workgroup_info 0
		.amdhsa_system_vgpr_workitem_id 0
		.amdhsa_next_free_vgpr 21
		.amdhsa_next_free_sgpr 8
		.amdhsa_reserve_vcc 1
		.amdhsa_reserve_flat_scratch 0
		.amdhsa_float_round_mode_32 0
		.amdhsa_float_round_mode_16_64 0
		.amdhsa_float_denorm_mode_32 3
		.amdhsa_float_denorm_mode_16_64 3
		.amdhsa_dx10_clamp 1
		.amdhsa_ieee_mode 1
		.amdhsa_fp16_overflow 0
		.amdhsa_workgroup_processor_mode 1
		.amdhsa_memory_ordered 1
		.amdhsa_forward_progress 1
		.amdhsa_shared_vgpr_count 0
		.amdhsa_exception_fp_ieee_invalid_op 0
		.amdhsa_exception_fp_denorm_src 0
		.amdhsa_exception_fp_ieee_div_zero 0
		.amdhsa_exception_fp_ieee_overflow 0
		.amdhsa_exception_fp_ieee_underflow 0
		.amdhsa_exception_fp_ieee_inexact 0
		.amdhsa_exception_int_div_zero 0
	.end_amdhsa_kernel
	.section	.text._ZL23dequantize_block_iq2_xsIfEvPKvPT_,"axG",@progbits,_ZL23dequantize_block_iq2_xsIfEvPKvPT_,comdat
.Lfunc_end11:
	.size	_ZL23dequantize_block_iq2_xsIfEvPKvPT_, .Lfunc_end11-_ZL23dequantize_block_iq2_xsIfEvPKvPT_
                                        ; -- End function
	.set _ZL23dequantize_block_iq2_xsIfEvPKvPT_.num_vgpr, 21
	.set _ZL23dequantize_block_iq2_xsIfEvPKvPT_.num_agpr, 0
	.set _ZL23dequantize_block_iq2_xsIfEvPKvPT_.numbered_sgpr, 8
	.set _ZL23dequantize_block_iq2_xsIfEvPKvPT_.num_named_barrier, 0
	.set _ZL23dequantize_block_iq2_xsIfEvPKvPT_.private_seg_size, 0
	.set _ZL23dequantize_block_iq2_xsIfEvPKvPT_.uses_vcc, 1
	.set _ZL23dequantize_block_iq2_xsIfEvPKvPT_.uses_flat_scratch, 0
	.set _ZL23dequantize_block_iq2_xsIfEvPKvPT_.has_dyn_sized_stack, 0
	.set _ZL23dequantize_block_iq2_xsIfEvPKvPT_.has_recursion, 0
	.set _ZL23dequantize_block_iq2_xsIfEvPKvPT_.has_indirect_call, 0
	.section	.AMDGPU.csdata,"",@progbits
; Kernel info:
; codeLenInByte = 556
; TotalNumSgprs: 10
; NumVgprs: 21
; ScratchSize: 0
; MemoryBound: 0
; FloatMode: 240
; IeeeMode: 1
; LDSByteSize: 0 bytes/workgroup (compile time only)
; SGPRBlocks: 0
; VGPRBlocks: 2
; NumSGPRsForWavesPerEU: 10
; NumVGPRsForWavesPerEU: 21
; Occupancy: 16
; WaveLimiterHint : 0
; COMPUTE_PGM_RSRC2:SCRATCH_EN: 0
; COMPUTE_PGM_RSRC2:USER_SGPR: 6
; COMPUTE_PGM_RSRC2:TRAP_HANDLER: 0
; COMPUTE_PGM_RSRC2:TGID_X_EN: 1
; COMPUTE_PGM_RSRC2:TGID_Y_EN: 0
; COMPUTE_PGM_RSRC2:TGID_Z_EN: 0
; COMPUTE_PGM_RSRC2:TIDIG_COMP_CNT: 0
	.section	.text._ZL24dequantize_block_iq3_xxsIfEvPKvPT_,"axG",@progbits,_ZL24dequantize_block_iq3_xxsIfEvPKvPT_,comdat
	.globl	_ZL24dequantize_block_iq3_xxsIfEvPKvPT_ ; -- Begin function _ZL24dequantize_block_iq3_xxsIfEvPKvPT_
	.p2align	8
	.type	_ZL24dequantize_block_iq3_xxsIfEvPKvPT_,@function
_ZL24dequantize_block_iq3_xxsIfEvPKvPT_: ; @_ZL24dequantize_block_iq3_xxsIfEvPKvPT_
; %bb.0:
	s_load_dwordx4 s[0:3], s[4:5], 0x0
	v_and_b32_e32 v3, 7, v0
	s_mov_b32 s5, 0
	s_lshl_b32 s4, s6, 8
	v_lshrrev_b32_e32 v4, 3, v0
	s_lshl_b64 s[4:5], s[4:5], 2
	v_lshlrev_b32_e32 v1, 3, v3
	s_mul_hi_u32 s7, s6, 0x62
	s_mulk_i32 s6, 0x62
	v_lshlrev_b32_e32 v2, 1, v4
	v_lshlrev_b32_e32 v6, 2, v3
	v_mul_u32_u24_e32 v4, 7, v4
	v_mov_b32_e32 v7, 0xffff
	v_and_b32_e32 v0, 0x3f8, v0
	v_lshlrev_b32_e32 v3, 7, v3
	v_lshlrev_b32_e32 v0, 2, v0
	s_waitcnt lgkmcnt(0)
	s_add_u32 s4, s2, s4
	s_addc_u32 s5, s3, s5
	s_add_u32 s0, s0, s6
	s_addc_u32 s1, s1, s7
	v_add_co_u32 v1, s2, s0, v1
	v_add_co_ci_u32_e64 v5, null, s1, 0, s2
	v_add_co_u32 v1, vcc_lo, v1, v2
	v_add_co_ci_u32_e64 v2, null, 0, v5, vcc_lo
	v_mov_b32_e32 v5, 0
	s_clause 0x2
	global_load_ushort v1, v[1:2], off offset:2
	global_load_ushort v2, v5, s[0:1]
	global_load_dword v5, v6, s[0:1] offset:66
	v_mov_b32_e32 v6, 2
	s_getpc_b64 s[0:1]
	s_add_u32 s0, s0, _ZL11iq3xxs_grid@rel32@lo+4
	s_addc_u32 s1, s1, _ZL11iq3xxs_grid@rel32@hi+12
	s_getpc_b64 s[2:3]
	s_add_u32 s2, s2, _ZL12ksigns_iq2xs@rel32@lo+4
	s_addc_u32 s3, s3, _ZL12ksigns_iq2xs@rel32@hi+12
	s_waitcnt vmcnt(2)
	v_lshlrev_b32_sdwa v6, v6, v1 dst_sel:DWORD dst_unused:UNUSED_PAD src0_sel:DWORD src1_sel:BYTE_0
	v_and_b32_sdwa v1, v7, v1 dst_sel:DWORD dst_unused:UNUSED_PAD src0_sel:DWORD src1_sel:BYTE_1
	s_waitcnt vmcnt(0)
	v_bfe_u32 v10, v5, v4, 7
	v_lshrrev_b32_e32 v5, 28, v5
	v_cvt_f32_f16_e32 v2, v2
	global_load_dword v4, v6, s[0:1]
	global_load_sbyte v7, v10, s[2:3]
	v_lshlrev_b32_e32 v1, 2, v1
	v_cvt_f32_ubyte0_e32 v5, v5
	global_load_dword v1, v1, s[0:1]
	v_add_f32_e32 v5, 0.5, v5
	v_add_co_u32 v3, s0, s4, v3
	v_add_co_ci_u32_e64 v6, null, s5, 0, s0
	v_mul_f32_e32 v2, v5, v2
	v_add_co_u32 v8, vcc_lo, v3, v0
	v_add_co_ci_u32_e64 v9, null, 0, v6, vcc_lo
	v_mul_f32_e32 v5, 0.5, v2
	s_waitcnt vmcnt(2)
	v_cvt_f32_ubyte0_e32 v0, v4
	s_waitcnt vmcnt(1)
	v_and_b32_e32 v2, 1, v7
	v_cvt_f32_ubyte1_e32 v3, v4
	v_and_b32_e32 v11, 2, v7
	v_cvt_f32_ubyte2_e32 v13, v4
	v_mul_f32_e32 v0, v5, v0
	v_cmp_eq_u16_e32 vcc_lo, 0, v2
	v_and_b32_e32 v14, 4, v7
	v_mul_f32_e32 v3, v5, v3
	v_cvt_f32_ubyte3_e32 v4, v4
	v_and_b32_e32 v15, 8, v7
	v_cndmask_b32_e64 v0, -v0, v0, vcc_lo
	v_cmp_eq_u16_e32 vcc_lo, 0, v11
	s_waitcnt vmcnt(0)
	v_cvt_f32_ubyte0_e32 v16, v1
	v_cvt_f32_ubyte1_e32 v17, v1
	v_mul_f32_e32 v13, v5, v13
	v_cvt_f32_ubyte2_e32 v18, v1
	v_cvt_f32_ubyte3_e32 v19, v1
	v_cndmask_b32_e64 v1, -v3, v3, vcc_lo
	v_cmp_eq_u16_e32 vcc_lo, 0, v14
	v_and_b32_e32 v6, 16, v7
	v_mul_f32_e32 v4, v5, v4
	v_and_b32_e32 v12, 32, v7
	v_mul_f32_e32 v16, v5, v16
	v_cndmask_b32_e64 v2, -v13, v13, vcc_lo
	v_cmp_eq_u16_e32 vcc_lo, 0, v15
	v_mul_f32_e32 v11, v5, v17
	v_mul_f32_e32 v13, v5, v18
	;; [unrolled: 1-line block ×3, first 2 shown]
	v_cndmask_b32_e64 v3, -v4, v4, vcc_lo
	v_cmp_eq_u16_e32 vcc_lo, 0, v6
	v_cndmask_b32_e64 v4, -v16, v16, vcc_lo
	v_cmp_eq_u16_e32 vcc_lo, 0, v12
	v_cndmask_b32_e64 v5, -v11, v11, vcc_lo
	v_cmp_gt_u32_e32 vcc_lo, 64, v10
	v_cndmask_b32_e64 v6, -v13, v13, vcc_lo
	v_cmp_gt_i16_e32 vcc_lo, 0, v7
	v_cndmask_b32_e64 v7, v14, -v14, vcc_lo
	global_store_dwordx4 v[8:9], v[0:3], off
	global_store_dwordx4 v[8:9], v[4:7], off offset:16
	s_endpgm
	.section	.rodata,"a",@progbits
	.p2align	6, 0x0
	.amdhsa_kernel _ZL24dequantize_block_iq3_xxsIfEvPKvPT_
		.amdhsa_group_segment_fixed_size 0
		.amdhsa_private_segment_fixed_size 0
		.amdhsa_kernarg_size 16
		.amdhsa_user_sgpr_count 6
		.amdhsa_user_sgpr_private_segment_buffer 1
		.amdhsa_user_sgpr_dispatch_ptr 0
		.amdhsa_user_sgpr_queue_ptr 0
		.amdhsa_user_sgpr_kernarg_segment_ptr 1
		.amdhsa_user_sgpr_dispatch_id 0
		.amdhsa_user_sgpr_flat_scratch_init 0
		.amdhsa_user_sgpr_private_segment_size 0
		.amdhsa_wavefront_size32 1
		.amdhsa_uses_dynamic_stack 0
		.amdhsa_system_sgpr_private_segment_wavefront_offset 0
		.amdhsa_system_sgpr_workgroup_id_x 1
		.amdhsa_system_sgpr_workgroup_id_y 0
		.amdhsa_system_sgpr_workgroup_id_z 0
		.amdhsa_system_sgpr_workgroup_info 0
		.amdhsa_system_vgpr_workitem_id 0
		.amdhsa_next_free_vgpr 20
		.amdhsa_next_free_sgpr 8
		.amdhsa_reserve_vcc 1
		.amdhsa_reserve_flat_scratch 0
		.amdhsa_float_round_mode_32 0
		.amdhsa_float_round_mode_16_64 0
		.amdhsa_float_denorm_mode_32 3
		.amdhsa_float_denorm_mode_16_64 3
		.amdhsa_dx10_clamp 1
		.amdhsa_ieee_mode 1
		.amdhsa_fp16_overflow 0
		.amdhsa_workgroup_processor_mode 1
		.amdhsa_memory_ordered 1
		.amdhsa_forward_progress 1
		.amdhsa_shared_vgpr_count 0
		.amdhsa_exception_fp_ieee_invalid_op 0
		.amdhsa_exception_fp_denorm_src 0
		.amdhsa_exception_fp_ieee_div_zero 0
		.amdhsa_exception_fp_ieee_overflow 0
		.amdhsa_exception_fp_ieee_underflow 0
		.amdhsa_exception_fp_ieee_inexact 0
		.amdhsa_exception_int_div_zero 0
	.end_amdhsa_kernel
	.section	.text._ZL24dequantize_block_iq3_xxsIfEvPKvPT_,"axG",@progbits,_ZL24dequantize_block_iq3_xxsIfEvPKvPT_,comdat
.Lfunc_end12:
	.size	_ZL24dequantize_block_iq3_xxsIfEvPKvPT_, .Lfunc_end12-_ZL24dequantize_block_iq3_xxsIfEvPKvPT_
                                        ; -- End function
	.set _ZL24dequantize_block_iq3_xxsIfEvPKvPT_.num_vgpr, 20
	.set _ZL24dequantize_block_iq3_xxsIfEvPKvPT_.num_agpr, 0
	.set _ZL24dequantize_block_iq3_xxsIfEvPKvPT_.numbered_sgpr, 8
	.set _ZL24dequantize_block_iq3_xxsIfEvPKvPT_.num_named_barrier, 0
	.set _ZL24dequantize_block_iq3_xxsIfEvPKvPT_.private_seg_size, 0
	.set _ZL24dequantize_block_iq3_xxsIfEvPKvPT_.uses_vcc, 1
	.set _ZL24dequantize_block_iq3_xxsIfEvPKvPT_.uses_flat_scratch, 0
	.set _ZL24dequantize_block_iq3_xxsIfEvPKvPT_.has_dyn_sized_stack, 0
	.set _ZL24dequantize_block_iq3_xxsIfEvPKvPT_.has_recursion, 0
	.set _ZL24dequantize_block_iq3_xxsIfEvPKvPT_.has_indirect_call, 0
	.section	.AMDGPU.csdata,"",@progbits
; Kernel info:
; codeLenInByte = 540
; TotalNumSgprs: 10
; NumVgprs: 20
; ScratchSize: 0
; MemoryBound: 0
; FloatMode: 240
; IeeeMode: 1
; LDSByteSize: 0 bytes/workgroup (compile time only)
; SGPRBlocks: 0
; VGPRBlocks: 2
; NumSGPRsForWavesPerEU: 10
; NumVGPRsForWavesPerEU: 20
; Occupancy: 16
; WaveLimiterHint : 0
; COMPUTE_PGM_RSRC2:SCRATCH_EN: 0
; COMPUTE_PGM_RSRC2:USER_SGPR: 6
; COMPUTE_PGM_RSRC2:TRAP_HANDLER: 0
; COMPUTE_PGM_RSRC2:TGID_X_EN: 1
; COMPUTE_PGM_RSRC2:TGID_Y_EN: 0
; COMPUTE_PGM_RSRC2:TGID_Z_EN: 0
; COMPUTE_PGM_RSRC2:TIDIG_COMP_CNT: 0
	.section	.text._ZL22dequantize_block_iq1_sIfEvPKvPT_,"axG",@progbits,_ZL22dequantize_block_iq1_sIfEvPKvPT_,comdat
	.globl	_ZL22dequantize_block_iq1_sIfEvPKvPT_ ; -- Begin function _ZL22dequantize_block_iq1_sIfEvPKvPT_
	.p2align	8
	.type	_ZL22dequantize_block_iq1_sIfEvPKvPT_,@function
_ZL22dequantize_block_iq1_sIfEvPKvPT_:  ; @_ZL22dequantize_block_iq1_sIfEvPKvPT_
; %bb.0:
	s_load_dwordx4 s[0:3], s[4:5], 0x0
	v_and_b32_e32 v3, 7, v0
	s_mov_b32 s7, 0
	v_lshrrev_b32_e32 v4, 3, v0
	s_lshl_b64 s[4:5], s[6:7], 10
	s_mul_hi_u32 s7, s6, 50
	v_lshlrev_b32_e32 v1, 1, v3
	s_mul_i32 s6, s6, 50
	v_and_b32_e32 v0, 0x3f8, v0
	v_lshlrev_b32_e32 v3, 7, v3
	v_lshlrev_b32_e32 v0, 2, v0
	s_waitcnt lgkmcnt(0)
	s_add_u32 s2, s2, s4
	s_addc_u32 s3, s3, s5
	s_add_u32 s0, s0, s6
	s_addc_u32 s1, s1, s7
	v_add_co_u32 v2, s4, s0, v1
	v_add_co_ci_u32_e64 v5, null, s1, 0, s4
	global_load_ushort v6, v1, s[0:1] offset:34
	v_add_co_u32 v1, vcc_lo, v2, v1
	v_add_co_ci_u32_e64 v2, null, 0, v5, vcc_lo
	v_mov_b32_e32 v5, 0xbf600000
	v_add_co_u32 v1, vcc_lo, v1, v4
	v_add_co_ci_u32_e64 v2, null, 0, v2, vcc_lo
	global_load_ubyte v1, v[1:2], off offset:2
	v_mul_u32_u24_e32 v2, 3, v4
	v_mov_b32_e32 v4, 0
	s_waitcnt vmcnt(1)
	v_lshrrev_b32_sdwa v2, v2, v6 dst_sel:DWORD dst_unused:UNUSED_PAD src0_sel:DWORD src1_sel:WORD_0
	v_lshlrev_b32_e32 v2, 8, v2
	s_waitcnt vmcnt(0)
	v_and_or_b32 v1, 0x700, v2, v1
	global_load_ushort v2, v4, s[0:1]
	s_getpc_b64 s[0:1]
	s_add_u32 s0, s0, _ZL13iq1s_grid_gpu@rel32@lo+4
	s_addc_u32 s1, s1, _ZL13iq1s_grid_gpu@rel32@hi+12
	v_lshrrev_b16 v4, 11, v6
	v_lshlrev_b32_e32 v1, 3, v1
	v_and_b32_e32 v4, 14, v4
	global_load_dword v1, v1, s[0:1]
	v_add_co_u32 v3, s0, s2, v3
	v_or_b32_e32 v4, 1, v4
	v_add_co_ci_u32_e64 v7, null, s3, 0, s0
	v_add_co_u32 v8, vcc_lo, v3, v0
	v_cvt_f32_ubyte0_e32 v4, v4
	v_add_co_ci_u32_e64 v9, null, 0, v7, vcc_lo
	v_cmp_lt_i16_e32 vcc_lo, -1, v6
	v_cndmask_b32_e32 v0, 0xbf900000, v5, vcc_lo
	s_waitcnt vmcnt(1)
	v_cvt_f32_f16_e32 v2, v2
	v_mul_f32_e32 v7, v2, v4
	s_waitcnt vmcnt(0)
	v_and_b32_e32 v2, 0xf000000, v1
	v_and_b32_e32 v3, 15, v1
	v_bfe_u32 v4, v1, 8, 4
	v_bfe_u32 v5, v1, 16, 4
	;; [unrolled: 1-line block ×5, first 2 shown]
	v_lshrrev_b32_e32 v1, 28, v1
	v_cvt_f32_ubyte0_e32 v3, v3
	v_cvt_f32_ubyte0_e32 v4, v4
	v_cvt_f32_ubyte0_e32 v5, v5
	v_cvt_f32_ubyte3_e32 v2, v2
	v_cvt_f32_ubyte0_e32 v6, v6
	v_cvt_f32_ubyte0_e32 v10, v10
	;; [unrolled: 1-line block ×4, first 2 shown]
	v_add_f32_e32 v3, v0, v3
	v_add_f32_e32 v4, v0, v4
	;; [unrolled: 1-line block ×8, first 2 shown]
	v_mul_f32_e32 v0, v7, v3
	v_mul_f32_e32 v1, v7, v4
	;; [unrolled: 1-line block ×8, first 2 shown]
	global_store_dwordx4 v[8:9], v[0:3], off
	global_store_dwordx4 v[8:9], v[4:7], off offset:16
	s_endpgm
	.section	.rodata,"a",@progbits
	.p2align	6, 0x0
	.amdhsa_kernel _ZL22dequantize_block_iq1_sIfEvPKvPT_
		.amdhsa_group_segment_fixed_size 0
		.amdhsa_private_segment_fixed_size 0
		.amdhsa_kernarg_size 16
		.amdhsa_user_sgpr_count 6
		.amdhsa_user_sgpr_private_segment_buffer 1
		.amdhsa_user_sgpr_dispatch_ptr 0
		.amdhsa_user_sgpr_queue_ptr 0
		.amdhsa_user_sgpr_kernarg_segment_ptr 1
		.amdhsa_user_sgpr_dispatch_id 0
		.amdhsa_user_sgpr_flat_scratch_init 0
		.amdhsa_user_sgpr_private_segment_size 0
		.amdhsa_wavefront_size32 1
		.amdhsa_uses_dynamic_stack 0
		.amdhsa_system_sgpr_private_segment_wavefront_offset 0
		.amdhsa_system_sgpr_workgroup_id_x 1
		.amdhsa_system_sgpr_workgroup_id_y 0
		.amdhsa_system_sgpr_workgroup_id_z 0
		.amdhsa_system_sgpr_workgroup_info 0
		.amdhsa_system_vgpr_workitem_id 0
		.amdhsa_next_free_vgpr 14
		.amdhsa_next_free_sgpr 8
		.amdhsa_reserve_vcc 1
		.amdhsa_reserve_flat_scratch 0
		.amdhsa_float_round_mode_32 0
		.amdhsa_float_round_mode_16_64 0
		.amdhsa_float_denorm_mode_32 3
		.amdhsa_float_denorm_mode_16_64 3
		.amdhsa_dx10_clamp 1
		.amdhsa_ieee_mode 1
		.amdhsa_fp16_overflow 0
		.amdhsa_workgroup_processor_mode 1
		.amdhsa_memory_ordered 1
		.amdhsa_forward_progress 1
		.amdhsa_shared_vgpr_count 0
		.amdhsa_exception_fp_ieee_invalid_op 0
		.amdhsa_exception_fp_denorm_src 0
		.amdhsa_exception_fp_ieee_div_zero 0
		.amdhsa_exception_fp_ieee_overflow 0
		.amdhsa_exception_fp_ieee_underflow 0
		.amdhsa_exception_fp_ieee_inexact 0
		.amdhsa_exception_int_div_zero 0
	.end_amdhsa_kernel
	.section	.text._ZL22dequantize_block_iq1_sIfEvPKvPT_,"axG",@progbits,_ZL22dequantize_block_iq1_sIfEvPKvPT_,comdat
.Lfunc_end13:
	.size	_ZL22dequantize_block_iq1_sIfEvPKvPT_, .Lfunc_end13-_ZL22dequantize_block_iq1_sIfEvPKvPT_
                                        ; -- End function
	.set _ZL22dequantize_block_iq1_sIfEvPKvPT_.num_vgpr, 14
	.set _ZL22dequantize_block_iq1_sIfEvPKvPT_.num_agpr, 0
	.set _ZL22dequantize_block_iq1_sIfEvPKvPT_.numbered_sgpr, 8
	.set _ZL22dequantize_block_iq1_sIfEvPKvPT_.num_named_barrier, 0
	.set _ZL22dequantize_block_iq1_sIfEvPKvPT_.private_seg_size, 0
	.set _ZL22dequantize_block_iq1_sIfEvPKvPT_.uses_vcc, 1
	.set _ZL22dequantize_block_iq1_sIfEvPKvPT_.uses_flat_scratch, 0
	.set _ZL22dequantize_block_iq1_sIfEvPKvPT_.has_dyn_sized_stack, 0
	.set _ZL22dequantize_block_iq1_sIfEvPKvPT_.has_recursion, 0
	.set _ZL22dequantize_block_iq1_sIfEvPKvPT_.has_indirect_call, 0
	.section	.AMDGPU.csdata,"",@progbits
; Kernel info:
; codeLenInByte = 476
; TotalNumSgprs: 10
; NumVgprs: 14
; ScratchSize: 0
; MemoryBound: 0
; FloatMode: 240
; IeeeMode: 1
; LDSByteSize: 0 bytes/workgroup (compile time only)
; SGPRBlocks: 0
; VGPRBlocks: 1
; NumSGPRsForWavesPerEU: 10
; NumVGPRsForWavesPerEU: 14
; Occupancy: 16
; WaveLimiterHint : 0
; COMPUTE_PGM_RSRC2:SCRATCH_EN: 0
; COMPUTE_PGM_RSRC2:USER_SGPR: 6
; COMPUTE_PGM_RSRC2:TRAP_HANDLER: 0
; COMPUTE_PGM_RSRC2:TGID_X_EN: 1
; COMPUTE_PGM_RSRC2:TGID_Y_EN: 0
; COMPUTE_PGM_RSRC2:TGID_Z_EN: 0
; COMPUTE_PGM_RSRC2:TIDIG_COMP_CNT: 0
	.section	.text._ZL23dequantize_block_iq4_nlIfEvPKvPT_,"axG",@progbits,_ZL23dequantize_block_iq4_nlIfEvPKvPT_,comdat
	.globl	_ZL23dequantize_block_iq4_nlIfEvPKvPT_ ; -- Begin function _ZL23dequantize_block_iq4_nlIfEvPKvPT_
	.p2align	8
	.type	_ZL23dequantize_block_iq4_nlIfEvPKvPT_,@function
_ZL23dequantize_block_iq4_nlIfEvPKvPT_: ; @_ZL23dequantize_block_iq4_nlIfEvPKvPT_
; %bb.0:
	s_load_dwordx4 s[0:3], s[4:5], 0x0
	s_lshl_b32 s4, s6, 3
	s_mul_i32 s5, s6, 0x90
	v_and_b32_e32 v4, 7, v0
	s_mul_hi_u32 s4, s4, 18
	v_lshrrev_b32_e32 v2, 1, v0
	v_and_b32_e32 v5, 0x1fc, v2
	s_waitcnt lgkmcnt(0)
	s_add_u32 s0, s0, s5
	s_addc_u32 s1, s1, s4
	v_mad_u64_u32 v[0:1], null, v4, 18, s[0:1]
	s_mov_b32 s1, 0
	s_lshl_b32 s0, s6, 8
	s_lshl_b64 s[0:1], s[0:1], 2
	s_add_u32 s2, s2, s0
	v_add_co_u32 v2, vcc_lo, v0, v5
	v_add_co_ci_u32_e64 v3, null, 0, v1, vcc_lo
	s_addc_u32 s3, s3, s1
	s_getpc_b64 s[0:1]
	s_add_u32 s0, s0, _ZL13kvalues_iq4nl@rel32@lo+4
	s_addc_u32 s1, s1, _ZL13kvalues_iq4nl@rel32@hi+12
	s_clause 0x1
	global_load_ushort v6, v[0:1], off
	global_load_dword v2, v[2:3], off offset:2
	s_waitcnt vmcnt(1)
	v_cvt_f32_f16_e32 v15, v6
	s_waitcnt vmcnt(0)
	v_lshrrev_b16 v0, 4, v2
	v_lshrrev_b32_e32 v1, 8, v2
	v_lshrrev_b32_e32 v3, 24, v2
	v_and_b32_e32 v7, 15, v2
	v_bfe_u32 v8, v2, 8, 4
	v_and_b32_e32 v0, 15, v0
	v_lshrrev_b16 v1, 4, v1
	v_lshrrev_b16 v3, 4, v3
	v_bfe_u32 v9, v2, 16, 4
	v_bfe_u32 v10, v2, 20, 4
	v_and_b32_e32 v0, 0xffff, v0
	v_and_b32_e32 v11, 15, v1
	v_bfe_u32 v12, v2, 24, 4
	v_and_b32_e32 v2, 0xffff, v3
	v_add_co_u32 v0, s4, s0, v0
	v_and_b32_e32 v3, 0xffff, v11
	v_add_co_ci_u32_e64 v1, null, s1, 0, s4
	s_clause 0x2
	global_load_sbyte v7, v7, s[0:1]
	global_load_sbyte v11, v[0:1], off
	global_load_sbyte v8, v8, s[0:1]
	v_add_co_u32 v0, s4, s0, v3
	v_add_co_ci_u32_e64 v1, null, s1, 0, s4
	v_add_co_u32 v2, s4, s0, v2
	v_add_co_ci_u32_e64 v3, null, s1, 0, s4
	s_clause 0x4
	global_load_sbyte v13, v[0:1], off
	global_load_sbyte v14, v9, s[0:1]
	global_load_sbyte v10, v10, s[0:1]
	;; [unrolled: 1-line block ×3, first 2 shown]
	global_load_sbyte v2, v[2:3], off
	v_lshlrev_b32_e32 v0, 7, v4
	v_lshlrev_b32_e32 v1, 2, v5
	v_add_co_u32 v0, s0, s2, v0
	v_add_co_ci_u32_e64 v3, null, s3, 0, s0
	s_waitcnt vmcnt(7)
	v_cvt_f32_i32_e32 v4, v7
	s_waitcnt vmcnt(6)
	v_cvt_f32_i32_e32 v5, v11
	;; [unrolled: 2-line block ×3, first 2 shown]
	v_add_co_u32 v8, vcc_lo, v0, v1
	v_add_co_ci_u32_e64 v9, null, 0, v3, vcc_lo
	v_mul_f32_e32 v1, v15, v6
	s_waitcnt vmcnt(4)
	v_cvt_f32_i32_e32 v3, v13
	s_waitcnt vmcnt(3)
	v_cvt_f32_i32_e32 v6, v14
	;; [unrolled: 2-line block ×5, first 2 shown]
	v_mul_f32_e32 v0, v15, v4
	v_mul_f32_e32 v4, v15, v5
	;; [unrolled: 1-line block ×7, first 2 shown]
	global_store_dwordx4 v[8:9], v[0:3], off
	global_store_dwordx4 v[8:9], v[4:7], off offset:64
	s_endpgm
	.section	.rodata,"a",@progbits
	.p2align	6, 0x0
	.amdhsa_kernel _ZL23dequantize_block_iq4_nlIfEvPKvPT_
		.amdhsa_group_segment_fixed_size 0
		.amdhsa_private_segment_fixed_size 0
		.amdhsa_kernarg_size 16
		.amdhsa_user_sgpr_count 6
		.amdhsa_user_sgpr_private_segment_buffer 1
		.amdhsa_user_sgpr_dispatch_ptr 0
		.amdhsa_user_sgpr_queue_ptr 0
		.amdhsa_user_sgpr_kernarg_segment_ptr 1
		.amdhsa_user_sgpr_dispatch_id 0
		.amdhsa_user_sgpr_flat_scratch_init 0
		.amdhsa_user_sgpr_private_segment_size 0
		.amdhsa_wavefront_size32 1
		.amdhsa_uses_dynamic_stack 0
		.amdhsa_system_sgpr_private_segment_wavefront_offset 0
		.amdhsa_system_sgpr_workgroup_id_x 1
		.amdhsa_system_sgpr_workgroup_id_y 0
		.amdhsa_system_sgpr_workgroup_id_z 0
		.amdhsa_system_sgpr_workgroup_info 0
		.amdhsa_system_vgpr_workitem_id 0
		.amdhsa_next_free_vgpr 16
		.amdhsa_next_free_sgpr 7
		.amdhsa_reserve_vcc 1
		.amdhsa_reserve_flat_scratch 0
		.amdhsa_float_round_mode_32 0
		.amdhsa_float_round_mode_16_64 0
		.amdhsa_float_denorm_mode_32 3
		.amdhsa_float_denorm_mode_16_64 3
		.amdhsa_dx10_clamp 1
		.amdhsa_ieee_mode 1
		.amdhsa_fp16_overflow 0
		.amdhsa_workgroup_processor_mode 1
		.amdhsa_memory_ordered 1
		.amdhsa_forward_progress 1
		.amdhsa_shared_vgpr_count 0
		.amdhsa_exception_fp_ieee_invalid_op 0
		.amdhsa_exception_fp_denorm_src 0
		.amdhsa_exception_fp_ieee_div_zero 0
		.amdhsa_exception_fp_ieee_overflow 0
		.amdhsa_exception_fp_ieee_underflow 0
		.amdhsa_exception_fp_ieee_inexact 0
		.amdhsa_exception_int_div_zero 0
	.end_amdhsa_kernel
	.section	.text._ZL23dequantize_block_iq4_nlIfEvPKvPT_,"axG",@progbits,_ZL23dequantize_block_iq4_nlIfEvPKvPT_,comdat
.Lfunc_end14:
	.size	_ZL23dequantize_block_iq4_nlIfEvPKvPT_, .Lfunc_end14-_ZL23dequantize_block_iq4_nlIfEvPKvPT_
                                        ; -- End function
	.set _ZL23dequantize_block_iq4_nlIfEvPKvPT_.num_vgpr, 16
	.set _ZL23dequantize_block_iq4_nlIfEvPKvPT_.num_agpr, 0
	.set _ZL23dequantize_block_iq4_nlIfEvPKvPT_.numbered_sgpr, 7
	.set _ZL23dequantize_block_iq4_nlIfEvPKvPT_.num_named_barrier, 0
	.set _ZL23dequantize_block_iq4_nlIfEvPKvPT_.private_seg_size, 0
	.set _ZL23dequantize_block_iq4_nlIfEvPKvPT_.uses_vcc, 1
	.set _ZL23dequantize_block_iq4_nlIfEvPKvPT_.uses_flat_scratch, 0
	.set _ZL23dequantize_block_iq4_nlIfEvPKvPT_.has_dyn_sized_stack, 0
	.set _ZL23dequantize_block_iq4_nlIfEvPKvPT_.has_recursion, 0
	.set _ZL23dequantize_block_iq4_nlIfEvPKvPT_.has_indirect_call, 0
	.section	.AMDGPU.csdata,"",@progbits
; Kernel info:
; codeLenInByte = 524
; TotalNumSgprs: 9
; NumVgprs: 16
; ScratchSize: 0
; MemoryBound: 0
; FloatMode: 240
; IeeeMode: 1
; LDSByteSize: 0 bytes/workgroup (compile time only)
; SGPRBlocks: 0
; VGPRBlocks: 1
; NumSGPRsForWavesPerEU: 9
; NumVGPRsForWavesPerEU: 16
; Occupancy: 16
; WaveLimiterHint : 0
; COMPUTE_PGM_RSRC2:SCRATCH_EN: 0
; COMPUTE_PGM_RSRC2:USER_SGPR: 6
; COMPUTE_PGM_RSRC2:TRAP_HANDLER: 0
; COMPUTE_PGM_RSRC2:TGID_X_EN: 1
; COMPUTE_PGM_RSRC2:TGID_Y_EN: 0
; COMPUTE_PGM_RSRC2:TGID_Z_EN: 0
; COMPUTE_PGM_RSRC2:TIDIG_COMP_CNT: 0
	.section	.text._ZL22dequantize_block_iq3_sIfEvPKvPT_,"axG",@progbits,_ZL22dequantize_block_iq3_sIfEvPKvPT_,comdat
	.globl	_ZL22dequantize_block_iq3_sIfEvPKvPT_ ; -- Begin function _ZL22dequantize_block_iq3_sIfEvPKvPT_
	.p2align	8
	.type	_ZL22dequantize_block_iq3_sIfEvPKvPT_,@function
_ZL22dequantize_block_iq3_sIfEvPKvPT_:  ; @_ZL22dequantize_block_iq3_sIfEvPKvPT_
; %bb.0:
	s_load_dwordx4 s[0:3], s[4:5], 0x0
	v_and_b32_e32 v3, 7, v0
	s_mov_b32 s5, 0
	s_lshl_b32 s4, s6, 8
	v_lshrrev_b32_e32 v4, 3, v0
	s_lshl_b64 s[4:5], s[4:5], 2
	v_lshlrev_b32_e32 v1, 3, v3
	s_mul_hi_u32 s7, s6, 0x6e
	s_mulk_i32 s6, 0x6e
	v_lshlrev_b32_e32 v5, 1, v4
	v_bfe_u32 v6, v0, 1, 2
	v_lshl_add_u32 v4, v3, 2, v4
	v_mov_b32_e32 v9, 0xffff
	v_sub_nc_u32_e32 v8, 8, v5
	s_waitcnt lgkmcnt(0)
	s_add_u32 s2, s2, s4
	s_addc_u32 s3, s3, s5
	s_add_u32 s0, s0, s6
	s_addc_u32 s1, s1, s7
	v_add_co_u32 v1, s4, s0, v1
	v_add_co_ci_u32_e64 v2, null, s1, 0, s4
	v_add_co_u32 v1, vcc_lo, v1, v5
	v_add_co_ci_u32_e64 v2, null, 0, v2, vcc_lo
	v_sub_nc_u32_e32 v5, 7, v5
	s_clause 0x3
	global_load_ushort v1, v[1:2], off offset:2
	global_load_ubyte v2, v6, s[0:1] offset:106
	global_load_sbyte v7, v4, s[0:1] offset:74
	global_load_ubyte v4, v3, s[0:1] offset:66
	v_mov_b32_e32 v6, 0
	v_lshlrev_b32_e32 v3, 7, v3
	global_load_ushort v6, v6, s[0:1]
	s_getpc_b64 s[0:1]
	s_add_u32 s0, s0, _ZL10iq3xs_grid@rel32@lo+4
	s_addc_u32 s1, s1, _ZL10iq3xs_grid@rel32@hi+12
	s_waitcnt vmcnt(4)
	v_and_b32_e32 v10, 0xff, v1
	v_and_b32_sdwa v1, v9, v1 dst_sel:DWORD dst_unused:UNUSED_PAD src0_sel:DWORD src1_sel:BYTE_1
	s_waitcnt vmcnt(2)
	v_and_b32_e32 v11, 64, v7
	s_waitcnt vmcnt(1)
	v_lshlrev_b32_e32 v8, v8, v4
	v_lshlrev_b32_e32 v4, v5, v4
	v_and_b32_e32 v12, 8, v7
	v_and_or_b32 v5, 0x100, v8, v10
	v_and_or_b32 v1, 0x100, v4, v1
	s_waitcnt vmcnt(0)
	v_cvt_f32_f16_e32 v6, v6
	v_and_b32_e32 v10, 4, v7
	v_lshlrev_b32_e32 v4, 2, v5
	v_lshlrev_b32_e32 v1, 2, v1
	;; [unrolled: 1-line block ×3, first 2 shown]
	v_and_b32_e32 v0, 0x3f8, v0
	s_clause 0x1
	global_load_dword v4, v4, s[0:1]
	global_load_dword v1, v1, s[0:1]
	v_add_co_u32 v3, s0, s2, v3
	v_and_b32_e32 v5, 4, v5
	v_lshlrev_b32_e32 v0, 2, v0
	v_bfe_u32 v2, v2, v5, 4
	v_add_co_ci_u32_e64 v5, null, s3, 0, s0
	v_add_co_u32 v8, vcc_lo, v3, v0
	v_cvt_f32_ubyte0_e32 v2, v2
	v_and_b32_e32 v0, 1, v7
	v_add_co_ci_u32_e64 v9, null, 0, v5, vcc_lo
	v_and_b32_e32 v3, 16, v7
	v_add_f32_e32 v2, 0.5, v2
	v_cmp_eq_u16_e32 vcc_lo, 0, v0
	v_and_b32_e32 v5, 2, v7
	v_mul_f32_e32 v2, v2, v6
	v_and_b32_e32 v6, 32, v7
	v_mul_f32_e32 v2, 0.5, v2
	s_waitcnt vmcnt(1)
	v_cvt_f32_ubyte0_e32 v13, v4
	s_waitcnt vmcnt(0)
	v_cvt_f32_ubyte0_e32 v14, v1
	v_cvt_f32_ubyte1_e32 v15, v4
	v_cvt_f32_ubyte2_e32 v17, v4
	v_cvt_f32_ubyte3_e32 v4, v4
	v_mul_f32_e32 v13, v2, v13
	v_mul_f32_e32 v14, v2, v14
	v_cvt_f32_ubyte1_e32 v16, v1
	v_cvt_f32_ubyte2_e32 v18, v1
	v_cvt_f32_ubyte3_e32 v1, v1
	v_cndmask_b32_e64 v0, -v13, v13, vcc_lo
	v_cmp_eq_u16_e32 vcc_lo, 0, v3
	v_mul_f32_e32 v15, v2, v15
	v_mul_f32_e32 v19, v2, v4
	;; [unrolled: 1-line block ×4, first 2 shown]
	v_cndmask_b32_e64 v4, -v14, v14, vcc_lo
	v_cmp_eq_u16_e32 vcc_lo, 0, v5
	v_mul_f32_e32 v17, v2, v17
	v_mul_f32_e32 v18, v2, v18
	v_cndmask_b32_e64 v1, -v15, v15, vcc_lo
	v_cmp_eq_u16_e32 vcc_lo, 0, v6
	v_cndmask_b32_e64 v5, -v16, v16, vcc_lo
	v_cmp_eq_u16_e32 vcc_lo, 0, v10
	;; [unrolled: 2-line block ×4, first 2 shown]
	v_cndmask_b32_e64 v3, -v19, v19, vcc_lo
	v_cmp_gt_i16_e32 vcc_lo, 0, v7
	v_cndmask_b32_e64 v7, v20, -v20, vcc_lo
	global_store_dwordx4 v[8:9], v[0:3], off
	global_store_dwordx4 v[8:9], v[4:7], off offset:16
	s_endpgm
	.section	.rodata,"a",@progbits
	.p2align	6, 0x0
	.amdhsa_kernel _ZL22dequantize_block_iq3_sIfEvPKvPT_
		.amdhsa_group_segment_fixed_size 0
		.amdhsa_private_segment_fixed_size 0
		.amdhsa_kernarg_size 16
		.amdhsa_user_sgpr_count 6
		.amdhsa_user_sgpr_private_segment_buffer 1
		.amdhsa_user_sgpr_dispatch_ptr 0
		.amdhsa_user_sgpr_queue_ptr 0
		.amdhsa_user_sgpr_kernarg_segment_ptr 1
		.amdhsa_user_sgpr_dispatch_id 0
		.amdhsa_user_sgpr_flat_scratch_init 0
		.amdhsa_user_sgpr_private_segment_size 0
		.amdhsa_wavefront_size32 1
		.amdhsa_uses_dynamic_stack 0
		.amdhsa_system_sgpr_private_segment_wavefront_offset 0
		.amdhsa_system_sgpr_workgroup_id_x 1
		.amdhsa_system_sgpr_workgroup_id_y 0
		.amdhsa_system_sgpr_workgroup_id_z 0
		.amdhsa_system_sgpr_workgroup_info 0
		.amdhsa_system_vgpr_workitem_id 0
		.amdhsa_next_free_vgpr 21
		.amdhsa_next_free_sgpr 8
		.amdhsa_reserve_vcc 1
		.amdhsa_reserve_flat_scratch 0
		.amdhsa_float_round_mode_32 0
		.amdhsa_float_round_mode_16_64 0
		.amdhsa_float_denorm_mode_32 3
		.amdhsa_float_denorm_mode_16_64 3
		.amdhsa_dx10_clamp 1
		.amdhsa_ieee_mode 1
		.amdhsa_fp16_overflow 0
		.amdhsa_workgroup_processor_mode 1
		.amdhsa_memory_ordered 1
		.amdhsa_forward_progress 1
		.amdhsa_shared_vgpr_count 0
		.amdhsa_exception_fp_ieee_invalid_op 0
		.amdhsa_exception_fp_denorm_src 0
		.amdhsa_exception_fp_ieee_div_zero 0
		.amdhsa_exception_fp_ieee_overflow 0
		.amdhsa_exception_fp_ieee_underflow 0
		.amdhsa_exception_fp_ieee_inexact 0
		.amdhsa_exception_int_div_zero 0
	.end_amdhsa_kernel
	.section	.text._ZL22dequantize_block_iq3_sIfEvPKvPT_,"axG",@progbits,_ZL22dequantize_block_iq3_sIfEvPKvPT_,comdat
.Lfunc_end15:
	.size	_ZL22dequantize_block_iq3_sIfEvPKvPT_, .Lfunc_end15-_ZL22dequantize_block_iq3_sIfEvPKvPT_
                                        ; -- End function
	.set _ZL22dequantize_block_iq3_sIfEvPKvPT_.num_vgpr, 21
	.set _ZL22dequantize_block_iq3_sIfEvPKvPT_.num_agpr, 0
	.set _ZL22dequantize_block_iq3_sIfEvPKvPT_.numbered_sgpr, 8
	.set _ZL22dequantize_block_iq3_sIfEvPKvPT_.num_named_barrier, 0
	.set _ZL22dequantize_block_iq3_sIfEvPKvPT_.private_seg_size, 0
	.set _ZL22dequantize_block_iq3_sIfEvPKvPT_.uses_vcc, 1
	.set _ZL22dequantize_block_iq3_sIfEvPKvPT_.uses_flat_scratch, 0
	.set _ZL22dequantize_block_iq3_sIfEvPKvPT_.has_dyn_sized_stack, 0
	.set _ZL22dequantize_block_iq3_sIfEvPKvPT_.has_recursion, 0
	.set _ZL22dequantize_block_iq3_sIfEvPKvPT_.has_indirect_call, 0
	.section	.AMDGPU.csdata,"",@progbits
; Kernel info:
; codeLenInByte = 592
; TotalNumSgprs: 10
; NumVgprs: 21
; ScratchSize: 0
; MemoryBound: 0
; FloatMode: 240
; IeeeMode: 1
; LDSByteSize: 0 bytes/workgroup (compile time only)
; SGPRBlocks: 0
; VGPRBlocks: 2
; NumSGPRsForWavesPerEU: 10
; NumVGPRsForWavesPerEU: 21
; Occupancy: 16
; WaveLimiterHint : 0
; COMPUTE_PGM_RSRC2:SCRATCH_EN: 0
; COMPUTE_PGM_RSRC2:USER_SGPR: 6
; COMPUTE_PGM_RSRC2:TRAP_HANDLER: 0
; COMPUTE_PGM_RSRC2:TGID_X_EN: 1
; COMPUTE_PGM_RSRC2:TGID_Y_EN: 0
; COMPUTE_PGM_RSRC2:TGID_Z_EN: 0
; COMPUTE_PGM_RSRC2:TIDIG_COMP_CNT: 0
	.section	.text._ZL22dequantize_block_iq2_sIfEvPKvPT_,"axG",@progbits,_ZL22dequantize_block_iq2_sIfEvPKvPT_,comdat
	.globl	_ZL22dequantize_block_iq2_sIfEvPKvPT_ ; -- Begin function _ZL22dequantize_block_iq2_sIfEvPKvPT_
	.p2align	8
	.type	_ZL22dequantize_block_iq2_sIfEvPKvPT_,@function
_ZL22dequantize_block_iq2_sIfEvPKvPT_:  ; @_ZL22dequantize_block_iq2_sIfEvPKvPT_
; %bb.0:
	s_load_dwordx4 s[0:3], s[4:5], 0x0
	s_mov_b32 s5, 0
	s_lshl_b32 s4, s6, 8
	v_lshrrev_b32_e32 v1, 3, v0
	v_and_b32_e32 v3, 7, v0
	s_lshl_b64 s[4:5], s[4:5], 2
	s_mul_hi_u32 s7, s6, 0x52
	s_mulk_i32 s6, 0x52
	v_lshl_add_u32 v2, v3, 2, v1
	v_lshlrev_b32_e32 v1, 1, v1
	v_sub_nc_u32_e32 v1, 8, v1
	s_waitcnt lgkmcnt(0)
	s_add_u32 s2, s2, s4
	s_addc_u32 s3, s3, s5
	s_add_u32 s0, s0, s6
	s_addc_u32 s1, s1, s7
	s_clause 0x3
	global_load_ubyte v4, v3, s[0:1] offset:66
	global_load_ubyte v5, v2, s[0:1] offset:2
	global_load_sbyte v7, v2, s[0:1] offset:34
	global_load_ubyte v6, v3, s[0:1] offset:74
	v_mov_b32_e32 v2, 0
	v_lshlrev_b32_e32 v3, 7, v3
	global_load_ushort v8, v2, s[0:1]
	s_getpc_b64 s[0:1]
	s_add_u32 s0, s0, _ZL9iq2s_grid@rel32@lo+4
	s_addc_u32 s1, s1, _ZL9iq2s_grid@rel32@hi+12
	s_waitcnt vmcnt(4)
	v_lshlrev_b32_e32 v1, v1, v4
	v_lshrrev_b32_e32 v4, 2, v0
	v_and_b32_e32 v0, 0x3f8, v0
	s_waitcnt vmcnt(2)
	v_and_b32_e32 v10, 16, v7
	v_and_b32_e32 v11, 32, v7
	v_and_or_b32 v1, 0x300, v1, v5
	v_and_b32_e32 v4, 0xfc, v4
	v_lshlrev_b32_e32 v0, 2, v0
	v_and_b32_e32 v12, 64, v7
	v_lshlrev_b32_e32 v1, 3, v1
	s_waitcnt vmcnt(1)
	v_bfe_u32 v4, v6, v4, 4
	s_waitcnt vmcnt(0)
	v_cvt_f32_f16_e32 v6, v8
	global_load_dwordx2 v[1:2], v1, s[0:1]
	v_cvt_f32_ubyte0_e32 v4, v4
	v_add_co_u32 v3, s0, s2, v3
	v_add_co_ci_u32_e64 v5, null, s3, 0, s0
	v_add_f32_e32 v4, 0.5, v4
	v_add_co_u32 v8, vcc_lo, v3, v0
	v_and_b32_e32 v0, 1, v7
	v_add_co_ci_u32_e64 v9, null, 0, v5, vcc_lo
	v_mul_f32_e32 v4, v4, v6
	v_and_b32_e32 v3, 2, v7
	v_cmp_eq_u16_e32 vcc_lo, 0, v0
	v_and_b32_e32 v5, 4, v7
	v_and_b32_e32 v6, 8, v7
	v_mul_f32_e32 v4, 0x3e800000, v4
	s_waitcnt vmcnt(0)
	v_cvt_f32_ubyte0_e32 v13, v1
	v_cvt_f32_ubyte1_e32 v14, v1
	v_cvt_f32_ubyte2_e32 v15, v1
	v_cvt_f32_ubyte3_e32 v1, v1
	v_cvt_f32_ubyte0_e32 v16, v2
	v_mul_f32_e32 v13, v4, v13
	v_mul_f32_e32 v14, v4, v14
	v_cvt_f32_ubyte1_e32 v17, v2
	v_cvt_f32_ubyte2_e32 v18, v2
	v_cvt_f32_ubyte3_e32 v2, v2
	v_cndmask_b32_e64 v0, -v13, v13, vcc_lo
	v_cmp_eq_u16_e32 vcc_lo, 0, v3
	v_mul_f32_e32 v15, v4, v15
	v_mul_f32_e32 v19, v4, v1
	;; [unrolled: 1-line block ×4, first 2 shown]
	v_cndmask_b32_e64 v1, -v14, v14, vcc_lo
	v_cmp_eq_u16_e32 vcc_lo, 0, v5
	v_mul_f32_e32 v17, v4, v17
	v_mul_f32_e32 v18, v4, v18
	v_cndmask_b32_e64 v2, -v15, v15, vcc_lo
	v_cmp_eq_u16_e32 vcc_lo, 0, v6
	v_cndmask_b32_e64 v3, -v19, v19, vcc_lo
	v_cmp_eq_u16_e32 vcc_lo, 0, v10
	;; [unrolled: 2-line block ×4, first 2 shown]
	v_cndmask_b32_e64 v6, -v18, v18, vcc_lo
	v_cmp_gt_i16_e32 vcc_lo, 0, v7
	v_cndmask_b32_e64 v7, v20, -v20, vcc_lo
	global_store_dwordx4 v[8:9], v[0:3], off
	global_store_dwordx4 v[8:9], v[4:7], off offset:16
	s_endpgm
	.section	.rodata,"a",@progbits
	.p2align	6, 0x0
	.amdhsa_kernel _ZL22dequantize_block_iq2_sIfEvPKvPT_
		.amdhsa_group_segment_fixed_size 0
		.amdhsa_private_segment_fixed_size 0
		.amdhsa_kernarg_size 16
		.amdhsa_user_sgpr_count 6
		.amdhsa_user_sgpr_private_segment_buffer 1
		.amdhsa_user_sgpr_dispatch_ptr 0
		.amdhsa_user_sgpr_queue_ptr 0
		.amdhsa_user_sgpr_kernarg_segment_ptr 1
		.amdhsa_user_sgpr_dispatch_id 0
		.amdhsa_user_sgpr_flat_scratch_init 0
		.amdhsa_user_sgpr_private_segment_size 0
		.amdhsa_wavefront_size32 1
		.amdhsa_uses_dynamic_stack 0
		.amdhsa_system_sgpr_private_segment_wavefront_offset 0
		.amdhsa_system_sgpr_workgroup_id_x 1
		.amdhsa_system_sgpr_workgroup_id_y 0
		.amdhsa_system_sgpr_workgroup_id_z 0
		.amdhsa_system_sgpr_workgroup_info 0
		.amdhsa_system_vgpr_workitem_id 0
		.amdhsa_next_free_vgpr 21
		.amdhsa_next_free_sgpr 8
		.amdhsa_reserve_vcc 1
		.amdhsa_reserve_flat_scratch 0
		.amdhsa_float_round_mode_32 0
		.amdhsa_float_round_mode_16_64 0
		.amdhsa_float_denorm_mode_32 3
		.amdhsa_float_denorm_mode_16_64 3
		.amdhsa_dx10_clamp 1
		.amdhsa_ieee_mode 1
		.amdhsa_fp16_overflow 0
		.amdhsa_workgroup_processor_mode 1
		.amdhsa_memory_ordered 1
		.amdhsa_forward_progress 1
		.amdhsa_shared_vgpr_count 0
		.amdhsa_exception_fp_ieee_invalid_op 0
		.amdhsa_exception_fp_denorm_src 0
		.amdhsa_exception_fp_ieee_div_zero 0
		.amdhsa_exception_fp_ieee_overflow 0
		.amdhsa_exception_fp_ieee_underflow 0
		.amdhsa_exception_fp_ieee_inexact 0
		.amdhsa_exception_int_div_zero 0
	.end_amdhsa_kernel
	.section	.text._ZL22dequantize_block_iq2_sIfEvPKvPT_,"axG",@progbits,_ZL22dequantize_block_iq2_sIfEvPKvPT_,comdat
.Lfunc_end16:
	.size	_ZL22dequantize_block_iq2_sIfEvPKvPT_, .Lfunc_end16-_ZL22dequantize_block_iq2_sIfEvPKvPT_
                                        ; -- End function
	.set _ZL22dequantize_block_iq2_sIfEvPKvPT_.num_vgpr, 21
	.set _ZL22dequantize_block_iq2_sIfEvPKvPT_.num_agpr, 0
	.set _ZL22dequantize_block_iq2_sIfEvPKvPT_.numbered_sgpr, 8
	.set _ZL22dequantize_block_iq2_sIfEvPKvPT_.num_named_barrier, 0
	.set _ZL22dequantize_block_iq2_sIfEvPKvPT_.private_seg_size, 0
	.set _ZL22dequantize_block_iq2_sIfEvPKvPT_.uses_vcc, 1
	.set _ZL22dequantize_block_iq2_sIfEvPKvPT_.uses_flat_scratch, 0
	.set _ZL22dequantize_block_iq2_sIfEvPKvPT_.has_dyn_sized_stack, 0
	.set _ZL22dequantize_block_iq2_sIfEvPKvPT_.has_recursion, 0
	.set _ZL22dequantize_block_iq2_sIfEvPKvPT_.has_indirect_call, 0
	.section	.AMDGPU.csdata,"",@progbits
; Kernel info:
; codeLenInByte = 492
; TotalNumSgprs: 10
; NumVgprs: 21
; ScratchSize: 0
; MemoryBound: 0
; FloatMode: 240
; IeeeMode: 1
; LDSByteSize: 0 bytes/workgroup (compile time only)
; SGPRBlocks: 0
; VGPRBlocks: 2
; NumSGPRsForWavesPerEU: 10
; NumVGPRsForWavesPerEU: 21
; Occupancy: 16
; WaveLimiterHint : 0
; COMPUTE_PGM_RSRC2:SCRATCH_EN: 0
; COMPUTE_PGM_RSRC2:USER_SGPR: 6
; COMPUTE_PGM_RSRC2:TRAP_HANDLER: 0
; COMPUTE_PGM_RSRC2:TGID_X_EN: 1
; COMPUTE_PGM_RSRC2:TGID_Y_EN: 0
; COMPUTE_PGM_RSRC2:TGID_Z_EN: 0
; COMPUTE_PGM_RSRC2:TIDIG_COMP_CNT: 0
	.section	.text._ZL23dequantize_block_iq4_xsIfEvPKvPT_,"axG",@progbits,_ZL23dequantize_block_iq4_xsIfEvPKvPT_,comdat
	.globl	_ZL23dequantize_block_iq4_xsIfEvPKvPT_ ; -- Begin function _ZL23dequantize_block_iq4_xsIfEvPKvPT_
	.p2align	8
	.type	_ZL23dequantize_block_iq4_xsIfEvPKvPT_,@function
_ZL23dequantize_block_iq4_xsIfEvPKvPT_: ; @_ZL23dequantize_block_iq4_xsIfEvPKvPT_
; %bb.0:
	s_load_dwordx4 s[0:3], s[4:5], 0x0
	v_lshrrev_b32_e32 v1, 1, v0
	v_and_b32_e32 v5, 7, v0
	s_mov_b32 s5, 0
	s_lshl_b32 s4, s6, 8
	s_mul_hi_u32 s7, s6, 0x88
	s_lshl_b64 s[4:5], s[4:5], 2
	v_and_b32_e32 v6, 0x1fc, v1
	v_lshlrev_b32_e32 v1, 4, v5
	s_mulk_i32 s6, 0x88
	s_waitcnt lgkmcnt(0)
	s_add_u32 s2, s2, s4
	s_addc_u32 s3, s3, s5
	s_add_u32 s0, s0, s6
	s_addc_u32 s1, s1, s7
	v_add_co_u32 v1, s4, s0, v1
	v_add_co_ci_u32_e64 v2, null, s1, 0, s4
	v_add_co_u32 v1, vcc_lo, v1, v6
	v_add_co_ci_u32_e64 v2, null, 0, v2, vcc_lo
	global_load_dword v3, v[1:2], off offset:8
	v_mov_b32_e32 v1, 0
	v_bfe_u32 v2, v0, 1, 2
	v_lshlrev_b32_e32 v0, 2, v0
	s_clause 0x1
	global_load_dword v7, v1, s[0:1]
	global_load_ubyte v8, v2, s[0:1] offset:4
	s_getpc_b64 s[0:1]
	s_add_u32 s0, s0, _ZL13kvalues_iq4nl@rel32@lo+4
	s_addc_u32 s1, s1, _ZL13kvalues_iq4nl@rel32@hi+12
	v_and_b32_e32 v0, 4, v0
	s_waitcnt vmcnt(2)
	v_lshrrev_b16 v1, 4, v3
	v_lshrrev_b32_e32 v2, 8, v3
	v_lshrrev_b32_e32 v4, 24, v3
	v_and_b32_e32 v9, 15, v3
	v_bfe_u32 v10, v3, 8, 4
	v_and_b32_e32 v1, 15, v1
	v_lshrrev_b16 v2, 4, v2
	v_lshrrev_b16 v4, 4, v4
	v_bfe_u32 v11, v3, 16, 4
	v_bfe_u32 v12, v3, 20, 4
	v_and_b32_e32 v1, 0xffff, v1
	v_and_b32_e32 v13, 15, v2
	v_bfe_u32 v14, v3, 24, 4
	v_and_b32_e32 v3, 0xffff, v4
	s_waitcnt vmcnt(0)
	v_bfe_u32 v0, v8, v0, 4
	v_add_co_u32 v1, s4, s0, v1
	v_and_b32_e32 v4, 0xffff, v13
	v_add_co_ci_u32_e64 v2, null, s1, 0, s4
	s_clause 0x2
	global_load_sbyte v9, v9, s[0:1]
	global_load_sbyte v13, v[1:2], off
	global_load_sbyte v10, v10, s[0:1]
	v_add_co_u32 v1, s4, s0, v4
	v_add_co_ci_u32_e64 v2, null, s1, 0, s4
	v_add_co_u32 v3, s4, s0, v3
	v_add_co_ci_u32_e64 v4, null, s1, 0, s4
	s_clause 0x4
	global_load_sbyte v2, v[1:2], off
	global_load_sbyte v11, v11, s[0:1]
	global_load_sbyte v12, v12, s[0:1]
	;; [unrolled: 1-line block ×3, first 2 shown]
	global_load_sbyte v3, v[3:4], off
	v_lshlrev_b32_e32 v1, 1, v5
	v_lshlrev_b32_e32 v4, 2, v6
	v_lshrrev_b32_sdwa v1, v1, v7 dst_sel:DWORD dst_unused:UNUSED_PAD src0_sel:DWORD src1_sel:WORD_1
	v_lshlrev_b32_e32 v1, 4, v1
	v_and_or_b32 v0, v1, 48, v0
	v_lshlrev_b32_e32 v1, 7, v5
	v_cvt_f32_f16_e32 v5, v7
	v_subrev_nc_u32_e32 v0, 32, v0
	v_add_co_u32 v1, s0, s2, v1
	v_add_co_ci_u32_e64 v6, null, s3, 0, s0
	v_cvt_f32_i32_e32 v0, v0
	v_add_co_u32 v8, vcc_lo, v1, v4
	v_mul_f32_e32 v7, v5, v0
	s_waitcnt vmcnt(7)
	v_cvt_f32_i32_e32 v0, v9
	s_waitcnt vmcnt(6)
	v_cvt_f32_i32_e32 v5, v13
	;; [unrolled: 2-line block ×3, first 2 shown]
	v_add_co_ci_u32_e64 v9, null, 0, v6, vcc_lo
	v_mul_f32_e32 v0, v7, v0
	v_mul_f32_e32 v4, v7, v5
	s_waitcnt vmcnt(4)
	v_cvt_f32_i32_e32 v2, v2
	s_waitcnt vmcnt(3)
	v_cvt_f32_i32_e32 v6, v11
	v_mul_f32_e32 v1, v7, v10
	s_waitcnt vmcnt(1)
	v_cvt_f32_i32_e32 v11, v14
	v_cvt_f32_i32_e32 v10, v12
	s_waitcnt vmcnt(0)
	v_cvt_f32_i32_e32 v12, v3
	v_mul_f32_e32 v5, v7, v2
	v_mul_f32_e32 v2, v7, v6
	;; [unrolled: 1-line block ×5, first 2 shown]
	global_store_dwordx4 v[8:9], v[0:3], off
	global_store_dwordx4 v[8:9], v[4:7], off offset:64
	s_endpgm
	.section	.rodata,"a",@progbits
	.p2align	6, 0x0
	.amdhsa_kernel _ZL23dequantize_block_iq4_xsIfEvPKvPT_
		.amdhsa_group_segment_fixed_size 0
		.amdhsa_private_segment_fixed_size 0
		.amdhsa_kernarg_size 16
		.amdhsa_user_sgpr_count 6
		.amdhsa_user_sgpr_private_segment_buffer 1
		.amdhsa_user_sgpr_dispatch_ptr 0
		.amdhsa_user_sgpr_queue_ptr 0
		.amdhsa_user_sgpr_kernarg_segment_ptr 1
		.amdhsa_user_sgpr_dispatch_id 0
		.amdhsa_user_sgpr_flat_scratch_init 0
		.amdhsa_user_sgpr_private_segment_size 0
		.amdhsa_wavefront_size32 1
		.amdhsa_uses_dynamic_stack 0
		.amdhsa_system_sgpr_private_segment_wavefront_offset 0
		.amdhsa_system_sgpr_workgroup_id_x 1
		.amdhsa_system_sgpr_workgroup_id_y 0
		.amdhsa_system_sgpr_workgroup_id_z 0
		.amdhsa_system_sgpr_workgroup_info 0
		.amdhsa_system_vgpr_workitem_id 0
		.amdhsa_next_free_vgpr 15
		.amdhsa_next_free_sgpr 8
		.amdhsa_reserve_vcc 1
		.amdhsa_reserve_flat_scratch 0
		.amdhsa_float_round_mode_32 0
		.amdhsa_float_round_mode_16_64 0
		.amdhsa_float_denorm_mode_32 3
		.amdhsa_float_denorm_mode_16_64 3
		.amdhsa_dx10_clamp 1
		.amdhsa_ieee_mode 1
		.amdhsa_fp16_overflow 0
		.amdhsa_workgroup_processor_mode 1
		.amdhsa_memory_ordered 1
		.amdhsa_forward_progress 1
		.amdhsa_shared_vgpr_count 0
		.amdhsa_exception_fp_ieee_invalid_op 0
		.amdhsa_exception_fp_denorm_src 0
		.amdhsa_exception_fp_ieee_div_zero 0
		.amdhsa_exception_fp_ieee_overflow 0
		.amdhsa_exception_fp_ieee_underflow 0
		.amdhsa_exception_fp_ieee_inexact 0
		.amdhsa_exception_int_div_zero 0
	.end_amdhsa_kernel
	.section	.text._ZL23dequantize_block_iq4_xsIfEvPKvPT_,"axG",@progbits,_ZL23dequantize_block_iq4_xsIfEvPKvPT_,comdat
.Lfunc_end17:
	.size	_ZL23dequantize_block_iq4_xsIfEvPKvPT_, .Lfunc_end17-_ZL23dequantize_block_iq4_xsIfEvPKvPT_
                                        ; -- End function
	.set _ZL23dequantize_block_iq4_xsIfEvPKvPT_.num_vgpr, 15
	.set _ZL23dequantize_block_iq4_xsIfEvPKvPT_.num_agpr, 0
	.set _ZL23dequantize_block_iq4_xsIfEvPKvPT_.numbered_sgpr, 8
	.set _ZL23dequantize_block_iq4_xsIfEvPKvPT_.num_named_barrier, 0
	.set _ZL23dequantize_block_iq4_xsIfEvPKvPT_.private_seg_size, 0
	.set _ZL23dequantize_block_iq4_xsIfEvPKvPT_.uses_vcc, 1
	.set _ZL23dequantize_block_iq4_xsIfEvPKvPT_.uses_flat_scratch, 0
	.set _ZL23dequantize_block_iq4_xsIfEvPKvPT_.has_dyn_sized_stack, 0
	.set _ZL23dequantize_block_iq4_xsIfEvPKvPT_.has_recursion, 0
	.set _ZL23dequantize_block_iq4_xsIfEvPKvPT_.has_indirect_call, 0
	.section	.AMDGPU.csdata,"",@progbits
; Kernel info:
; codeLenInByte = 600
; TotalNumSgprs: 10
; NumVgprs: 15
; ScratchSize: 0
; MemoryBound: 0
; FloatMode: 240
; IeeeMode: 1
; LDSByteSize: 0 bytes/workgroup (compile time only)
; SGPRBlocks: 0
; VGPRBlocks: 1
; NumSGPRsForWavesPerEU: 10
; NumVGPRsForWavesPerEU: 15
; Occupancy: 16
; WaveLimiterHint : 0
; COMPUTE_PGM_RSRC2:SCRATCH_EN: 0
; COMPUTE_PGM_RSRC2:USER_SGPR: 6
; COMPUTE_PGM_RSRC2:TRAP_HANDLER: 0
; COMPUTE_PGM_RSRC2:TGID_X_EN: 1
; COMPUTE_PGM_RSRC2:TGID_Y_EN: 0
; COMPUTE_PGM_RSRC2:TGID_Z_EN: 0
; COMPUTE_PGM_RSRC2:TIDIG_COMP_CNT: 0
	.section	.text._ZL22dequantize_block_iq1_mIfEvPKvPT_,"axG",@progbits,_ZL22dequantize_block_iq1_mIfEvPKvPT_,comdat
	.globl	_ZL22dequantize_block_iq1_mIfEvPKvPT_ ; -- Begin function _ZL22dequantize_block_iq1_mIfEvPKvPT_
	.p2align	8
	.type	_ZL22dequantize_block_iq1_mIfEvPKvPT_,@function
_ZL22dequantize_block_iq1_mIfEvPKvPT_:  ; @_ZL22dequantize_block_iq1_mIfEvPKvPT_
; %bb.0:
	s_load_dwordx4 s[0:3], s[4:5], 0x0
	v_and_b32_e32 v5, 7, v0
	s_mov_b32 s7, 0
	v_lshrrev_b32_e32 v1, 3, v0
	s_lshl_b64 s[4:5], s[6:7], 10
	s_mul_hi_u32 s7, s6, 56
	v_lshlrev_b32_e32 v2, 2, v5
	s_mul_i32 s6, s6, 56
	v_lshrrev_b32_e32 v3, 4, v0
	v_lshlrev_b32_e32 v6, 1, v5
	v_mov_b32_e32 v10, 0xbf600000
	v_add_nc_u32_e32 v7, v6, v3
	s_waitcnt lgkmcnt(0)
	s_add_u32 s2, s2, s4
	s_addc_u32 s3, s3, s5
	s_add_u32 s0, s0, s6
	s_addc_u32 s1, s1, s7
	v_add_co_u32 v2, s4, s0, v2
	v_add_co_ci_u32_e64 v4, null, s1, 0, s4
	v_add_co_u32 v1, vcc_lo, v2, v1
	v_add_co_ci_u32_e64 v2, null, 0, v4, vcc_lo
	s_clause 0x1
	global_load_ubyte v8, v[1:2], off
	global_load_ubyte v9, v7, s[0:1] offset:32
	v_add_nc_u16 v1, v6, v3
	v_mov_b32_e32 v2, 0
	v_lshrrev_b32_e32 v6, 1, v0
	v_and_b32_e32 v7, 3, v7
	v_and_b32_e32 v0, 0x3f8, v0
	v_lshrrev_b16 v1, 1, v1
	v_lshlrev_b32_e32 v0, 2, v0
	v_and_b32_e32 v3, 62, v1
	global_load_dwordx2 v[1:2], v2, s[0:1] offset:48
	v_add_co_u32 v3, s0, s0, v3
	v_add_co_ci_u32_e64 v4, null, s1, 0, s0
	s_getpc_b64 s[0:1]
	s_add_u32 s0, s0, _ZL13iq1s_grid_gpu@rel32@lo+4
	s_addc_u32 s1, s1, _ZL13iq1s_grid_gpu@rel32@hi+12
	global_load_ushort v3, v[3:4], off offset:48
	v_and_b32_e32 v4, 4, v6
	s_waitcnt vmcnt(2)
	v_lshrrev_b32_e32 v4, v4, v9
	v_lshlrev_b32_e32 v6, 8, v4
	v_and_b32_e32 v4, 8, v4
	v_and_or_b32 v6, 0x700, v6, v8
	v_lshlrev_b32_e32 v6, 3, v6
	global_load_dword v6, v6, s[0:1]
	s_waitcnt vmcnt(2)
	v_readfirstlane_b32 s1, v1
	v_mul_u32_u24_e32 v1, 3, v7
	v_readfirstlane_b32 s0, v2
	v_lshlrev_b32_e32 v2, 7, v5
	s_bfe_u32 s5, s1, 0x4000c
	s_waitcnt vmcnt(1)
	v_lshrrev_b32_e32 v1, v1, v3
	s_lshr_b32 s1, s1, 24
	s_lshr_b32 s4, s0, 16
	;; [unrolled: 1-line block ×3, first 2 shown]
	s_and_b32 s1, s1, 0xf0
	v_lshlrev_b32_e32 v1, 1, v1
	s_and_b32 s0, s0, 0xf00
	s_or_b32 s1, s1, s5
	s_and_b32 s4, s4, 0xf000
	s_or_b32 s0, s1, s0
	v_add_co_u32 v2, s1, s2, v2
	v_and_or_b32 v1, v1, 14, 1
	v_add_co_ci_u32_e64 v3, null, s3, 0, s1
	s_or_b32 s0, s0, s4
	v_add_co_u32 v8, vcc_lo, v2, v0
	v_cvt_f32_f16_e32 v5, s0
	v_cvt_f32_ubyte0_e32 v1, v1
	v_add_co_ci_u32_e64 v9, null, 0, v3, vcc_lo
	v_cmp_eq_u32_e32 vcc_lo, 0, v4
	v_mul_f32_e32 v7, v5, v1
	v_cndmask_b32_e32 v0, 0xbf900000, v10, vcc_lo
	s_waitcnt vmcnt(0)
	v_and_b32_e32 v1, 0xf000000, v6
	v_and_b32_e32 v2, 15, v6
	v_bfe_u32 v3, v6, 8, 4
	v_bfe_u32 v4, v6, 16, 4
	;; [unrolled: 1-line block ×5, first 2 shown]
	v_lshrrev_b32_e32 v6, 28, v6
	v_cvt_f32_ubyte0_e32 v2, v2
	v_cvt_f32_ubyte0_e32 v3, v3
	;; [unrolled: 1-line block ×3, first 2 shown]
	v_cvt_f32_ubyte3_e32 v1, v1
	v_cvt_f32_ubyte0_e32 v5, v5
	v_cvt_f32_ubyte0_e32 v10, v10
	;; [unrolled: 1-line block ×4, first 2 shown]
	v_add_f32_e32 v2, v0, v2
	v_add_f32_e32 v3, v0, v3
	;; [unrolled: 1-line block ×8, first 2 shown]
	v_mul_f32_e32 v0, v7, v2
	v_mul_f32_e32 v1, v7, v3
	;; [unrolled: 1-line block ×8, first 2 shown]
	global_store_dwordx4 v[8:9], v[0:3], off
	global_store_dwordx4 v[8:9], v[4:7], off offset:16
	s_endpgm
	.section	.rodata,"a",@progbits
	.p2align	6, 0x0
	.amdhsa_kernel _ZL22dequantize_block_iq1_mIfEvPKvPT_
		.amdhsa_group_segment_fixed_size 0
		.amdhsa_private_segment_fixed_size 0
		.amdhsa_kernarg_size 16
		.amdhsa_user_sgpr_count 6
		.amdhsa_user_sgpr_private_segment_buffer 1
		.amdhsa_user_sgpr_dispatch_ptr 0
		.amdhsa_user_sgpr_queue_ptr 0
		.amdhsa_user_sgpr_kernarg_segment_ptr 1
		.amdhsa_user_sgpr_dispatch_id 0
		.amdhsa_user_sgpr_flat_scratch_init 0
		.amdhsa_user_sgpr_private_segment_size 0
		.amdhsa_wavefront_size32 1
		.amdhsa_uses_dynamic_stack 0
		.amdhsa_system_sgpr_private_segment_wavefront_offset 0
		.amdhsa_system_sgpr_workgroup_id_x 1
		.amdhsa_system_sgpr_workgroup_id_y 0
		.amdhsa_system_sgpr_workgroup_id_z 0
		.amdhsa_system_sgpr_workgroup_info 0
		.amdhsa_system_vgpr_workitem_id 0
		.amdhsa_next_free_vgpr 14
		.amdhsa_next_free_sgpr 8
		.amdhsa_reserve_vcc 1
		.amdhsa_reserve_flat_scratch 0
		.amdhsa_float_round_mode_32 0
		.amdhsa_float_round_mode_16_64 0
		.amdhsa_float_denorm_mode_32 3
		.amdhsa_float_denorm_mode_16_64 3
		.amdhsa_dx10_clamp 1
		.amdhsa_ieee_mode 1
		.amdhsa_fp16_overflow 0
		.amdhsa_workgroup_processor_mode 1
		.amdhsa_memory_ordered 1
		.amdhsa_forward_progress 1
		.amdhsa_shared_vgpr_count 0
		.amdhsa_exception_fp_ieee_invalid_op 0
		.amdhsa_exception_fp_denorm_src 0
		.amdhsa_exception_fp_ieee_div_zero 0
		.amdhsa_exception_fp_ieee_overflow 0
		.amdhsa_exception_fp_ieee_underflow 0
		.amdhsa_exception_fp_ieee_inexact 0
		.amdhsa_exception_int_div_zero 0
	.end_amdhsa_kernel
	.section	.text._ZL22dequantize_block_iq1_mIfEvPKvPT_,"axG",@progbits,_ZL22dequantize_block_iq1_mIfEvPKvPT_,comdat
.Lfunc_end18:
	.size	_ZL22dequantize_block_iq1_mIfEvPKvPT_, .Lfunc_end18-_ZL22dequantize_block_iq1_mIfEvPKvPT_
                                        ; -- End function
	.set _ZL22dequantize_block_iq1_mIfEvPKvPT_.num_vgpr, 14
	.set _ZL22dequantize_block_iq1_mIfEvPKvPT_.num_agpr, 0
	.set _ZL22dequantize_block_iq1_mIfEvPKvPT_.numbered_sgpr, 8
	.set _ZL22dequantize_block_iq1_mIfEvPKvPT_.num_named_barrier, 0
	.set _ZL22dequantize_block_iq1_mIfEvPKvPT_.private_seg_size, 0
	.set _ZL22dequantize_block_iq1_mIfEvPKvPT_.uses_vcc, 1
	.set _ZL22dequantize_block_iq1_mIfEvPKvPT_.uses_flat_scratch, 0
	.set _ZL22dequantize_block_iq1_mIfEvPKvPT_.has_dyn_sized_stack, 0
	.set _ZL22dequantize_block_iq1_mIfEvPKvPT_.has_recursion, 0
	.set _ZL22dequantize_block_iq1_mIfEvPKvPT_.has_indirect_call, 0
	.section	.AMDGPU.csdata,"",@progbits
; Kernel info:
; codeLenInByte = 596
; TotalNumSgprs: 10
; NumVgprs: 14
; ScratchSize: 0
; MemoryBound: 0
; FloatMode: 240
; IeeeMode: 1
; LDSByteSize: 0 bytes/workgroup (compile time only)
; SGPRBlocks: 0
; VGPRBlocks: 1
; NumSGPRsForWavesPerEU: 10
; NumVGPRsForWavesPerEU: 14
; Occupancy: 16
; WaveLimiterHint : 0
; COMPUTE_PGM_RSRC2:SCRATCH_EN: 0
; COMPUTE_PGM_RSRC2:USER_SGPR: 6
; COMPUTE_PGM_RSRC2:TRAP_HANDLER: 0
; COMPUTE_PGM_RSRC2:TGID_X_EN: 1
; COMPUTE_PGM_RSRC2:TGID_Y_EN: 0
; COMPUTE_PGM_RSRC2:TGID_Z_EN: 0
; COMPUTE_PGM_RSRC2:TIDIG_COMP_CNT: 0
	.section	.text._ZL16dequantize_blockILi32ELi2EXadL_ZL15dequantize_q4_0PKviiR7__half2EEN3c104HalfEEvS1_PT2_l,"axG",@progbits,_ZL16dequantize_blockILi32ELi2EXadL_ZL15dequantize_q4_0PKviiR7__half2EEN3c104HalfEEvS1_PT2_l,comdat
	.globl	_ZL16dequantize_blockILi32ELi2EXadL_ZL15dequantize_q4_0PKviiR7__half2EEN3c104HalfEEvS1_PT2_l ; -- Begin function _ZL16dequantize_blockILi32ELi2EXadL_ZL15dequantize_q4_0PKviiR7__half2EEN3c104HalfEEvS1_PT2_l
	.p2align	8
	.type	_ZL16dequantize_blockILi32ELi2EXadL_ZL15dequantize_q4_0PKviiR7__half2EEN3c104HalfEEvS1_PT2_l,@function
_ZL16dequantize_blockILi32ELi2EXadL_ZL15dequantize_q4_0PKviiR7__half2EEN3c104HalfEEvS1_PT2_l: ; @_ZL16dequantize_blockILi32ELi2EXadL_ZL15dequantize_q4_0PKviiR7__half2EEN3c104HalfEEvS1_PT2_l
; %bb.0:
	s_clause 0x1
	s_load_dword s2, s[4:5], 0x24
	s_load_dwordx2 s[0:1], s[4:5], 0x10
	v_mov_b32_e32 v1, 0
	s_waitcnt lgkmcnt(0)
	s_and_b32 s2, s2, 0xffff
	v_mad_u64_u32 v[4:5], null, s2, s6, v[0:1]
	v_lshlrev_b64 v[2:3], 1, v[4:5]
	v_cmp_gt_i64_e32 vcc_lo, s[0:1], v[2:3]
	s_and_saveexec_b32 s0, vcc_lo
	s_cbranch_execz .LBB19_2
; %bb.1:
	s_load_dwordx4 s[0:3], s[4:5], 0x0
	v_alignbit_b32 v0, v5, v4, 4
	v_and_b32_e32 v7, 15, v4
	s_waitcnt lgkmcnt(0)
	v_mad_i64_i32 v[5:6], null, v0, 18, s[0:1]
	v_add_co_u32 v3, vcc_lo, v5, v7
	v_add_co_ci_u32_e64 v4, null, 0, v6, vcc_lo
	s_clause 0x1
	global_load_ubyte v0, v[3:4], off offset:2
	global_load_ushort v3, v[5:6], off
	s_waitcnt vmcnt(1)
	v_and_b32_e32 v4, 15, v0
	v_lshrrev_b32_e32 v0, 4, v0
	s_waitcnt vmcnt(0)
	v_lshl_or_b32 v3, v3, 16, v3
	v_cvt_f32_ubyte0_e32 v4, v4
	v_cvt_f32_ubyte0_e32 v5, v0
	v_mov_b32_e32 v0, v1
	v_and_or_b32 v1, 0xffffffe0, v2, v7
	v_cvt_f16_f32_e32 v4, v4
	v_cvt_f16_f32_e32 v5, v5
	v_ashrrev_i64 v[0:1], 31, v[0:1]
	v_pack_b32_f16 v2, v4, v5
	v_add_co_u32 v0, vcc_lo, s2, v0
	v_pk_add_f16 v2, 0xc800, v2 op_sel_hi:[0,1]
	v_add_co_ci_u32_e64 v1, null, s3, v1, vcc_lo
	v_pk_mul_f16 v2, v2, v3
	global_store_short v[0:1], v2, off
	global_store_short_d16_hi v[0:1], v2, off offset:32
.LBB19_2:
	s_endpgm
	.section	.rodata,"a",@progbits
	.p2align	6, 0x0
	.amdhsa_kernel _ZL16dequantize_blockILi32ELi2EXadL_ZL15dequantize_q4_0PKviiR7__half2EEN3c104HalfEEvS1_PT2_l
		.amdhsa_group_segment_fixed_size 0
		.amdhsa_private_segment_fixed_size 0
		.amdhsa_kernarg_size 280
		.amdhsa_user_sgpr_count 6
		.amdhsa_user_sgpr_private_segment_buffer 1
		.amdhsa_user_sgpr_dispatch_ptr 0
		.amdhsa_user_sgpr_queue_ptr 0
		.amdhsa_user_sgpr_kernarg_segment_ptr 1
		.amdhsa_user_sgpr_dispatch_id 0
		.amdhsa_user_sgpr_flat_scratch_init 0
		.amdhsa_user_sgpr_private_segment_size 0
		.amdhsa_wavefront_size32 1
		.amdhsa_uses_dynamic_stack 0
		.amdhsa_system_sgpr_private_segment_wavefront_offset 0
		.amdhsa_system_sgpr_workgroup_id_x 1
		.amdhsa_system_sgpr_workgroup_id_y 0
		.amdhsa_system_sgpr_workgroup_id_z 0
		.amdhsa_system_sgpr_workgroup_info 0
		.amdhsa_system_vgpr_workitem_id 0
		.amdhsa_next_free_vgpr 8
		.amdhsa_next_free_sgpr 7
		.amdhsa_reserve_vcc 1
		.amdhsa_reserve_flat_scratch 0
		.amdhsa_float_round_mode_32 0
		.amdhsa_float_round_mode_16_64 0
		.amdhsa_float_denorm_mode_32 3
		.amdhsa_float_denorm_mode_16_64 3
		.amdhsa_dx10_clamp 1
		.amdhsa_ieee_mode 1
		.amdhsa_fp16_overflow 0
		.amdhsa_workgroup_processor_mode 1
		.amdhsa_memory_ordered 1
		.amdhsa_forward_progress 1
		.amdhsa_shared_vgpr_count 0
		.amdhsa_exception_fp_ieee_invalid_op 0
		.amdhsa_exception_fp_denorm_src 0
		.amdhsa_exception_fp_ieee_div_zero 0
		.amdhsa_exception_fp_ieee_overflow 0
		.amdhsa_exception_fp_ieee_underflow 0
		.amdhsa_exception_fp_ieee_inexact 0
		.amdhsa_exception_int_div_zero 0
	.end_amdhsa_kernel
	.section	.text._ZL16dequantize_blockILi32ELi2EXadL_ZL15dequantize_q4_0PKviiR7__half2EEN3c104HalfEEvS1_PT2_l,"axG",@progbits,_ZL16dequantize_blockILi32ELi2EXadL_ZL15dequantize_q4_0PKviiR7__half2EEN3c104HalfEEvS1_PT2_l,comdat
.Lfunc_end19:
	.size	_ZL16dequantize_blockILi32ELi2EXadL_ZL15dequantize_q4_0PKviiR7__half2EEN3c104HalfEEvS1_PT2_l, .Lfunc_end19-_ZL16dequantize_blockILi32ELi2EXadL_ZL15dequantize_q4_0PKviiR7__half2EEN3c104HalfEEvS1_PT2_l
                                        ; -- End function
	.set _ZL16dequantize_blockILi32ELi2EXadL_ZL15dequantize_q4_0PKviiR7__half2EEN3c104HalfEEvS1_PT2_l.num_vgpr, 8
	.set _ZL16dequantize_blockILi32ELi2EXadL_ZL15dequantize_q4_0PKviiR7__half2EEN3c104HalfEEvS1_PT2_l.num_agpr, 0
	.set _ZL16dequantize_blockILi32ELi2EXadL_ZL15dequantize_q4_0PKviiR7__half2EEN3c104HalfEEvS1_PT2_l.numbered_sgpr, 7
	.set _ZL16dequantize_blockILi32ELi2EXadL_ZL15dequantize_q4_0PKviiR7__half2EEN3c104HalfEEvS1_PT2_l.num_named_barrier, 0
	.set _ZL16dequantize_blockILi32ELi2EXadL_ZL15dequantize_q4_0PKviiR7__half2EEN3c104HalfEEvS1_PT2_l.private_seg_size, 0
	.set _ZL16dequantize_blockILi32ELi2EXadL_ZL15dequantize_q4_0PKviiR7__half2EEN3c104HalfEEvS1_PT2_l.uses_vcc, 1
	.set _ZL16dequantize_blockILi32ELi2EXadL_ZL15dequantize_q4_0PKviiR7__half2EEN3c104HalfEEvS1_PT2_l.uses_flat_scratch, 0
	.set _ZL16dequantize_blockILi32ELi2EXadL_ZL15dequantize_q4_0PKviiR7__half2EEN3c104HalfEEvS1_PT2_l.has_dyn_sized_stack, 0
	.set _ZL16dequantize_blockILi32ELi2EXadL_ZL15dequantize_q4_0PKviiR7__half2EEN3c104HalfEEvS1_PT2_l.has_recursion, 0
	.set _ZL16dequantize_blockILi32ELi2EXadL_ZL15dequantize_q4_0PKviiR7__half2EEN3c104HalfEEvS1_PT2_l.has_indirect_call, 0
	.section	.AMDGPU.csdata,"",@progbits
; Kernel info:
; codeLenInByte = 260
; TotalNumSgprs: 9
; NumVgprs: 8
; ScratchSize: 0
; MemoryBound: 0
; FloatMode: 240
; IeeeMode: 1
; LDSByteSize: 0 bytes/workgroup (compile time only)
; SGPRBlocks: 0
; VGPRBlocks: 0
; NumSGPRsForWavesPerEU: 9
; NumVGPRsForWavesPerEU: 8
; Occupancy: 16
; WaveLimiterHint : 0
; COMPUTE_PGM_RSRC2:SCRATCH_EN: 0
; COMPUTE_PGM_RSRC2:USER_SGPR: 6
; COMPUTE_PGM_RSRC2:TRAP_HANDLER: 0
; COMPUTE_PGM_RSRC2:TGID_X_EN: 1
; COMPUTE_PGM_RSRC2:TGID_Y_EN: 0
; COMPUTE_PGM_RSRC2:TGID_Z_EN: 0
; COMPUTE_PGM_RSRC2:TIDIG_COMP_CNT: 0
	.section	.text._ZL16dequantize_blockILi32ELi2EXadL_ZL15dequantize_q4_1PKviiR7__half2EEN3c104HalfEEvS1_PT2_l,"axG",@progbits,_ZL16dequantize_blockILi32ELi2EXadL_ZL15dequantize_q4_1PKviiR7__half2EEN3c104HalfEEvS1_PT2_l,comdat
	.globl	_ZL16dequantize_blockILi32ELi2EXadL_ZL15dequantize_q4_1PKviiR7__half2EEN3c104HalfEEvS1_PT2_l ; -- Begin function _ZL16dequantize_blockILi32ELi2EXadL_ZL15dequantize_q4_1PKviiR7__half2EEN3c104HalfEEvS1_PT2_l
	.p2align	8
	.type	_ZL16dequantize_blockILi32ELi2EXadL_ZL15dequantize_q4_1PKviiR7__half2EEN3c104HalfEEvS1_PT2_l,@function
_ZL16dequantize_blockILi32ELi2EXadL_ZL15dequantize_q4_1PKviiR7__half2EEN3c104HalfEEvS1_PT2_l: ; @_ZL16dequantize_blockILi32ELi2EXadL_ZL15dequantize_q4_1PKviiR7__half2EEN3c104HalfEEvS1_PT2_l
; %bb.0:
	s_clause 0x1
	s_load_dword s2, s[4:5], 0x24
	s_load_dwordx2 s[0:1], s[4:5], 0x10
	v_mov_b32_e32 v1, 0
	s_waitcnt lgkmcnt(0)
	s_and_b32 s2, s2, 0xffff
	v_mad_u64_u32 v[4:5], null, s2, s6, v[0:1]
	v_lshlrev_b64 v[2:3], 1, v[4:5]
	v_cmp_gt_i64_e32 vcc_lo, s[0:1], v[2:3]
	s_and_saveexec_b32 s0, vcc_lo
	s_cbranch_execz .LBB20_2
; %bb.1:
	s_load_dwordx4 s[0:3], s[4:5], 0x0
	v_alignbit_b32 v0, v5, v4, 4
	v_and_b32_e32 v7, 15, v4
	s_waitcnt lgkmcnt(0)
	v_mad_i64_i32 v[5:6], null, v0, 20, s[0:1]
	v_add_co_u32 v3, vcc_lo, v5, v7
	v_add_co_ci_u32_e64 v4, null, 0, v6, vcc_lo
	s_clause 0x1
	global_load_ubyte v0, v[3:4], off offset:4
	global_load_dword v3, v[5:6], off
	s_waitcnt vmcnt(1)
	v_and_b32_e32 v4, 15, v0
	v_lshrrev_b32_e32 v5, 4, v0
	v_mov_b32_e32 v0, v1
	v_and_or_b32 v1, 0xffffffe0, v2, v7
	v_mov_b32_e32 v2, 0x10001
	v_cvt_f32_ubyte0_e32 v4, v4
	v_cvt_f32_ubyte0_e32 v5, v5
	s_waitcnt vmcnt(0)
	v_lshrrev_b32_e32 v6, 16, v3
	v_ashrrev_i64 v[0:1], 31, v[0:1]
	v_mul_u32_u24_sdwa v2, v3, v2 dst_sel:DWORD dst_unused:UNUSED_PAD src0_sel:WORD_0 src1_sel:DWORD
	v_cvt_f16_f32_e32 v4, v4
	v_cvt_f16_f32_e32 v5, v5
	v_and_or_b32 v3, 0xffff0000, v3, v6
	v_add_co_u32 v0, vcc_lo, s2, v0
	v_pack_b32_f16 v4, v4, v5
	v_add_co_ci_u32_e64 v1, null, s3, v1, vcc_lo
	v_pk_fma_f16 v2, v4, v2, v3
	global_store_short v[0:1], v2, off
	global_store_short_d16_hi v[0:1], v2, off offset:32
.LBB20_2:
	s_endpgm
	.section	.rodata,"a",@progbits
	.p2align	6, 0x0
	.amdhsa_kernel _ZL16dequantize_blockILi32ELi2EXadL_ZL15dequantize_q4_1PKviiR7__half2EEN3c104HalfEEvS1_PT2_l
		.amdhsa_group_segment_fixed_size 0
		.amdhsa_private_segment_fixed_size 0
		.amdhsa_kernarg_size 280
		.amdhsa_user_sgpr_count 6
		.amdhsa_user_sgpr_private_segment_buffer 1
		.amdhsa_user_sgpr_dispatch_ptr 0
		.amdhsa_user_sgpr_queue_ptr 0
		.amdhsa_user_sgpr_kernarg_segment_ptr 1
		.amdhsa_user_sgpr_dispatch_id 0
		.amdhsa_user_sgpr_flat_scratch_init 0
		.amdhsa_user_sgpr_private_segment_size 0
		.amdhsa_wavefront_size32 1
		.amdhsa_uses_dynamic_stack 0
		.amdhsa_system_sgpr_private_segment_wavefront_offset 0
		.amdhsa_system_sgpr_workgroup_id_x 1
		.amdhsa_system_sgpr_workgroup_id_y 0
		.amdhsa_system_sgpr_workgroup_id_z 0
		.amdhsa_system_sgpr_workgroup_info 0
		.amdhsa_system_vgpr_workitem_id 0
		.amdhsa_next_free_vgpr 8
		.amdhsa_next_free_sgpr 7
		.amdhsa_reserve_vcc 1
		.amdhsa_reserve_flat_scratch 0
		.amdhsa_float_round_mode_32 0
		.amdhsa_float_round_mode_16_64 0
		.amdhsa_float_denorm_mode_32 3
		.amdhsa_float_denorm_mode_16_64 3
		.amdhsa_dx10_clamp 1
		.amdhsa_ieee_mode 1
		.amdhsa_fp16_overflow 0
		.amdhsa_workgroup_processor_mode 1
		.amdhsa_memory_ordered 1
		.amdhsa_forward_progress 1
		.amdhsa_shared_vgpr_count 0
		.amdhsa_exception_fp_ieee_invalid_op 0
		.amdhsa_exception_fp_denorm_src 0
		.amdhsa_exception_fp_ieee_div_zero 0
		.amdhsa_exception_fp_ieee_overflow 0
		.amdhsa_exception_fp_ieee_underflow 0
		.amdhsa_exception_fp_ieee_inexact 0
		.amdhsa_exception_int_div_zero 0
	.end_amdhsa_kernel
	.section	.text._ZL16dequantize_blockILi32ELi2EXadL_ZL15dequantize_q4_1PKviiR7__half2EEN3c104HalfEEvS1_PT2_l,"axG",@progbits,_ZL16dequantize_blockILi32ELi2EXadL_ZL15dequantize_q4_1PKviiR7__half2EEN3c104HalfEEvS1_PT2_l,comdat
.Lfunc_end20:
	.size	_ZL16dequantize_blockILi32ELi2EXadL_ZL15dequantize_q4_1PKviiR7__half2EEN3c104HalfEEvS1_PT2_l, .Lfunc_end20-_ZL16dequantize_blockILi32ELi2EXadL_ZL15dequantize_q4_1PKviiR7__half2EEN3c104HalfEEvS1_PT2_l
                                        ; -- End function
	.set _ZL16dequantize_blockILi32ELi2EXadL_ZL15dequantize_q4_1PKviiR7__half2EEN3c104HalfEEvS1_PT2_l.num_vgpr, 8
	.set _ZL16dequantize_blockILi32ELi2EXadL_ZL15dequantize_q4_1PKviiR7__half2EEN3c104HalfEEvS1_PT2_l.num_agpr, 0
	.set _ZL16dequantize_blockILi32ELi2EXadL_ZL15dequantize_q4_1PKviiR7__half2EEN3c104HalfEEvS1_PT2_l.numbered_sgpr, 7
	.set _ZL16dequantize_blockILi32ELi2EXadL_ZL15dequantize_q4_1PKviiR7__half2EEN3c104HalfEEvS1_PT2_l.num_named_barrier, 0
	.set _ZL16dequantize_blockILi32ELi2EXadL_ZL15dequantize_q4_1PKviiR7__half2EEN3c104HalfEEvS1_PT2_l.private_seg_size, 0
	.set _ZL16dequantize_blockILi32ELi2EXadL_ZL15dequantize_q4_1PKviiR7__half2EEN3c104HalfEEvS1_PT2_l.uses_vcc, 1
	.set _ZL16dequantize_blockILi32ELi2EXadL_ZL15dequantize_q4_1PKviiR7__half2EEN3c104HalfEEvS1_PT2_l.uses_flat_scratch, 0
	.set _ZL16dequantize_blockILi32ELi2EXadL_ZL15dequantize_q4_1PKviiR7__half2EEN3c104HalfEEvS1_PT2_l.has_dyn_sized_stack, 0
	.set _ZL16dequantize_blockILi32ELi2EXadL_ZL15dequantize_q4_1PKviiR7__half2EEN3c104HalfEEvS1_PT2_l.has_recursion, 0
	.set _ZL16dequantize_blockILi32ELi2EXadL_ZL15dequantize_q4_1PKviiR7__half2EEN3c104HalfEEvS1_PT2_l.has_indirect_call, 0
	.section	.AMDGPU.csdata,"",@progbits
; Kernel info:
; codeLenInByte = 272
; TotalNumSgprs: 9
; NumVgprs: 8
; ScratchSize: 0
; MemoryBound: 0
; FloatMode: 240
; IeeeMode: 1
; LDSByteSize: 0 bytes/workgroup (compile time only)
; SGPRBlocks: 0
; VGPRBlocks: 0
; NumSGPRsForWavesPerEU: 9
; NumVGPRsForWavesPerEU: 8
; Occupancy: 16
; WaveLimiterHint : 0
; COMPUTE_PGM_RSRC2:SCRATCH_EN: 0
; COMPUTE_PGM_RSRC2:USER_SGPR: 6
; COMPUTE_PGM_RSRC2:TRAP_HANDLER: 0
; COMPUTE_PGM_RSRC2:TGID_X_EN: 1
; COMPUTE_PGM_RSRC2:TGID_Y_EN: 0
; COMPUTE_PGM_RSRC2:TGID_Z_EN: 0
; COMPUTE_PGM_RSRC2:TIDIG_COMP_CNT: 0
	.section	.text._ZL16dequantize_blockILi32ELi2EXadL_ZL15dequantize_q5_0PKviiR7__half2EEN3c104HalfEEvS1_PT2_l,"axG",@progbits,_ZL16dequantize_blockILi32ELi2EXadL_ZL15dequantize_q5_0PKviiR7__half2EEN3c104HalfEEvS1_PT2_l,comdat
	.globl	_ZL16dequantize_blockILi32ELi2EXadL_ZL15dequantize_q5_0PKviiR7__half2EEN3c104HalfEEvS1_PT2_l ; -- Begin function _ZL16dequantize_blockILi32ELi2EXadL_ZL15dequantize_q5_0PKviiR7__half2EEN3c104HalfEEvS1_PT2_l
	.p2align	8
	.type	_ZL16dequantize_blockILi32ELi2EXadL_ZL15dequantize_q5_0PKviiR7__half2EEN3c104HalfEEvS1_PT2_l,@function
_ZL16dequantize_blockILi32ELi2EXadL_ZL15dequantize_q5_0PKviiR7__half2EEN3c104HalfEEvS1_PT2_l: ; @_ZL16dequantize_blockILi32ELi2EXadL_ZL15dequantize_q5_0PKviiR7__half2EEN3c104HalfEEvS1_PT2_l
; %bb.0:
	s_clause 0x1
	s_load_dword s2, s[4:5], 0x24
	s_load_dwordx2 s[0:1], s[4:5], 0x10
	v_mov_b32_e32 v1, 0
	s_waitcnt lgkmcnt(0)
	s_and_b32 s2, s2, 0xffff
	v_mad_u64_u32 v[2:3], null, s2, s6, v[0:1]
	v_lshlrev_b64 v[0:1], 1, v[2:3]
	v_cmp_gt_i64_e32 vcc_lo, s[0:1], v[0:1]
	s_and_saveexec_b32 s0, vcc_lo
	s_cbranch_execz .LBB21_2
; %bb.1:
	s_load_dwordx4 s[0:3], s[4:5], 0x0
	v_alignbit_b32 v1, v3, v2, 4
	v_and_b32_e32 v5, 15, v2
	v_and_or_b32 v0, 0xffffffe0, v0, v5
	s_waitcnt lgkmcnt(0)
	v_mad_i64_i32 v[3:4], null, v1, 22, s[0:1]
	s_clause 0x1
	global_load_dword v6, v[3:4], off
	global_load_ushort v7, v[3:4], off offset:4
	v_add_co_u32 v1, vcc_lo, v3, v5
	v_add_co_ci_u32_e64 v2, null, 0, v4, vcc_lo
	v_add_nc_u32_e32 v3, 12, v5
	global_load_ubyte v1, v[1:2], off offset:6
	s_waitcnt vmcnt(1)
	v_perm_b32 v2, v6, v7, 0x1000706
	v_lshrrev_b32_e32 v4, v5, v2
	v_lshrrev_b32_e32 v2, v3, v2
	s_waitcnt vmcnt(0)
	v_and_b32_e32 v3, 15, v1
	v_lshrrev_b16 v1, 4, v1
	v_lshlrev_b32_e32 v4, 4, v4
	v_and_or_b32 v1, v2, 16, v1
	v_and_or_b32 v2, v4, 16, v3
	v_and_b32_e32 v4, 0xffff, v6
	v_cvt_f32_ubyte0_e32 v1, v1
	v_cvt_f32_ubyte0_e32 v2, v2
	v_cvt_f16_f32_e32 v3, v1
	v_cvt_f16_f32_e32 v2, v2
	v_ashrrev_i32_e32 v1, 31, v0
	v_pack_b32_f16 v2, v2, v3
	v_lshlrev_b64 v[0:1], 1, v[0:1]
	v_lshl_or_b32 v3, v6, 16, v4
	v_pk_add_f16 v2, 0xcc00, v2 op_sel_hi:[0,1]
	v_add_co_u32 v0, vcc_lo, s2, v0
	v_add_co_ci_u32_e64 v1, null, s3, v1, vcc_lo
	v_pk_mul_f16 v2, v2, v3
	global_store_short v[0:1], v2, off
	global_store_short_d16_hi v[0:1], v2, off offset:32
.LBB21_2:
	s_endpgm
	.section	.rodata,"a",@progbits
	.p2align	6, 0x0
	.amdhsa_kernel _ZL16dequantize_blockILi32ELi2EXadL_ZL15dequantize_q5_0PKviiR7__half2EEN3c104HalfEEvS1_PT2_l
		.amdhsa_group_segment_fixed_size 0
		.amdhsa_private_segment_fixed_size 0
		.amdhsa_kernarg_size 280
		.amdhsa_user_sgpr_count 6
		.amdhsa_user_sgpr_private_segment_buffer 1
		.amdhsa_user_sgpr_dispatch_ptr 0
		.amdhsa_user_sgpr_queue_ptr 0
		.amdhsa_user_sgpr_kernarg_segment_ptr 1
		.amdhsa_user_sgpr_dispatch_id 0
		.amdhsa_user_sgpr_flat_scratch_init 0
		.amdhsa_user_sgpr_private_segment_size 0
		.amdhsa_wavefront_size32 1
		.amdhsa_uses_dynamic_stack 0
		.amdhsa_system_sgpr_private_segment_wavefront_offset 0
		.amdhsa_system_sgpr_workgroup_id_x 1
		.amdhsa_system_sgpr_workgroup_id_y 0
		.amdhsa_system_sgpr_workgroup_id_z 0
		.amdhsa_system_sgpr_workgroup_info 0
		.amdhsa_system_vgpr_workitem_id 0
		.amdhsa_next_free_vgpr 8
		.amdhsa_next_free_sgpr 7
		.amdhsa_reserve_vcc 1
		.amdhsa_reserve_flat_scratch 0
		.amdhsa_float_round_mode_32 0
		.amdhsa_float_round_mode_16_64 0
		.amdhsa_float_denorm_mode_32 3
		.amdhsa_float_denorm_mode_16_64 3
		.amdhsa_dx10_clamp 1
		.amdhsa_ieee_mode 1
		.amdhsa_fp16_overflow 0
		.amdhsa_workgroup_processor_mode 1
		.amdhsa_memory_ordered 1
		.amdhsa_forward_progress 1
		.amdhsa_shared_vgpr_count 0
		.amdhsa_exception_fp_ieee_invalid_op 0
		.amdhsa_exception_fp_denorm_src 0
		.amdhsa_exception_fp_ieee_div_zero 0
		.amdhsa_exception_fp_ieee_overflow 0
		.amdhsa_exception_fp_ieee_underflow 0
		.amdhsa_exception_fp_ieee_inexact 0
		.amdhsa_exception_int_div_zero 0
	.end_amdhsa_kernel
	.section	.text._ZL16dequantize_blockILi32ELi2EXadL_ZL15dequantize_q5_0PKviiR7__half2EEN3c104HalfEEvS1_PT2_l,"axG",@progbits,_ZL16dequantize_blockILi32ELi2EXadL_ZL15dequantize_q5_0PKviiR7__half2EEN3c104HalfEEvS1_PT2_l,comdat
.Lfunc_end21:
	.size	_ZL16dequantize_blockILi32ELi2EXadL_ZL15dequantize_q5_0PKviiR7__half2EEN3c104HalfEEvS1_PT2_l, .Lfunc_end21-_ZL16dequantize_blockILi32ELi2EXadL_ZL15dequantize_q5_0PKviiR7__half2EEN3c104HalfEEvS1_PT2_l
                                        ; -- End function
	.set _ZL16dequantize_blockILi32ELi2EXadL_ZL15dequantize_q5_0PKviiR7__half2EEN3c104HalfEEvS1_PT2_l.num_vgpr, 8
	.set _ZL16dequantize_blockILi32ELi2EXadL_ZL15dequantize_q5_0PKviiR7__half2EEN3c104HalfEEvS1_PT2_l.num_agpr, 0
	.set _ZL16dequantize_blockILi32ELi2EXadL_ZL15dequantize_q5_0PKviiR7__half2EEN3c104HalfEEvS1_PT2_l.numbered_sgpr, 7
	.set _ZL16dequantize_blockILi32ELi2EXadL_ZL15dequantize_q5_0PKviiR7__half2EEN3c104HalfEEvS1_PT2_l.num_named_barrier, 0
	.set _ZL16dequantize_blockILi32ELi2EXadL_ZL15dequantize_q5_0PKviiR7__half2EEN3c104HalfEEvS1_PT2_l.private_seg_size, 0
	.set _ZL16dequantize_blockILi32ELi2EXadL_ZL15dequantize_q5_0PKviiR7__half2EEN3c104HalfEEvS1_PT2_l.uses_vcc, 1
	.set _ZL16dequantize_blockILi32ELi2EXadL_ZL15dequantize_q5_0PKviiR7__half2EEN3c104HalfEEvS1_PT2_l.uses_flat_scratch, 0
	.set _ZL16dequantize_blockILi32ELi2EXadL_ZL15dequantize_q5_0PKviiR7__half2EEN3c104HalfEEvS1_PT2_l.has_dyn_sized_stack, 0
	.set _ZL16dequantize_blockILi32ELi2EXadL_ZL15dequantize_q5_0PKviiR7__half2EEN3c104HalfEEvS1_PT2_l.has_recursion, 0
	.set _ZL16dequantize_blockILi32ELi2EXadL_ZL15dequantize_q5_0PKviiR7__half2EEN3c104HalfEEvS1_PT2_l.has_indirect_call, 0
	.section	.AMDGPU.csdata,"",@progbits
; Kernel info:
; codeLenInByte = 324
; TotalNumSgprs: 9
; NumVgprs: 8
; ScratchSize: 0
; MemoryBound: 0
; FloatMode: 240
; IeeeMode: 1
; LDSByteSize: 0 bytes/workgroup (compile time only)
; SGPRBlocks: 0
; VGPRBlocks: 0
; NumSGPRsForWavesPerEU: 9
; NumVGPRsForWavesPerEU: 8
; Occupancy: 16
; WaveLimiterHint : 0
; COMPUTE_PGM_RSRC2:SCRATCH_EN: 0
; COMPUTE_PGM_RSRC2:USER_SGPR: 6
; COMPUTE_PGM_RSRC2:TRAP_HANDLER: 0
; COMPUTE_PGM_RSRC2:TGID_X_EN: 1
; COMPUTE_PGM_RSRC2:TGID_Y_EN: 0
; COMPUTE_PGM_RSRC2:TGID_Z_EN: 0
; COMPUTE_PGM_RSRC2:TIDIG_COMP_CNT: 0
	.section	.text._ZL16dequantize_blockILi32ELi2EXadL_ZL15dequantize_q5_1PKviiR7__half2EEN3c104HalfEEvS1_PT2_l,"axG",@progbits,_ZL16dequantize_blockILi32ELi2EXadL_ZL15dequantize_q5_1PKviiR7__half2EEN3c104HalfEEvS1_PT2_l,comdat
	.globl	_ZL16dequantize_blockILi32ELi2EXadL_ZL15dequantize_q5_1PKviiR7__half2EEN3c104HalfEEvS1_PT2_l ; -- Begin function _ZL16dequantize_blockILi32ELi2EXadL_ZL15dequantize_q5_1PKviiR7__half2EEN3c104HalfEEvS1_PT2_l
	.p2align	8
	.type	_ZL16dequantize_blockILi32ELi2EXadL_ZL15dequantize_q5_1PKviiR7__half2EEN3c104HalfEEvS1_PT2_l,@function
_ZL16dequantize_blockILi32ELi2EXadL_ZL15dequantize_q5_1PKviiR7__half2EEN3c104HalfEEvS1_PT2_l: ; @_ZL16dequantize_blockILi32ELi2EXadL_ZL15dequantize_q5_1PKviiR7__half2EEN3c104HalfEEvS1_PT2_l
; %bb.0:
	s_clause 0x1
	s_load_dword s2, s[4:5], 0x24
	s_load_dwordx2 s[0:1], s[4:5], 0x10
	v_mov_b32_e32 v1, 0
	s_waitcnt lgkmcnt(0)
	s_and_b32 s2, s2, 0xffff
	v_mad_u64_u32 v[2:3], null, s2, s6, v[0:1]
	v_lshlrev_b64 v[0:1], 1, v[2:3]
	v_cmp_gt_i64_e32 vcc_lo, s[0:1], v[0:1]
	s_and_saveexec_b32 s0, vcc_lo
	s_cbranch_execz .LBB22_2
; %bb.1:
	s_load_dwordx4 s[0:3], s[4:5], 0x0
	v_alignbit_b32 v1, v3, v2, 4
	v_and_b32_e32 v5, 15, v2
	s_waitcnt lgkmcnt(0)
	v_mad_i64_i32 v[3:4], null, v1, 24, s[0:1]
	global_load_dwordx2 v[1:2], v[3:4], off
	v_add_co_u32 v3, vcc_lo, v3, v5
	v_add_co_ci_u32_e64 v4, null, 0, v4, vcc_lo
	global_load_ubyte v3, v[3:4], off offset:8
	v_add_nc_u32_e32 v4, 12, v5
	s_waitcnt vmcnt(1)
	v_lshrrev_b32_e32 v6, v5, v2
	v_lshrrev_b32_e32 v2, v4, v2
	v_lshlrev_b32_e32 v4, 4, v6
	s_waitcnt vmcnt(0)
	v_and_b32_e32 v6, 15, v3
	v_lshrrev_b16 v3, 4, v3
	v_and_or_b32 v4, v4, 16, v6
	v_and_or_b32 v3, v2, 16, v3
	;; [unrolled: 1-line block ×3, first 2 shown]
	v_mov_b32_e32 v5, 0x10001
	v_lshrrev_b32_e32 v6, 16, v1
	v_cvt_f32_ubyte0_e32 v0, v4
	v_cvt_f32_ubyte0_e32 v4, v3
	v_ashrrev_i32_e32 v3, 31, v2
	v_mul_u32_u24_sdwa v5, v1, v5 dst_sel:DWORD dst_unused:UNUSED_PAD src0_sel:WORD_0 src1_sel:DWORD
	v_and_or_b32 v6, 0xffff0000, v1, v6
	v_cvt_f16_f32_e32 v0, v0
	v_cvt_f16_f32_e32 v4, v4
	v_lshlrev_b64 v[2:3], 1, v[2:3]
	v_pack_b32_f16 v4, v0, v4
	v_add_co_u32 v0, vcc_lo, s2, v2
	v_add_co_ci_u32_e64 v1, null, s3, v3, vcc_lo
	v_pk_fma_f16 v2, v4, v5, v6
	global_store_short v[0:1], v2, off
	global_store_short_d16_hi v[0:1], v2, off offset:32
.LBB22_2:
	s_endpgm
	.section	.rodata,"a",@progbits
	.p2align	6, 0x0
	.amdhsa_kernel _ZL16dequantize_blockILi32ELi2EXadL_ZL15dequantize_q5_1PKviiR7__half2EEN3c104HalfEEvS1_PT2_l
		.amdhsa_group_segment_fixed_size 0
		.amdhsa_private_segment_fixed_size 0
		.amdhsa_kernarg_size 280
		.amdhsa_user_sgpr_count 6
		.amdhsa_user_sgpr_private_segment_buffer 1
		.amdhsa_user_sgpr_dispatch_ptr 0
		.amdhsa_user_sgpr_queue_ptr 0
		.amdhsa_user_sgpr_kernarg_segment_ptr 1
		.amdhsa_user_sgpr_dispatch_id 0
		.amdhsa_user_sgpr_flat_scratch_init 0
		.amdhsa_user_sgpr_private_segment_size 0
		.amdhsa_wavefront_size32 1
		.amdhsa_uses_dynamic_stack 0
		.amdhsa_system_sgpr_private_segment_wavefront_offset 0
		.amdhsa_system_sgpr_workgroup_id_x 1
		.amdhsa_system_sgpr_workgroup_id_y 0
		.amdhsa_system_sgpr_workgroup_id_z 0
		.amdhsa_system_sgpr_workgroup_info 0
		.amdhsa_system_vgpr_workitem_id 0
		.amdhsa_next_free_vgpr 7
		.amdhsa_next_free_sgpr 7
		.amdhsa_reserve_vcc 1
		.amdhsa_reserve_flat_scratch 0
		.amdhsa_float_round_mode_32 0
		.amdhsa_float_round_mode_16_64 0
		.amdhsa_float_denorm_mode_32 3
		.amdhsa_float_denorm_mode_16_64 3
		.amdhsa_dx10_clamp 1
		.amdhsa_ieee_mode 1
		.amdhsa_fp16_overflow 0
		.amdhsa_workgroup_processor_mode 1
		.amdhsa_memory_ordered 1
		.amdhsa_forward_progress 1
		.amdhsa_shared_vgpr_count 0
		.amdhsa_exception_fp_ieee_invalid_op 0
		.amdhsa_exception_fp_denorm_src 0
		.amdhsa_exception_fp_ieee_div_zero 0
		.amdhsa_exception_fp_ieee_overflow 0
		.amdhsa_exception_fp_ieee_underflow 0
		.amdhsa_exception_fp_ieee_inexact 0
		.amdhsa_exception_int_div_zero 0
	.end_amdhsa_kernel
	.section	.text._ZL16dequantize_blockILi32ELi2EXadL_ZL15dequantize_q5_1PKviiR7__half2EEN3c104HalfEEvS1_PT2_l,"axG",@progbits,_ZL16dequantize_blockILi32ELi2EXadL_ZL15dequantize_q5_1PKviiR7__half2EEN3c104HalfEEvS1_PT2_l,comdat
.Lfunc_end22:
	.size	_ZL16dequantize_blockILi32ELi2EXadL_ZL15dequantize_q5_1PKviiR7__half2EEN3c104HalfEEvS1_PT2_l, .Lfunc_end22-_ZL16dequantize_blockILi32ELi2EXadL_ZL15dequantize_q5_1PKviiR7__half2EEN3c104HalfEEvS1_PT2_l
                                        ; -- End function
	.set _ZL16dequantize_blockILi32ELi2EXadL_ZL15dequantize_q5_1PKviiR7__half2EEN3c104HalfEEvS1_PT2_l.num_vgpr, 7
	.set _ZL16dequantize_blockILi32ELi2EXadL_ZL15dequantize_q5_1PKviiR7__half2EEN3c104HalfEEvS1_PT2_l.num_agpr, 0
	.set _ZL16dequantize_blockILi32ELi2EXadL_ZL15dequantize_q5_1PKviiR7__half2EEN3c104HalfEEvS1_PT2_l.numbered_sgpr, 7
	.set _ZL16dequantize_blockILi32ELi2EXadL_ZL15dequantize_q5_1PKviiR7__half2EEN3c104HalfEEvS1_PT2_l.num_named_barrier, 0
	.set _ZL16dequantize_blockILi32ELi2EXadL_ZL15dequantize_q5_1PKviiR7__half2EEN3c104HalfEEvS1_PT2_l.private_seg_size, 0
	.set _ZL16dequantize_blockILi32ELi2EXadL_ZL15dequantize_q5_1PKviiR7__half2EEN3c104HalfEEvS1_PT2_l.uses_vcc, 1
	.set _ZL16dequantize_blockILi32ELi2EXadL_ZL15dequantize_q5_1PKviiR7__half2EEN3c104HalfEEvS1_PT2_l.uses_flat_scratch, 0
	.set _ZL16dequantize_blockILi32ELi2EXadL_ZL15dequantize_q5_1PKviiR7__half2EEN3c104HalfEEvS1_PT2_l.has_dyn_sized_stack, 0
	.set _ZL16dequantize_blockILi32ELi2EXadL_ZL15dequantize_q5_1PKviiR7__half2EEN3c104HalfEEvS1_PT2_l.has_recursion, 0
	.set _ZL16dequantize_blockILi32ELi2EXadL_ZL15dequantize_q5_1PKviiR7__half2EEN3c104HalfEEvS1_PT2_l.has_indirect_call, 0
	.section	.AMDGPU.csdata,"",@progbits
; Kernel info:
; codeLenInByte = 304
; TotalNumSgprs: 9
; NumVgprs: 7
; ScratchSize: 0
; MemoryBound: 0
; FloatMode: 240
; IeeeMode: 1
; LDSByteSize: 0 bytes/workgroup (compile time only)
; SGPRBlocks: 0
; VGPRBlocks: 0
; NumSGPRsForWavesPerEU: 9
; NumVGPRsForWavesPerEU: 7
; Occupancy: 16
; WaveLimiterHint : 0
; COMPUTE_PGM_RSRC2:SCRATCH_EN: 0
; COMPUTE_PGM_RSRC2:USER_SGPR: 6
; COMPUTE_PGM_RSRC2:TRAP_HANDLER: 0
; COMPUTE_PGM_RSRC2:TGID_X_EN: 1
; COMPUTE_PGM_RSRC2:TGID_Y_EN: 0
; COMPUTE_PGM_RSRC2:TGID_Z_EN: 0
; COMPUTE_PGM_RSRC2:TIDIG_COMP_CNT: 0
	.section	.text._ZL16dequantize_blockILi32ELi1EXadL_ZL15dequantize_q8_0PKviiR7__half2EEN3c104HalfEEvS1_PT2_l,"axG",@progbits,_ZL16dequantize_blockILi32ELi1EXadL_ZL15dequantize_q8_0PKviiR7__half2EEN3c104HalfEEvS1_PT2_l,comdat
	.globl	_ZL16dequantize_blockILi32ELi1EXadL_ZL15dequantize_q8_0PKviiR7__half2EEN3c104HalfEEvS1_PT2_l ; -- Begin function _ZL16dequantize_blockILi32ELi1EXadL_ZL15dequantize_q8_0PKviiR7__half2EEN3c104HalfEEvS1_PT2_l
	.p2align	8
	.type	_ZL16dequantize_blockILi32ELi1EXadL_ZL15dequantize_q8_0PKviiR7__half2EEN3c104HalfEEvS1_PT2_l,@function
_ZL16dequantize_blockILi32ELi1EXadL_ZL15dequantize_q8_0PKviiR7__half2EEN3c104HalfEEvS1_PT2_l: ; @_ZL16dequantize_blockILi32ELi1EXadL_ZL15dequantize_q8_0PKviiR7__half2EEN3c104HalfEEvS1_PT2_l
; %bb.0:
	s_clause 0x1
	s_load_dword s2, s[4:5], 0x24
	s_load_dwordx2 s[0:1], s[4:5], 0x10
	v_mov_b32_e32 v1, 0
	s_waitcnt lgkmcnt(0)
	s_and_b32 s2, s2, 0xffff
	v_mad_u64_u32 v[2:3], null, s2, s6, v[0:1]
	v_lshlrev_b64 v[4:5], 1, v[2:3]
	v_cmp_gt_i64_e32 vcc_lo, s[0:1], v[4:5]
	s_and_saveexec_b32 s0, vcc_lo
	s_cbranch_execz .LBB23_2
; %bb.1:
	s_load_dwordx4 s[0:3], s[4:5], 0x0
	v_alignbit_b32 v0, v3, v2, 4
	v_lshlrev_b32_e32 v2, 1, v2
	s_waitcnt lgkmcnt(0)
	v_mad_i64_i32 v[5:6], null, v0, 34, s[0:1]
	v_and_b32_e32 v0, 30, v4
	v_add_co_u32 v3, vcc_lo, v5, v0
	v_add_co_ci_u32_e64 v4, null, 0, v6, vcc_lo
	s_clause 0x1
	global_load_ushort v0, v[3:4], off offset:2
	global_load_ushort v3, v[5:6], off
	s_waitcnt vmcnt(1)
	v_ashrrev_i16 v4, 8, v0
	v_cvt_f16_i16_sdwa v0, sext(v0) dst_sel:DWORD dst_unused:UNUSED_PAD src0_sel:BYTE_0
	s_waitcnt vmcnt(0)
	v_lshl_or_b32 v3, v3, 16, v3
	v_cvt_f16_i16_e32 v4, v4
	v_pack_b32_f16 v4, v0, v4
	v_ashrrev_i64 v[0:1], 31, v[1:2]
	v_pk_mul_f16 v2, v4, v3
	v_add_co_u32 v0, vcc_lo, s2, v0
	v_add_co_ci_u32_e64 v1, null, s3, v1, vcc_lo
	global_store_dword v[0:1], v2, off
.LBB23_2:
	s_endpgm
	.section	.rodata,"a",@progbits
	.p2align	6, 0x0
	.amdhsa_kernel _ZL16dequantize_blockILi32ELi1EXadL_ZL15dequantize_q8_0PKviiR7__half2EEN3c104HalfEEvS1_PT2_l
		.amdhsa_group_segment_fixed_size 0
		.amdhsa_private_segment_fixed_size 0
		.amdhsa_kernarg_size 280
		.amdhsa_user_sgpr_count 6
		.amdhsa_user_sgpr_private_segment_buffer 1
		.amdhsa_user_sgpr_dispatch_ptr 0
		.amdhsa_user_sgpr_queue_ptr 0
		.amdhsa_user_sgpr_kernarg_segment_ptr 1
		.amdhsa_user_sgpr_dispatch_id 0
		.amdhsa_user_sgpr_flat_scratch_init 0
		.amdhsa_user_sgpr_private_segment_size 0
		.amdhsa_wavefront_size32 1
		.amdhsa_uses_dynamic_stack 0
		.amdhsa_system_sgpr_private_segment_wavefront_offset 0
		.amdhsa_system_sgpr_workgroup_id_x 1
		.amdhsa_system_sgpr_workgroup_id_y 0
		.amdhsa_system_sgpr_workgroup_id_z 0
		.amdhsa_system_sgpr_workgroup_info 0
		.amdhsa_system_vgpr_workitem_id 0
		.amdhsa_next_free_vgpr 7
		.amdhsa_next_free_sgpr 7
		.amdhsa_reserve_vcc 1
		.amdhsa_reserve_flat_scratch 0
		.amdhsa_float_round_mode_32 0
		.amdhsa_float_round_mode_16_64 0
		.amdhsa_float_denorm_mode_32 3
		.amdhsa_float_denorm_mode_16_64 3
		.amdhsa_dx10_clamp 1
		.amdhsa_ieee_mode 1
		.amdhsa_fp16_overflow 0
		.amdhsa_workgroup_processor_mode 1
		.amdhsa_memory_ordered 1
		.amdhsa_forward_progress 1
		.amdhsa_shared_vgpr_count 0
		.amdhsa_exception_fp_ieee_invalid_op 0
		.amdhsa_exception_fp_denorm_src 0
		.amdhsa_exception_fp_ieee_div_zero 0
		.amdhsa_exception_fp_ieee_overflow 0
		.amdhsa_exception_fp_ieee_underflow 0
		.amdhsa_exception_fp_ieee_inexact 0
		.amdhsa_exception_int_div_zero 0
	.end_amdhsa_kernel
	.section	.text._ZL16dequantize_blockILi32ELi1EXadL_ZL15dequantize_q8_0PKviiR7__half2EEN3c104HalfEEvS1_PT2_l,"axG",@progbits,_ZL16dequantize_blockILi32ELi1EXadL_ZL15dequantize_q8_0PKviiR7__half2EEN3c104HalfEEvS1_PT2_l,comdat
.Lfunc_end23:
	.size	_ZL16dequantize_blockILi32ELi1EXadL_ZL15dequantize_q8_0PKviiR7__half2EEN3c104HalfEEvS1_PT2_l, .Lfunc_end23-_ZL16dequantize_blockILi32ELi1EXadL_ZL15dequantize_q8_0PKviiR7__half2EEN3c104HalfEEvS1_PT2_l
                                        ; -- End function
	.set _ZL16dequantize_blockILi32ELi1EXadL_ZL15dequantize_q8_0PKviiR7__half2EEN3c104HalfEEvS1_PT2_l.num_vgpr, 7
	.set _ZL16dequantize_blockILi32ELi1EXadL_ZL15dequantize_q8_0PKviiR7__half2EEN3c104HalfEEvS1_PT2_l.num_agpr, 0
	.set _ZL16dequantize_blockILi32ELi1EXadL_ZL15dequantize_q8_0PKviiR7__half2EEN3c104HalfEEvS1_PT2_l.numbered_sgpr, 7
	.set _ZL16dequantize_blockILi32ELi1EXadL_ZL15dequantize_q8_0PKviiR7__half2EEN3c104HalfEEvS1_PT2_l.num_named_barrier, 0
	.set _ZL16dequantize_blockILi32ELi1EXadL_ZL15dequantize_q8_0PKviiR7__half2EEN3c104HalfEEvS1_PT2_l.private_seg_size, 0
	.set _ZL16dequantize_blockILi32ELi1EXadL_ZL15dequantize_q8_0PKviiR7__half2EEN3c104HalfEEvS1_PT2_l.uses_vcc, 1
	.set _ZL16dequantize_blockILi32ELi1EXadL_ZL15dequantize_q8_0PKviiR7__half2EEN3c104HalfEEvS1_PT2_l.uses_flat_scratch, 0
	.set _ZL16dequantize_blockILi32ELi1EXadL_ZL15dequantize_q8_0PKviiR7__half2EEN3c104HalfEEvS1_PT2_l.has_dyn_sized_stack, 0
	.set _ZL16dequantize_blockILi32ELi1EXadL_ZL15dequantize_q8_0PKviiR7__half2EEN3c104HalfEEvS1_PT2_l.has_recursion, 0
	.set _ZL16dequantize_blockILi32ELi1EXadL_ZL15dequantize_q8_0PKviiR7__half2EEN3c104HalfEEvS1_PT2_l.has_indirect_call, 0
	.section	.AMDGPU.csdata,"",@progbits
; Kernel info:
; codeLenInByte = 224
; TotalNumSgprs: 9
; NumVgprs: 7
; ScratchSize: 0
; MemoryBound: 0
; FloatMode: 240
; IeeeMode: 1
; LDSByteSize: 0 bytes/workgroup (compile time only)
; SGPRBlocks: 0
; VGPRBlocks: 0
; NumSGPRsForWavesPerEU: 9
; NumVGPRsForWavesPerEU: 7
; Occupancy: 16
; WaveLimiterHint : 0
; COMPUTE_PGM_RSRC2:SCRATCH_EN: 0
; COMPUTE_PGM_RSRC2:USER_SGPR: 6
; COMPUTE_PGM_RSRC2:TRAP_HANDLER: 0
; COMPUTE_PGM_RSRC2:TGID_X_EN: 1
; COMPUTE_PGM_RSRC2:TGID_Y_EN: 0
; COMPUTE_PGM_RSRC2:TGID_Z_EN: 0
; COMPUTE_PGM_RSRC2:TIDIG_COMP_CNT: 0
	.section	.text._ZL21dequantize_block_q2_KIN3c104HalfEEvPKvPT_,"axG",@progbits,_ZL21dequantize_block_q2_KIN3c104HalfEEvPKvPT_,comdat
	.globl	_ZL21dequantize_block_q2_KIN3c104HalfEEvPKvPT_ ; -- Begin function _ZL21dequantize_block_q2_KIN3c104HalfEEvPKvPT_
	.p2align	8
	.type	_ZL21dequantize_block_q2_KIN3c104HalfEEvPKvPT_,@function
_ZL21dequantize_block_q2_KIN3c104HalfEEvPKvPT_: ; @_ZL21dequantize_block_q2_KIN3c104HalfEEvPKvPT_
; %bb.0:
	s_load_dwordx4 s[0:3], s[4:5], 0x0
	v_lshrrev_b32_e32 v1, 5, v0
	v_bfe_u32 v2, v0, 4, 1
	s_mul_i32 s4, s6, 0x54
	s_mul_hi_u32 s5, s6, 0x54
	v_lshl_or_b32 v2, v1, 3, v2
	v_lshlrev_b32_e32 v1, 8, v1
	s_waitcnt lgkmcnt(0)
	s_add_u32 s0, s0, s4
	s_addc_u32 s1, s1, s5
	s_clause 0x4
	global_load_ubyte v3, v2, s[0:1]
	global_load_ubyte v4, v0, s[0:1] offset:16
	global_load_ubyte v5, v2, s[0:1] offset:2
	;; [unrolled: 1-line block ×4, first 2 shown]
	s_load_dword s4, s[0:1], 0x50
	s_mov_b32 s1, 0
	s_lshl_b32 s0, s6, 8
	v_and_b32_e32 v0, 31, v0
	s_lshl_b64 s[0:1], s[0:1], 1
	s_add_u32 s0, s2, s0
	s_addc_u32 s1, s3, s1
	v_add_co_u32 v1, s0, s0, v1
	v_lshlrev_b32_e32 v0, 1, v0
	v_add_co_ci_u32_e64 v7, null, s1, 0, s0
	v_add_co_u32 v0, vcc_lo, v1, v0
	v_add_co_ci_u32_e64 v1, null, 0, v7, vcc_lo
	s_waitcnt lgkmcnt(0)
	s_lshr_b32 s0, s4, 16
	s_waitcnt vmcnt(4)
	v_and_b32_e32 v8, 15, v3
	s_waitcnt vmcnt(3)
	v_and_b32_e32 v9, 3, v4
	;; [unrolled: 2-line block ×3, first 2 shown]
	v_bfe_u32 v11, v4, 2, 2
	s_waitcnt vmcnt(1)
	v_and_b32_e32 v12, 15, v6
	v_bfe_u32 v13, v4, 4, 2
	s_waitcnt vmcnt(0)
	v_and_b32_e32 v14, 15, v2
	v_lshrrev_b32_e32 v4, 6, v4
	v_lshrrev_b16 v3, 4, v3
	v_mul_u32_u24_sdwa v8, v9, v8 dst_sel:DWORD dst_unused:UNUSED_PAD src0_sel:DWORD src1_sel:WORD_0
	v_lshrrev_b16 v5, 4, v5
	v_mul_u32_u24_sdwa v9, v11, v10 dst_sel:DWORD dst_unused:UNUSED_PAD src0_sel:DWORD src1_sel:WORD_0
	;; [unrolled: 2-line block ×4, first 2 shown]
	v_cvt_f16_u16_e32 v3, v3
	v_cvt_f32_ubyte0_e32 v8, v8
	v_cvt_f16_u16_e32 v5, v5
	v_cvt_f32_ubyte0_e32 v9, v9
	;; [unrolled: 2-line block ×4, first 2 shown]
	v_mul_f16_e32 v3, s0, v3
	v_cvt_f16_f32_e32 v8, v8
	v_mul_f16_e32 v5, s0, v5
	v_cvt_f16_f32_e32 v9, v9
	;; [unrolled: 2-line block ×4, first 2 shown]
	v_fma_f16 v3, s4, v8, -v3
	v_fma_f16 v5, s4, v9, -v5
	;; [unrolled: 1-line block ×4, first 2 shown]
	global_store_short v[0:1], v3, off
	global_store_short v[0:1], v5, off offset:64
	global_store_short v[0:1], v6, off offset:128
	;; [unrolled: 1-line block ×3, first 2 shown]
	s_endpgm
	.section	.rodata,"a",@progbits
	.p2align	6, 0x0
	.amdhsa_kernel _ZL21dequantize_block_q2_KIN3c104HalfEEvPKvPT_
		.amdhsa_group_segment_fixed_size 0
		.amdhsa_private_segment_fixed_size 0
		.amdhsa_kernarg_size 16
		.amdhsa_user_sgpr_count 6
		.amdhsa_user_sgpr_private_segment_buffer 1
		.amdhsa_user_sgpr_dispatch_ptr 0
		.amdhsa_user_sgpr_queue_ptr 0
		.amdhsa_user_sgpr_kernarg_segment_ptr 1
		.amdhsa_user_sgpr_dispatch_id 0
		.amdhsa_user_sgpr_flat_scratch_init 0
		.amdhsa_user_sgpr_private_segment_size 0
		.amdhsa_wavefront_size32 1
		.amdhsa_uses_dynamic_stack 0
		.amdhsa_system_sgpr_private_segment_wavefront_offset 0
		.amdhsa_system_sgpr_workgroup_id_x 1
		.amdhsa_system_sgpr_workgroup_id_y 0
		.amdhsa_system_sgpr_workgroup_id_z 0
		.amdhsa_system_sgpr_workgroup_info 0
		.amdhsa_system_vgpr_workitem_id 0
		.amdhsa_next_free_vgpr 15
		.amdhsa_next_free_sgpr 7
		.amdhsa_reserve_vcc 1
		.amdhsa_reserve_flat_scratch 0
		.amdhsa_float_round_mode_32 0
		.amdhsa_float_round_mode_16_64 0
		.amdhsa_float_denorm_mode_32 3
		.amdhsa_float_denorm_mode_16_64 3
		.amdhsa_dx10_clamp 1
		.amdhsa_ieee_mode 1
		.amdhsa_fp16_overflow 0
		.amdhsa_workgroup_processor_mode 1
		.amdhsa_memory_ordered 1
		.amdhsa_forward_progress 1
		.amdhsa_shared_vgpr_count 0
		.amdhsa_exception_fp_ieee_invalid_op 0
		.amdhsa_exception_fp_denorm_src 0
		.amdhsa_exception_fp_ieee_div_zero 0
		.amdhsa_exception_fp_ieee_overflow 0
		.amdhsa_exception_fp_ieee_underflow 0
		.amdhsa_exception_fp_ieee_inexact 0
		.amdhsa_exception_int_div_zero 0
	.end_amdhsa_kernel
	.section	.text._ZL21dequantize_block_q2_KIN3c104HalfEEvPKvPT_,"axG",@progbits,_ZL21dequantize_block_q2_KIN3c104HalfEEvPKvPT_,comdat
.Lfunc_end24:
	.size	_ZL21dequantize_block_q2_KIN3c104HalfEEvPKvPT_, .Lfunc_end24-_ZL21dequantize_block_q2_KIN3c104HalfEEvPKvPT_
                                        ; -- End function
	.set _ZL21dequantize_block_q2_KIN3c104HalfEEvPKvPT_.num_vgpr, 15
	.set _ZL21dequantize_block_q2_KIN3c104HalfEEvPKvPT_.num_agpr, 0
	.set _ZL21dequantize_block_q2_KIN3c104HalfEEvPKvPT_.numbered_sgpr, 7
	.set _ZL21dequantize_block_q2_KIN3c104HalfEEvPKvPT_.num_named_barrier, 0
	.set _ZL21dequantize_block_q2_KIN3c104HalfEEvPKvPT_.private_seg_size, 0
	.set _ZL21dequantize_block_q2_KIN3c104HalfEEvPKvPT_.uses_vcc, 1
	.set _ZL21dequantize_block_q2_KIN3c104HalfEEvPKvPT_.uses_flat_scratch, 0
	.set _ZL21dequantize_block_q2_KIN3c104HalfEEvPKvPT_.has_dyn_sized_stack, 0
	.set _ZL21dequantize_block_q2_KIN3c104HalfEEvPKvPT_.has_recursion, 0
	.set _ZL21dequantize_block_q2_KIN3c104HalfEEvPKvPT_.has_indirect_call, 0
	.section	.AMDGPU.csdata,"",@progbits
; Kernel info:
; codeLenInByte = 436
; TotalNumSgprs: 9
; NumVgprs: 15
; ScratchSize: 0
; MemoryBound: 0
; FloatMode: 240
; IeeeMode: 1
; LDSByteSize: 0 bytes/workgroup (compile time only)
; SGPRBlocks: 0
; VGPRBlocks: 1
; NumSGPRsForWavesPerEU: 9
; NumVGPRsForWavesPerEU: 15
; Occupancy: 16
; WaveLimiterHint : 0
; COMPUTE_PGM_RSRC2:SCRATCH_EN: 0
; COMPUTE_PGM_RSRC2:USER_SGPR: 6
; COMPUTE_PGM_RSRC2:TRAP_HANDLER: 0
; COMPUTE_PGM_RSRC2:TGID_X_EN: 1
; COMPUTE_PGM_RSRC2:TGID_Y_EN: 0
; COMPUTE_PGM_RSRC2:TGID_Z_EN: 0
; COMPUTE_PGM_RSRC2:TIDIG_COMP_CNT: 0
	.section	.text._ZL21dequantize_block_q3_KIN3c104HalfEEvPKvPT_,"axG",@progbits,_ZL21dequantize_block_q3_KIN3c104HalfEEvPKvPT_,comdat
	.globl	_ZL21dequantize_block_q3_KIN3c104HalfEEvPKvPT_ ; -- Begin function _ZL21dequantize_block_q3_KIN3c104HalfEEvPKvPT_
	.p2align	8
	.type	_ZL21dequantize_block_q3_KIN3c104HalfEEvPKvPT_,@function
_ZL21dequantize_block_q3_KIN3c104HalfEEvPKvPT_: ; @_ZL21dequantize_block_q3_KIN3c104HalfEEvPKvPT_
; %bb.0:
	v_lshrrev_b32_e32 v4, 5, v0
	v_lshrrev_b32_e32 v6, 3, v0
	s_load_dwordx4 s[0:3], s[4:5], 0x0
	v_bfe_u32 v7, v0, 2, 1
	s_mov_b32 s7, 0
	v_lshlrev_b32_e32 v1, 2, v4
	s_mov_b32 s4, exec_lo
                                        ; implicit-def: $vgpr9
                                        ; implicit-def: $vgpr8
	v_sub_nc_u32_e32 v5, v6, v1
	v_mov_b32_e32 v1, s6
	v_mov_b32_e32 v2, s7
	v_lshlrev_b32_e32 v3, 1, v5
	v_lshl_add_u32 v11, v4, 3, v3
	v_or_b32_e32 v10, v11, v7
	v_cmpx_lt_i32_e32 3, v10
	s_xor_b32 s4, exec_lo, s4
	s_cbranch_execz .LBB25_10
; %bb.1:
	v_mov_b32_e32 v1, s6
	s_mov_b32 s5, exec_lo
	v_mov_b32_e32 v2, s7
                                        ; implicit-def: $vgpr9
                                        ; implicit-def: $vgpr8
	v_cmpx_lt_u32_e32 7, v11
	s_xor_b32 s5, exec_lo, s5
	s_cbranch_execz .LBB25_7
; %bb.2:
	s_mul_i32 s7, s6, 0x6e
	s_mul_hi_u32 s9, s6, 0x6e
	s_waitcnt lgkmcnt(0)
	s_add_u32 s8, s0, s7
	s_addc_u32 s9, s1, s9
	v_add_co_u32 v1, s7, s8, v10
	global_load_ubyte v9, v10, s[8:9] offset:88
	v_add_co_ci_u32_e64 v2, null, s9, 0, s7
	s_mov_b32 s7, 0
	s_mov_b32 s8, exec_lo
                                        ; implicit-def: $vgpr8
	v_cmpx_lt_u32_e32 11, v11
	s_xor_b32 s8, exec_lo, s8
	s_cbranch_execz .LBB25_4
; %bb.3:
	global_load_ubyte v1, v[1:2], off offset:92
	s_waitcnt vmcnt(0)
	v_lshrrev_b16 v8, 2, v1
                                        ; implicit-def: $vgpr1_vgpr2
.LBB25_4:
	s_andn2_saveexec_b32 s8, s8
	s_cbranch_execz .LBB25_6
; %bb.5:
	global_load_ubyte v8, v[1:2], off offset:96
.LBB25_6:
	s_or_b32 exec_lo, exec_lo, s8
	v_mov_b32_e32 v1, s6
	s_waitcnt vmcnt(0)
	v_lshrrev_b16 v9, 4, v9
	v_mov_b32_e32 v2, s7
                                        ; implicit-def: $vgpr10
.LBB25_7:
	s_andn2_saveexec_b32 s5, s5
	s_cbranch_execz .LBB25_9
; %bb.8:
	s_mul_i32 s7, s6, 0x6e
	s_mul_hi_u32 s9, s6, 0x6e
	s_waitcnt lgkmcnt(0)
	s_add_u32 s8, s0, s7
	s_addc_u32 s9, s1, s9
	s_clause 0x1
	global_load_ubyte v2, v10, s[8:9] offset:96
	global_load_ubyte v8, v10, s[8:9] offset:100
	s_waitcnt vmcnt(1)
	v_and_b32_e32 v9, 15, v2
	s_waitcnt vmcnt(0)
	v_lshlrev_b16 v8, 2, v8
.LBB25_9:
	s_or_b32 exec_lo, exec_lo, s5
                                        ; implicit-def: $vgpr10
.LBB25_10:
	s_andn2_saveexec_b32 s4, s4
	s_cbranch_execz .LBB25_12
; %bb.11:
	s_mul_i32 s5, s6, 0x6e
	v_ashrrev_i32_e32 v2, 31, v10
	s_mul_hi_u32 s7, s6, 0x6e
	s_waitcnt lgkmcnt(0)
	s_add_u32 s5, s0, s5
	s_addc_u32 s7, s1, s7
	v_add_co_u32 v8, vcc_lo, s5, v10
	v_add_co_ci_u32_e64 v9, null, s7, v2, vcc_lo
	s_clause 0x1
	global_load_ubyte v2, v[8:9], off offset:96
	global_load_ubyte v8, v[8:9], off offset:104
	s_waitcnt vmcnt(1)
	v_and_b32_e32 v9, 15, v2
	s_waitcnt vmcnt(0)
	v_lshlrev_b16 v8, 4, v8
.LBB25_12:
	s_or_b32 exec_lo, exec_lo, s4
	v_lshlrev_b32_e32 v10, 2, v0
	s_waitcnt lgkmcnt(0)
	v_mad_u64_u32 v[1:2], null, 0x6e, v1, s[0:1]
	v_and_b32_e32 v0, 0x3e0, v0
	v_lshlrev_b32_e64 v6, v6, 1
	v_and_b32_e32 v10, 12, v10
	s_lshl_b32 s0, s6, 8
	s_mov_b32 s1, 0
	v_lshlrev_b32_e32 v4, 8, v4
	v_add_co_u32 v0, vcc_lo, v1, v0
	v_lshl_or_b32 v7, v7, 4, v10
	v_add_co_ci_u32_e64 v11, null, 0, v2, vcc_lo
	s_lshl_b64 s[0:1], s[0:1], 1
	v_add_co_u32 v10, vcc_lo, v0, v7
	v_add_co_ci_u32_e64 v11, null, 0, v11, vcc_lo
	v_add_co_u32 v12, vcc_lo, v1, v7
	v_add_co_ci_u32_e64 v13, null, 0, v2, vcc_lo
	s_clause 0x2
	global_load_dword v10, v[10:11], off offset:32
	global_load_dword v11, v[12:13], off
	global_load_ushort v2, v[1:2], off offset:108
	v_and_b32_e32 v1, 48, v8
	v_mov_b32_e32 v8, 32
	v_lshlrev_b32_e32 v0, 5, v5
	s_add_u32 s0, s2, s0
	s_addc_u32 s1, s3, s1
	v_or_b32_e32 v5, v1, v9
	v_add_co_u32 v4, s0, s0, v4
	v_ashrrev_i32_e32 v1, 31, v0
	v_add_co_ci_u32_e64 v9, null, s1, 0, s0
	v_sub_nc_u32_sdwa v5, v5, v8 dst_sel:DWORD dst_unused:UNUSED_PAD src0_sel:BYTE_0 src1_sel:DWORD
	v_lshlrev_b64 v[0:1], 1, v[0:1]
	v_cvt_f32_i32_e32 v5, v5
	v_cvt_f16_f32_e32 v5, v5
	s_waitcnt vmcnt(2)
	v_lshrrev_b32_sdwa v12, v3, v10 dst_sel:DWORD dst_unused:UNUSED_PAD src0_sel:DWORD src1_sel:BYTE_0
	s_waitcnt vmcnt(1)
	v_and_b32_sdwa v13, v6, v11 dst_sel:DWORD dst_unused:UNUSED_PAD src0_sel:DWORD src1_sel:BYTE_1
	v_and_b32_sdwa v14, v6, v11 dst_sel:DWORD dst_unused:UNUSED_PAD src0_sel:DWORD src1_sel:BYTE_0
	v_lshrrev_b32_sdwa v8, v3, v10 dst_sel:DWORD dst_unused:UNUSED_PAD src0_sel:DWORD src1_sel:BYTE_1
	v_lshrrev_b32_sdwa v15, v3, v10 dst_sel:DWORD dst_unused:UNUSED_PAD src0_sel:DWORD src1_sel:BYTE_3
	v_lshrrev_b32_sdwa v3, v3, v10 dst_sel:DWORD dst_unused:UNUSED_PAD src0_sel:DWORD src1_sel:BYTE_2
	v_cmp_eq_u32_e32 vcc_lo, 0, v13
	v_and_b32_sdwa v10, v6, v11 dst_sel:DWORD dst_unused:UNUSED_PAD src0_sel:DWORD src1_sel:BYTE_3
	v_and_b32_sdwa v6, v6, v11 dst_sel:DWORD dst_unused:UNUSED_PAD src0_sel:DWORD src1_sel:BYTE_2
	v_and_b32_e32 v11, 3, v12
	v_and_b32_e32 v8, 3, v8
	v_cndmask_b32_e64 v12, 0, -4, vcc_lo
	v_cmp_eq_u32_e32 vcc_lo, 0, v14
	v_and_b32_e32 v14, 3, v15
	v_and_b32_e32 v3, 3, v3
	v_or_b32_e32 v8, v12, v8
	v_cndmask_b32_e64 v13, 0, -4, vcc_lo
	v_cmp_eq_u32_e32 vcc_lo, 0, v10
	v_or_b32_e32 v11, v13, v11
	v_cndmask_b32_e64 v10, 0, -4, vcc_lo
	v_cmp_eq_u32_e32 vcc_lo, 0, v6
	v_or_b32_e32 v10, v10, v14
	v_cndmask_b32_e64 v6, 0, -4, vcc_lo
	v_add_co_u32 v0, vcc_lo, v4, v0
	v_add_co_ci_u32_e64 v1, null, v9, v1, vcc_lo
	v_or_b32_e32 v3, v6, v3
	v_lshlrev_b32_e32 v6, 1, v7
	v_cvt_f32_i32_e32 v7, v8
	v_cvt_f32_i32_e32 v8, v11
	;; [unrolled: 1-line block ×4, first 2 shown]
	s_waitcnt vmcnt(0)
	v_mul_f16_e32 v4, v2, v5
	v_cvt_f16_f32_e32 v7, v7
	v_cvt_f16_f32_e32 v8, v8
	;; [unrolled: 1-line block ×4, first 2 shown]
	v_add_co_u32 v0, vcc_lo, v0, v6
	v_pack_b32_f16 v2, v8, v7
	v_add_co_ci_u32_e64 v1, null, 0, v1, vcc_lo
	v_pack_b32_f16 v3, v3, v10
	v_pk_mul_f16 v2, v4, v2 op_sel_hi:[0,1]
	v_pk_mul_f16 v3, v4, v3 op_sel_hi:[0,1]
	global_store_dwordx2 v[0:1], v[2:3], off
	s_endpgm
	.section	.rodata,"a",@progbits
	.p2align	6, 0x0
	.amdhsa_kernel _ZL21dequantize_block_q3_KIN3c104HalfEEvPKvPT_
		.amdhsa_group_segment_fixed_size 0
		.amdhsa_private_segment_fixed_size 0
		.amdhsa_kernarg_size 16
		.amdhsa_user_sgpr_count 6
		.amdhsa_user_sgpr_private_segment_buffer 1
		.amdhsa_user_sgpr_dispatch_ptr 0
		.amdhsa_user_sgpr_queue_ptr 0
		.amdhsa_user_sgpr_kernarg_segment_ptr 1
		.amdhsa_user_sgpr_dispatch_id 0
		.amdhsa_user_sgpr_flat_scratch_init 0
		.amdhsa_user_sgpr_private_segment_size 0
		.amdhsa_wavefront_size32 1
		.amdhsa_uses_dynamic_stack 0
		.amdhsa_system_sgpr_private_segment_wavefront_offset 0
		.amdhsa_system_sgpr_workgroup_id_x 1
		.amdhsa_system_sgpr_workgroup_id_y 0
		.amdhsa_system_sgpr_workgroup_id_z 0
		.amdhsa_system_sgpr_workgroup_info 0
		.amdhsa_system_vgpr_workitem_id 0
		.amdhsa_next_free_vgpr 16
		.amdhsa_next_free_sgpr 10
		.amdhsa_reserve_vcc 1
		.amdhsa_reserve_flat_scratch 0
		.amdhsa_float_round_mode_32 0
		.amdhsa_float_round_mode_16_64 0
		.amdhsa_float_denorm_mode_32 3
		.amdhsa_float_denorm_mode_16_64 3
		.amdhsa_dx10_clamp 1
		.amdhsa_ieee_mode 1
		.amdhsa_fp16_overflow 0
		.amdhsa_workgroup_processor_mode 1
		.amdhsa_memory_ordered 1
		.amdhsa_forward_progress 1
		.amdhsa_shared_vgpr_count 0
		.amdhsa_exception_fp_ieee_invalid_op 0
		.amdhsa_exception_fp_denorm_src 0
		.amdhsa_exception_fp_ieee_div_zero 0
		.amdhsa_exception_fp_ieee_overflow 0
		.amdhsa_exception_fp_ieee_underflow 0
		.amdhsa_exception_fp_ieee_inexact 0
		.amdhsa_exception_int_div_zero 0
	.end_amdhsa_kernel
	.section	.text._ZL21dequantize_block_q3_KIN3c104HalfEEvPKvPT_,"axG",@progbits,_ZL21dequantize_block_q3_KIN3c104HalfEEvPKvPT_,comdat
.Lfunc_end25:
	.size	_ZL21dequantize_block_q3_KIN3c104HalfEEvPKvPT_, .Lfunc_end25-_ZL21dequantize_block_q3_KIN3c104HalfEEvPKvPT_
                                        ; -- End function
	.set _ZL21dequantize_block_q3_KIN3c104HalfEEvPKvPT_.num_vgpr, 16
	.set _ZL21dequantize_block_q3_KIN3c104HalfEEvPKvPT_.num_agpr, 0
	.set _ZL21dequantize_block_q3_KIN3c104HalfEEvPKvPT_.numbered_sgpr, 10
	.set _ZL21dequantize_block_q3_KIN3c104HalfEEvPKvPT_.num_named_barrier, 0
	.set _ZL21dequantize_block_q3_KIN3c104HalfEEvPKvPT_.private_seg_size, 0
	.set _ZL21dequantize_block_q3_KIN3c104HalfEEvPKvPT_.uses_vcc, 1
	.set _ZL21dequantize_block_q3_KIN3c104HalfEEvPKvPT_.uses_flat_scratch, 0
	.set _ZL21dequantize_block_q3_KIN3c104HalfEEvPKvPT_.has_dyn_sized_stack, 0
	.set _ZL21dequantize_block_q3_KIN3c104HalfEEvPKvPT_.has_recursion, 0
	.set _ZL21dequantize_block_q3_KIN3c104HalfEEvPKvPT_.has_indirect_call, 0
	.section	.AMDGPU.csdata,"",@progbits
; Kernel info:
; codeLenInByte = 892
; TotalNumSgprs: 12
; NumVgprs: 16
; ScratchSize: 0
; MemoryBound: 0
; FloatMode: 240
; IeeeMode: 1
; LDSByteSize: 0 bytes/workgroup (compile time only)
; SGPRBlocks: 0
; VGPRBlocks: 1
; NumSGPRsForWavesPerEU: 12
; NumVGPRsForWavesPerEU: 16
; Occupancy: 16
; WaveLimiterHint : 0
; COMPUTE_PGM_RSRC2:SCRATCH_EN: 0
; COMPUTE_PGM_RSRC2:USER_SGPR: 6
; COMPUTE_PGM_RSRC2:TRAP_HANDLER: 0
; COMPUTE_PGM_RSRC2:TGID_X_EN: 1
; COMPUTE_PGM_RSRC2:TGID_Y_EN: 0
; COMPUTE_PGM_RSRC2:TGID_Z_EN: 0
; COMPUTE_PGM_RSRC2:TIDIG_COMP_CNT: 0
	.section	.text._ZL21dequantize_block_q4_KIN3c104HalfEEvPKvPT_,"axG",@progbits,_ZL21dequantize_block_q4_KIN3c104HalfEEvPKvPT_,comdat
	.globl	_ZL21dequantize_block_q4_KIN3c104HalfEEvPKvPT_ ; -- Begin function _ZL21dequantize_block_q4_KIN3c104HalfEEvPKvPT_
	.p2align	8
	.type	_ZL21dequantize_block_q4_KIN3c104HalfEEvPKvPT_,@function
_ZL21dequantize_block_q4_KIN3c104HalfEEvPKvPT_: ; @_ZL21dequantize_block_q4_KIN3c104HalfEEvPKvPT_
; %bb.0:
	s_load_dwordx2 s[0:1], s[4:5], 0x0
	v_lshrrev_b32_e32 v3, 3, v0
	s_mul_i32 s3, s6, 0x90
	s_mul_hi_u32 s2, s6, 0x90
	v_cmp_lt_u32_e32 vcc_lo, 15, v0
                                        ; implicit-def: $vgpr5
                                        ; implicit-def: $vgpr4
	v_lshlrev_b32_e32 v1, 1, v3
	s_waitcnt lgkmcnt(0)
	s_add_u32 s0, s0, s3
	s_addc_u32 s1, s1, s2
	v_add_co_u32 v1, s2, s0, v1
	v_add_co_ci_u32_e64 v2, null, s1, 0, s2
	s_and_saveexec_b32 s2, vcc_lo
	s_xor_b32 s2, exec_lo, s2
	s_cbranch_execz .LBB26_2
; %bb.1:
	s_clause 0x2
	global_load_ubyte v4, v[1:2], off
	global_load_ubyte v5, v[1:2], off offset:4
	global_load_ubyte v6, v[1:2], off offset:8
	s_waitcnt vmcnt(2)
	v_lshrrev_b16 v4, 2, v4
	s_waitcnt vmcnt(1)
	v_lshrrev_b16 v5, 2, v5
	s_waitcnt vmcnt(0)
	v_and_b32_e32 v7, 15, v6
	v_lshrrev_b16 v6, 4, v6
	v_and_b32_e32 v4, 48, v4
	v_and_b32_e32 v5, 48, v5
	v_or_b32_e32 v4, v4, v7
	v_or_b32_e32 v5, v5, v6
.LBB26_2:
	s_andn2_saveexec_b32 s2, s2
	s_cbranch_execz .LBB26_4
; %bb.3:
	s_clause 0x1
	global_load_ubyte v4, v[1:2], off offset:4
	global_load_ubyte v5, v[1:2], off offset:8
	s_waitcnt vmcnt(1)
	v_and_b32_e32 v4, 63, v4
	s_waitcnt vmcnt(0)
	v_and_b32_e32 v5, 63, v5
.LBB26_4:
	s_or_b32 exec_lo, exec_lo, s2
	s_load_dwordx2 s[2:3], s[4:5], 0x8
	s_load_dword s4, s[0:1], 0x0
                                        ; implicit-def: $vgpr7
                                        ; implicit-def: $vgpr6
	s_and_saveexec_b32 s5, vcc_lo
	s_xor_b32 s5, exec_lo, s5
	s_cbranch_execz .LBB26_6
; %bb.5:
	s_clause 0x2
	global_load_ubyte v6, v[1:2], off offset:1
	global_load_ubyte v7, v[1:2], off offset:5
	;; [unrolled: 1-line block ×3, first 2 shown]
	s_waitcnt vmcnt(2)
	v_lshrrev_b16 v2, 2, v6
	s_waitcnt vmcnt(1)
	v_lshrrev_b16 v6, 2, v7
	s_waitcnt vmcnt(0)
	v_and_b32_e32 v7, 15, v1
	v_lshrrev_b16 v1, 4, v1
	v_and_b32_e32 v2, 48, v2
	v_and_b32_e32 v8, 48, v6
	v_or_b32_e32 v6, v2, v7
	v_or_b32_e32 v7, v8, v1
                                        ; implicit-def: $vgpr1_vgpr2
.LBB26_6:
	s_andn2_saveexec_b32 s5, s5
	s_cbranch_execz .LBB26_8
; %bb.7:
	s_clause 0x1
	global_load_ubyte v6, v[1:2], off offset:5
	global_load_ubyte v1, v[1:2], off offset:9
	s_waitcnt vmcnt(1)
	v_and_b32_e32 v6, 63, v6
	s_waitcnt vmcnt(0)
	v_and_b32_e32 v7, 63, v1
.LBB26_8:
	s_or_b32 exec_lo, exec_lo, s5
	v_lshlrev_b32_e32 v0, 2, v0
	v_lshlrev_b32_e32 v1, 5, v3
	;; [unrolled: 1-line block ×3, first 2 shown]
	s_waitcnt lgkmcnt(0)
	s_lshr_b32 s5, s4, 16
	v_cvt_f16_u16_sdwa v4, v4 dst_sel:DWORD dst_unused:UNUSED_PAD src0_sel:BYTE_0
	v_and_b32_e32 v2, 28, v0
	v_add_co_u32 v0, s0, s0, v1
	v_add_co_ci_u32_e64 v1, null, s1, 0, s0
	s_mov_b32 s1, 0
	v_add_co_u32 v0, vcc_lo, v0, v2
	v_add_co_ci_u32_e64 v1, null, 0, v1, vcc_lo
	s_lshl_b32 s0, s6, 8
	v_lshlrev_b32_e32 v2, 1, v2
	s_lshl_b64 s[0:1], s[0:1], 1
	global_load_dword v0, v[0:1], off offset:16
	v_cvt_f16_u16_sdwa v1, v5 dst_sel:DWORD dst_unused:UNUSED_PAD src0_sel:BYTE_0
	v_cvt_f16_u16_sdwa v5, v6 dst_sel:DWORD dst_unused:UNUSED_PAD src0_sel:BYTE_0
	v_cvt_f16_u16_sdwa v6, v7 dst_sel:DWORD dst_unused:UNUSED_PAD src0_sel:BYTE_0
	v_mov_b32_e32 v7, 15
	s_add_u32 s0, s2, s0
	v_mul_f16_e32 v8, s5, v1
	s_addc_u32 s1, s3, s1
	v_add_co_u32 v1, s0, s0, v3
	v_mul_f16_e32 v4, s4, v4
	v_add_co_ci_u32_e64 v3, null, s1, 0, s0
	v_mul_f16_e32 v5, s4, v5
	v_mul_f16_e32 v6, s5, v6
	s_waitcnt vmcnt(0)
	v_lshrrev_b32_e32 v9, 8, v0
	v_lshrrev_b32_e32 v10, 24, v0
	v_and_b32_e32 v11, 15, v0
	v_lshrrev_b16 v12, 4, v0
	v_and_b32_sdwa v7, v0, v7 dst_sel:DWORD dst_unused:UNUSED_PAD src0_sel:WORD_1 src1_sel:DWORD
	v_lshrrev_b32_e32 v0, 20, v0
	v_and_b32_e32 v13, 15, v9
	v_lshrrev_b16 v9, 4, v9
	v_and_b32_e32 v14, 15, v10
	v_and_b32_e32 v12, 15, v12
	;; [unrolled: 1-line block ×3, first 2 shown]
	v_lshrrev_b16 v10, 4, v10
	v_and_b32_e32 v9, 15, v9
	v_cvt_f16_u16_e32 v11, v11
	v_cvt_f16_u16_e32 v7, v7
	;; [unrolled: 1-line block ×8, first 2 shown]
	v_pack_b32_f16 v11, v11, v13
	v_pack_b32_f16 v7, v7, v14
	;; [unrolled: 1-line block ×4, first 2 shown]
	v_add_co_u32 v0, vcc_lo, v1, v2
	v_add_co_ci_u32_e64 v1, null, 0, v3, vcc_lo
	v_pk_fma_f16 v2, v4, v11, v8 op_sel_hi:[0,1,0] neg_lo:[0,0,1] neg_hi:[0,0,1]
	v_pk_fma_f16 v3, v4, v7, v8 op_sel_hi:[0,1,0] neg_lo:[0,0,1] neg_hi:[0,0,1]
	v_pk_fma_f16 v4, v5, v9, v6 op_sel_hi:[0,1,0] neg_lo:[0,0,1] neg_hi:[0,0,1]
	v_pk_fma_f16 v5, v5, v10, v6 op_sel_hi:[0,1,0] neg_lo:[0,0,1] neg_hi:[0,0,1]
	global_store_dwordx2 v[0:1], v[2:3], off
	global_store_dwordx2 v[0:1], v[4:5], off offset:64
	s_endpgm
	.section	.rodata,"a",@progbits
	.p2align	6, 0x0
	.amdhsa_kernel _ZL21dequantize_block_q4_KIN3c104HalfEEvPKvPT_
		.amdhsa_group_segment_fixed_size 0
		.amdhsa_private_segment_fixed_size 0
		.amdhsa_kernarg_size 16
		.amdhsa_user_sgpr_count 6
		.amdhsa_user_sgpr_private_segment_buffer 1
		.amdhsa_user_sgpr_dispatch_ptr 0
		.amdhsa_user_sgpr_queue_ptr 0
		.amdhsa_user_sgpr_kernarg_segment_ptr 1
		.amdhsa_user_sgpr_dispatch_id 0
		.amdhsa_user_sgpr_flat_scratch_init 0
		.amdhsa_user_sgpr_private_segment_size 0
		.amdhsa_wavefront_size32 1
		.amdhsa_uses_dynamic_stack 0
		.amdhsa_system_sgpr_private_segment_wavefront_offset 0
		.amdhsa_system_sgpr_workgroup_id_x 1
		.amdhsa_system_sgpr_workgroup_id_y 0
		.amdhsa_system_sgpr_workgroup_id_z 0
		.amdhsa_system_sgpr_workgroup_info 0
		.amdhsa_system_vgpr_workitem_id 0
		.amdhsa_next_free_vgpr 15
		.amdhsa_next_free_sgpr 7
		.amdhsa_reserve_vcc 1
		.amdhsa_reserve_flat_scratch 0
		.amdhsa_float_round_mode_32 0
		.amdhsa_float_round_mode_16_64 0
		.amdhsa_float_denorm_mode_32 3
		.amdhsa_float_denorm_mode_16_64 3
		.amdhsa_dx10_clamp 1
		.amdhsa_ieee_mode 1
		.amdhsa_fp16_overflow 0
		.amdhsa_workgroup_processor_mode 1
		.amdhsa_memory_ordered 1
		.amdhsa_forward_progress 1
		.amdhsa_shared_vgpr_count 0
		.amdhsa_exception_fp_ieee_invalid_op 0
		.amdhsa_exception_fp_denorm_src 0
		.amdhsa_exception_fp_ieee_div_zero 0
		.amdhsa_exception_fp_ieee_overflow 0
		.amdhsa_exception_fp_ieee_underflow 0
		.amdhsa_exception_fp_ieee_inexact 0
		.amdhsa_exception_int_div_zero 0
	.end_amdhsa_kernel
	.section	.text._ZL21dequantize_block_q4_KIN3c104HalfEEvPKvPT_,"axG",@progbits,_ZL21dequantize_block_q4_KIN3c104HalfEEvPKvPT_,comdat
.Lfunc_end26:
	.size	_ZL21dequantize_block_q4_KIN3c104HalfEEvPKvPT_, .Lfunc_end26-_ZL21dequantize_block_q4_KIN3c104HalfEEvPKvPT_
                                        ; -- End function
	.set _ZL21dequantize_block_q4_KIN3c104HalfEEvPKvPT_.num_vgpr, 15
	.set _ZL21dequantize_block_q4_KIN3c104HalfEEvPKvPT_.num_agpr, 0
	.set _ZL21dequantize_block_q4_KIN3c104HalfEEvPKvPT_.numbered_sgpr, 7
	.set _ZL21dequantize_block_q4_KIN3c104HalfEEvPKvPT_.num_named_barrier, 0
	.set _ZL21dequantize_block_q4_KIN3c104HalfEEvPKvPT_.private_seg_size, 0
	.set _ZL21dequantize_block_q4_KIN3c104HalfEEvPKvPT_.uses_vcc, 1
	.set _ZL21dequantize_block_q4_KIN3c104HalfEEvPKvPT_.uses_flat_scratch, 0
	.set _ZL21dequantize_block_q4_KIN3c104HalfEEvPKvPT_.has_dyn_sized_stack, 0
	.set _ZL21dequantize_block_q4_KIN3c104HalfEEvPKvPT_.has_recursion, 0
	.set _ZL21dequantize_block_q4_KIN3c104HalfEEvPKvPT_.has_indirect_call, 0
	.section	.AMDGPU.csdata,"",@progbits
; Kernel info:
; codeLenInByte = 728
; TotalNumSgprs: 9
; NumVgprs: 15
; ScratchSize: 0
; MemoryBound: 0
; FloatMode: 240
; IeeeMode: 1
; LDSByteSize: 0 bytes/workgroup (compile time only)
; SGPRBlocks: 0
; VGPRBlocks: 1
; NumSGPRsForWavesPerEU: 9
; NumVGPRsForWavesPerEU: 15
; Occupancy: 16
; WaveLimiterHint : 0
; COMPUTE_PGM_RSRC2:SCRATCH_EN: 0
; COMPUTE_PGM_RSRC2:USER_SGPR: 6
; COMPUTE_PGM_RSRC2:TRAP_HANDLER: 0
; COMPUTE_PGM_RSRC2:TGID_X_EN: 1
; COMPUTE_PGM_RSRC2:TGID_Y_EN: 0
; COMPUTE_PGM_RSRC2:TGID_Z_EN: 0
; COMPUTE_PGM_RSRC2:TIDIG_COMP_CNT: 0
	.section	.text._ZL21dequantize_block_q5_KIN3c104HalfEEvPKvPT_,"axG",@progbits,_ZL21dequantize_block_q5_KIN3c104HalfEEvPKvPT_,comdat
	.globl	_ZL21dequantize_block_q5_KIN3c104HalfEEvPKvPT_ ; -- Begin function _ZL21dequantize_block_q5_KIN3c104HalfEEvPKvPT_
	.p2align	8
	.type	_ZL21dequantize_block_q5_KIN3c104HalfEEvPKvPT_,@function
_ZL21dequantize_block_q5_KIN3c104HalfEEvPKvPT_: ; @_ZL21dequantize_block_q5_KIN3c104HalfEEvPKvPT_
; %bb.0:
	s_load_dwordx2 s[0:1], s[4:5], 0x0
	v_lshrrev_b32_e32 v4, 4, v0
	s_mul_i32 s3, s6, 0xb0
	s_mul_hi_u32 s2, s6, 0xb0
	v_cmp_lt_u32_e32 vcc_lo, 31, v0
                                        ; implicit-def: $vgpr6
                                        ; implicit-def: $vgpr5
	v_lshlrev_b32_e32 v3, 1, v4
	s_waitcnt lgkmcnt(0)
	s_add_u32 s0, s0, s3
	s_addc_u32 s1, s1, s2
	v_add_co_u32 v1, s2, s0, v3
	v_add_co_ci_u32_e64 v2, null, s1, 0, s2
	s_and_saveexec_b32 s2, vcc_lo
	s_xor_b32 s2, exec_lo, s2
	s_cbranch_execz .LBB27_2
; %bb.1:
	s_clause 0x2
	global_load_ubyte v5, v[1:2], off
	global_load_ubyte v6, v[1:2], off offset:4
	global_load_ubyte v7, v[1:2], off offset:8
	s_waitcnt vmcnt(2)
	v_lshrrev_b16 v5, 2, v5
	s_waitcnt vmcnt(1)
	v_lshrrev_b16 v6, 2, v6
	s_waitcnt vmcnt(0)
	v_and_b32_e32 v8, 15, v7
	v_lshrrev_b16 v7, 4, v7
	v_and_b32_e32 v5, 48, v5
	v_and_b32_e32 v6, 48, v6
	v_or_b32_e32 v5, v5, v8
	v_or_b32_e32 v6, v6, v7
.LBB27_2:
	s_andn2_saveexec_b32 s2, s2
	s_cbranch_execz .LBB27_4
; %bb.3:
	s_clause 0x1
	global_load_ubyte v5, v[1:2], off offset:4
	global_load_ubyte v6, v[1:2], off offset:8
	s_waitcnt vmcnt(1)
	v_and_b32_e32 v5, 63, v5
	s_waitcnt vmcnt(0)
	v_and_b32_e32 v6, 63, v6
.LBB27_4:
	s_or_b32 exec_lo, exec_lo, s2
	s_load_dwordx2 s[2:3], s[4:5], 0x8
	s_load_dword s4, s[0:1], 0x0
                                        ; implicit-def: $vgpr8
                                        ; implicit-def: $vgpr7
	s_and_saveexec_b32 s5, vcc_lo
	s_xor_b32 s5, exec_lo, s5
	s_cbranch_execz .LBB27_6
; %bb.5:
	s_clause 0x2
	global_load_ubyte v7, v[1:2], off offset:1
	global_load_ubyte v8, v[1:2], off offset:5
	;; [unrolled: 1-line block ×3, first 2 shown]
	s_waitcnt vmcnt(2)
	v_lshrrev_b16 v2, 2, v7
	s_waitcnt vmcnt(1)
	v_lshrrev_b16 v7, 2, v8
	s_waitcnt vmcnt(0)
	v_and_b32_e32 v8, 15, v1
	v_lshrrev_b16 v1, 4, v1
	v_and_b32_e32 v2, 48, v2
	v_and_b32_e32 v9, 48, v7
	v_or_b32_e32 v7, v2, v8
	v_or_b32_e32 v8, v9, v1
                                        ; implicit-def: $vgpr1_vgpr2
.LBB27_6:
	s_andn2_saveexec_b32 s5, s5
	s_cbranch_execz .LBB27_8
; %bb.7:
	s_clause 0x1
	global_load_ubyte v7, v[1:2], off offset:5
	global_load_ubyte v1, v[1:2], off offset:9
	s_waitcnt vmcnt(1)
	v_and_b32_e32 v7, 63, v7
	s_waitcnt vmcnt(0)
	v_and_b32_e32 v8, 63, v1
.LBB27_8:
	s_or_b32 exec_lo, exec_lo, s5
	v_lshlrev_b32_e32 v0, 1, v0
	v_lshlrev_b32_e32 v1, 5, v4
	v_lshlrev_b32_e64 v9, v3, 1
	v_mov_b32_e32 v11, 0xffff
	v_lshlrev_b32_e64 v3, v3, 2
	v_and_b32_e32 v2, 30, v0
	v_add_co_u32 v0, s5, s0, v1
	v_add_co_ci_u32_e64 v1, null, s1, 0, s5
	v_mov_b32_e32 v10, 15
	v_add_co_u32 v0, vcc_lo, v0, v2
	v_add_co_ci_u32_e64 v1, null, 0, v1, vcc_lo
	v_cvt_f16_u16_sdwa v8, v8 dst_sel:DWORD dst_unused:UNUSED_PAD src0_sel:BYTE_0
	s_waitcnt lgkmcnt(0)
	s_lshr_b32 s5, s4, 16
	s_clause 0x1
	global_load_ushort v0, v[0:1], off offset:48
	global_load_ushort v1, v2, s[0:1] offset:16
	s_mov_b32 s1, 0
	s_lshl_b32 s0, s6, 8
	v_lshlrev_b32_e32 v4, 7, v4
	s_lshl_b64 s[0:1], s[0:1], 1
	v_cvt_f16_u16_sdwa v6, v6 dst_sel:DWORD dst_unused:UNUSED_PAD src0_sel:BYTE_0
	v_cvt_f16_u16_sdwa v5, v5 dst_sel:DWORD dst_unused:UNUSED_PAD src0_sel:BYTE_0
	;; [unrolled: 1-line block ×3, first 2 shown]
	s_add_u32 s0, s2, s0
	s_addc_u32 s1, s3, s1
	v_lshlrev_b32_e32 v2, 1, v2
	v_add_co_u32 v4, s0, s0, v4
	v_mul_f16_e32 v6, s5, v6
	v_mul_f16_e32 v5, s4, v5
	;; [unrolled: 1-line block ×3, first 2 shown]
	s_waitcnt vmcnt(1)
	v_lshrrev_b16 v14, 4, v0
	s_waitcnt vmcnt(0)
	v_and_b32_sdwa v13, v9, v1 dst_sel:DWORD dst_unused:UNUSED_PAD src0_sel:DWORD src1_sel:BYTE_0
	v_and_b32_sdwa v11, v11, v1 dst_sel:DWORD dst_unused:UNUSED_PAD src0_sel:DWORD src1_sel:BYTE_1
	v_and_b32_sdwa v1, v3, v1 dst_sel:DWORD dst_unused:UNUSED_PAD src0_sel:DWORD src1_sel:BYTE_0
	v_and_b32_sdwa v10, v0, v10 dst_sel:DWORD dst_unused:UNUSED_PAD src0_sel:BYTE_1 src1_sel:DWORD
	v_and_b32_e32 v12, 15, v0
	v_cmp_eq_u32_e32 vcc_lo, 0, v13
	v_and_b32_e32 v9, v9, v11
	v_and_b32_e32 v3, v3, v11
	v_lshrrev_b16 v0, 12, v0
	v_and_b32_e32 v14, 15, v14
	v_cndmask_b32_e64 v13, 16, 0, vcc_lo
	v_cmp_eq_u32_e32 vcc_lo, 0, v1
	v_or_b32_sdwa v11, v13, v12 dst_sel:DWORD dst_unused:UNUSED_PAD src0_sel:DWORD src1_sel:WORD_0
	v_cndmask_b32_e64 v1, 16, 0, vcc_lo
	v_cmp_eq_u32_e32 vcc_lo, 0, v9
	v_or_b32_sdwa v1, v1, v14 dst_sel:DWORD dst_unused:UNUSED_PAD src0_sel:DWORD src1_sel:WORD_0
	v_cndmask_b32_e64 v9, 16, 0, vcc_lo
	v_cmp_eq_u32_e32 vcc_lo, 0, v3
	v_cvt_f32_ubyte0_e32 v1, v1
	v_or_b32_sdwa v9, v9, v10 dst_sel:DWORD dst_unused:UNUSED_PAD src0_sel:DWORD src1_sel:WORD_0
	v_cndmask_b32_e64 v3, 16, 0, vcc_lo
	v_add_co_ci_u32_e64 v10, null, s1, 0, s0
	v_cvt_f16_f32_e32 v1, v1
	v_cvt_f32_ubyte0_e32 v9, v9
	v_or_b32_sdwa v0, v3, v0 dst_sel:DWORD dst_unused:UNUSED_PAD src0_sel:DWORD src1_sel:WORD_0
	v_mul_f16_e32 v3, s5, v8
	v_cvt_f32_ubyte0_e32 v8, v11
	v_cvt_f16_f32_e32 v9, v9
	v_cvt_f32_ubyte0_e32 v0, v0
	v_cvt_f16_f32_e32 v8, v8
	v_cvt_f16_f32_e32 v0, v0
	v_pack_b32_f16 v8, v8, v9
	v_pack_b32_f16 v9, v1, v0
	v_add_co_u32 v0, vcc_lo, v4, v2
	v_add_co_ci_u32_e64 v1, null, 0, v10, vcc_lo
	v_pk_fma_f16 v2, v5, v8, v6 op_sel_hi:[0,1,0] neg_lo:[0,0,1] neg_hi:[0,0,1]
	v_pk_fma_f16 v3, v7, v9, v3 op_sel_hi:[0,1,0] neg_lo:[0,0,1] neg_hi:[0,0,1]
	global_store_dword v[0:1], v2, off
	global_store_dword v[0:1], v3, off offset:64
	s_endpgm
	.section	.rodata,"a",@progbits
	.p2align	6, 0x0
	.amdhsa_kernel _ZL21dequantize_block_q5_KIN3c104HalfEEvPKvPT_
		.amdhsa_group_segment_fixed_size 0
		.amdhsa_private_segment_fixed_size 0
		.amdhsa_kernarg_size 16
		.amdhsa_user_sgpr_count 6
		.amdhsa_user_sgpr_private_segment_buffer 1
		.amdhsa_user_sgpr_dispatch_ptr 0
		.amdhsa_user_sgpr_queue_ptr 0
		.amdhsa_user_sgpr_kernarg_segment_ptr 1
		.amdhsa_user_sgpr_dispatch_id 0
		.amdhsa_user_sgpr_flat_scratch_init 0
		.amdhsa_user_sgpr_private_segment_size 0
		.amdhsa_wavefront_size32 1
		.amdhsa_uses_dynamic_stack 0
		.amdhsa_system_sgpr_private_segment_wavefront_offset 0
		.amdhsa_system_sgpr_workgroup_id_x 1
		.amdhsa_system_sgpr_workgroup_id_y 0
		.amdhsa_system_sgpr_workgroup_id_z 0
		.amdhsa_system_sgpr_workgroup_info 0
		.amdhsa_system_vgpr_workitem_id 0
		.amdhsa_next_free_vgpr 15
		.amdhsa_next_free_sgpr 7
		.amdhsa_reserve_vcc 1
		.amdhsa_reserve_flat_scratch 0
		.amdhsa_float_round_mode_32 0
		.amdhsa_float_round_mode_16_64 0
		.amdhsa_float_denorm_mode_32 3
		.amdhsa_float_denorm_mode_16_64 3
		.amdhsa_dx10_clamp 1
		.amdhsa_ieee_mode 1
		.amdhsa_fp16_overflow 0
		.amdhsa_workgroup_processor_mode 1
		.amdhsa_memory_ordered 1
		.amdhsa_forward_progress 1
		.amdhsa_shared_vgpr_count 0
		.amdhsa_exception_fp_ieee_invalid_op 0
		.amdhsa_exception_fp_denorm_src 0
		.amdhsa_exception_fp_ieee_div_zero 0
		.amdhsa_exception_fp_ieee_overflow 0
		.amdhsa_exception_fp_ieee_underflow 0
		.amdhsa_exception_fp_ieee_inexact 0
		.amdhsa_exception_int_div_zero 0
	.end_amdhsa_kernel
	.section	.text._ZL21dequantize_block_q5_KIN3c104HalfEEvPKvPT_,"axG",@progbits,_ZL21dequantize_block_q5_KIN3c104HalfEEvPKvPT_,comdat
.Lfunc_end27:
	.size	_ZL21dequantize_block_q5_KIN3c104HalfEEvPKvPT_, .Lfunc_end27-_ZL21dequantize_block_q5_KIN3c104HalfEEvPKvPT_
                                        ; -- End function
	.set _ZL21dequantize_block_q5_KIN3c104HalfEEvPKvPT_.num_vgpr, 15
	.set _ZL21dequantize_block_q5_KIN3c104HalfEEvPKvPT_.num_agpr, 0
	.set _ZL21dequantize_block_q5_KIN3c104HalfEEvPKvPT_.numbered_sgpr, 7
	.set _ZL21dequantize_block_q5_KIN3c104HalfEEvPKvPT_.num_named_barrier, 0
	.set _ZL21dequantize_block_q5_KIN3c104HalfEEvPKvPT_.private_seg_size, 0
	.set _ZL21dequantize_block_q5_KIN3c104HalfEEvPKvPT_.uses_vcc, 1
	.set _ZL21dequantize_block_q5_KIN3c104HalfEEvPKvPT_.uses_flat_scratch, 0
	.set _ZL21dequantize_block_q5_KIN3c104HalfEEvPKvPT_.has_dyn_sized_stack, 0
	.set _ZL21dequantize_block_q5_KIN3c104HalfEEvPKvPT_.has_recursion, 0
	.set _ZL21dequantize_block_q5_KIN3c104HalfEEvPKvPT_.has_indirect_call, 0
	.section	.AMDGPU.csdata,"",@progbits
; Kernel info:
; codeLenInByte = 812
; TotalNumSgprs: 9
; NumVgprs: 15
; ScratchSize: 0
; MemoryBound: 0
; FloatMode: 240
; IeeeMode: 1
; LDSByteSize: 0 bytes/workgroup (compile time only)
; SGPRBlocks: 0
; VGPRBlocks: 1
; NumSGPRsForWavesPerEU: 9
; NumVGPRsForWavesPerEU: 15
; Occupancy: 16
; WaveLimiterHint : 0
; COMPUTE_PGM_RSRC2:SCRATCH_EN: 0
; COMPUTE_PGM_RSRC2:USER_SGPR: 6
; COMPUTE_PGM_RSRC2:TRAP_HANDLER: 0
; COMPUTE_PGM_RSRC2:TGID_X_EN: 1
; COMPUTE_PGM_RSRC2:TGID_Y_EN: 0
; COMPUTE_PGM_RSRC2:TGID_Z_EN: 0
; COMPUTE_PGM_RSRC2:TIDIG_COMP_CNT: 0
	.section	.text._ZL21dequantize_block_q6_KIN3c104HalfEEvPKvPT_,"axG",@progbits,_ZL21dequantize_block_q6_KIN3c104HalfEEvPKvPT_,comdat
	.globl	_ZL21dequantize_block_q6_KIN3c104HalfEEvPKvPT_ ; -- Begin function _ZL21dequantize_block_q6_KIN3c104HalfEEvPKvPT_
	.p2align	8
	.type	_ZL21dequantize_block_q6_KIN3c104HalfEEvPKvPT_,@function
_ZL21dequantize_block_q6_KIN3c104HalfEEvPKvPT_: ; @_ZL21dequantize_block_q6_KIN3c104HalfEEvPKvPT_
; %bb.0:
	s_load_dwordx4 s[0:3], s[4:5], 0x0
	v_lshrrev_b32_e32 v3, 5, v0
	s_mov_b32 s5, 0
	s_lshl_b32 s4, s6, 8
	s_mul_hi_u32 s7, s6, 0xd2
	s_lshl_b64 s[4:5], s[4:5], 1
	v_lshlrev_b32_e32 v1, 6, v3
	s_mulk_i32 s6, 0xd2
	v_and_b32_e32 v4, 31, v0
	v_mov_b32_e32 v9, 0
	v_mov_b32_e32 v15, 32
	s_waitcnt lgkmcnt(0)
	s_add_u32 s2, s2, s4
	s_addc_u32 s3, s3, s5
	s_add_u32 s0, s0, s6
	s_addc_u32 s1, s1, s7
	v_add_co_u32 v1, s4, s0, v1
	v_add_co_ci_u32_e64 v2, null, s1, 0, s4
	global_load_ubyte v5, v0, s[0:1] offset:128
	v_add_co_u32 v1, vcc_lo, v1, v4
	v_add_co_ci_u32_e64 v2, null, 0, v2, vcc_lo
	v_bfe_u32 v0, v0, 4, 1
	s_clause 0x1
	global_load_ubyte v6, v[1:2], off
	global_load_ubyte v1, v[1:2], off offset:32
	v_lshl_or_b32 v0, v3, 3, v0
	s_clause 0x4
	global_load_sbyte v2, v0, s[0:1] offset:192
	global_load_sbyte v7, v0, s[0:1] offset:194
	;; [unrolled: 1-line block ×4, first 2 shown]
	global_load_ushort v9, v9, s[0:1] offset:208
	v_lshlrev_b32_e32 v3, 8, v3
	v_add_co_u32 v3, s0, s2, v3
	s_waitcnt vmcnt(7)
	v_lshlrev_b16 v10, 4, v5
	v_lshlrev_b16 v11, 2, v5
	v_lshrrev_b16 v12, 2, v5
	v_and_b32_e32 v5, 48, v5
	v_and_b32_e32 v10, 48, v10
	;; [unrolled: 1-line block ×3, first 2 shown]
	s_waitcnt vmcnt(6)
	v_and_b32_e32 v13, 15, v6
	s_waitcnt vmcnt(5)
	v_and_b32_e32 v14, 15, v1
	v_lshrrev_b16 v6, 4, v6
	v_and_b32_e32 v12, 48, v12
	v_lshrrev_b16 v1, 4, v1
	v_or_b32_e32 v10, v13, v10
	v_or_b32_e32 v11, v14, v11
	;; [unrolled: 1-line block ×4, first 2 shown]
	v_sub_nc_u32_sdwa v6, v10, v15 dst_sel:DWORD dst_unused:UNUSED_PAD src0_sel:WORD_0 src1_sel:DWORD
	v_sub_nc_u32_sdwa v10, v11, v15 dst_sel:DWORD dst_unused:UNUSED_PAD src0_sel:WORD_0 src1_sel:DWORD
	;; [unrolled: 1-line block ×4, first 2 shown]
	s_waitcnt vmcnt(4)
	v_mul_i32_i24_e32 v2, v6, v2
	s_waitcnt vmcnt(3)
	v_mul_i32_i24_e32 v6, v10, v7
	;; [unrolled: 2-line block ×4, first 2 shown]
	v_cvt_f32_i32_e32 v2, v2
	v_lshlrev_b32_e32 v1, 1, v4
	v_cvt_f32_i32_e32 v4, v6
	v_cvt_f32_i32_e32 v5, v5
	;; [unrolled: 1-line block ×3, first 2 shown]
	v_add_co_ci_u32_e64 v6, null, s3, 0, s0
	v_cvt_f16_f32_e32 v2, v2
	v_cvt_f16_f32_e32 v4, v4
	;; [unrolled: 1-line block ×4, first 2 shown]
	v_add_co_u32 v0, vcc_lo, v3, v1
	v_add_co_ci_u32_e64 v1, null, 0, v6, vcc_lo
	s_waitcnt vmcnt(0)
	v_mul_f16_e32 v2, v9, v2
	v_mul_f16_e32 v3, v9, v4
	;; [unrolled: 1-line block ×4, first 2 shown]
	global_store_short v[0:1], v2, off
	global_store_short v[0:1], v3, off offset:64
	global_store_short v[0:1], v4, off offset:128
	;; [unrolled: 1-line block ×3, first 2 shown]
	s_endpgm
	.section	.rodata,"a",@progbits
	.p2align	6, 0x0
	.amdhsa_kernel _ZL21dequantize_block_q6_KIN3c104HalfEEvPKvPT_
		.amdhsa_group_segment_fixed_size 0
		.amdhsa_private_segment_fixed_size 0
		.amdhsa_kernarg_size 16
		.amdhsa_user_sgpr_count 6
		.amdhsa_user_sgpr_private_segment_buffer 1
		.amdhsa_user_sgpr_dispatch_ptr 0
		.amdhsa_user_sgpr_queue_ptr 0
		.amdhsa_user_sgpr_kernarg_segment_ptr 1
		.amdhsa_user_sgpr_dispatch_id 0
		.amdhsa_user_sgpr_flat_scratch_init 0
		.amdhsa_user_sgpr_private_segment_size 0
		.amdhsa_wavefront_size32 1
		.amdhsa_uses_dynamic_stack 0
		.amdhsa_system_sgpr_private_segment_wavefront_offset 0
		.amdhsa_system_sgpr_workgroup_id_x 1
		.amdhsa_system_sgpr_workgroup_id_y 0
		.amdhsa_system_sgpr_workgroup_id_z 0
		.amdhsa_system_sgpr_workgroup_info 0
		.amdhsa_system_vgpr_workitem_id 0
		.amdhsa_next_free_vgpr 16
		.amdhsa_next_free_sgpr 8
		.amdhsa_reserve_vcc 1
		.amdhsa_reserve_flat_scratch 0
		.amdhsa_float_round_mode_32 0
		.amdhsa_float_round_mode_16_64 0
		.amdhsa_float_denorm_mode_32 3
		.amdhsa_float_denorm_mode_16_64 3
		.amdhsa_dx10_clamp 1
		.amdhsa_ieee_mode 1
		.amdhsa_fp16_overflow 0
		.amdhsa_workgroup_processor_mode 1
		.amdhsa_memory_ordered 1
		.amdhsa_forward_progress 1
		.amdhsa_shared_vgpr_count 0
		.amdhsa_exception_fp_ieee_invalid_op 0
		.amdhsa_exception_fp_denorm_src 0
		.amdhsa_exception_fp_ieee_div_zero 0
		.amdhsa_exception_fp_ieee_overflow 0
		.amdhsa_exception_fp_ieee_underflow 0
		.amdhsa_exception_fp_ieee_inexact 0
		.amdhsa_exception_int_div_zero 0
	.end_amdhsa_kernel
	.section	.text._ZL21dequantize_block_q6_KIN3c104HalfEEvPKvPT_,"axG",@progbits,_ZL21dequantize_block_q6_KIN3c104HalfEEvPKvPT_,comdat
.Lfunc_end28:
	.size	_ZL21dequantize_block_q6_KIN3c104HalfEEvPKvPT_, .Lfunc_end28-_ZL21dequantize_block_q6_KIN3c104HalfEEvPKvPT_
                                        ; -- End function
	.set _ZL21dequantize_block_q6_KIN3c104HalfEEvPKvPT_.num_vgpr, 16
	.set _ZL21dequantize_block_q6_KIN3c104HalfEEvPKvPT_.num_agpr, 0
	.set _ZL21dequantize_block_q6_KIN3c104HalfEEvPKvPT_.numbered_sgpr, 8
	.set _ZL21dequantize_block_q6_KIN3c104HalfEEvPKvPT_.num_named_barrier, 0
	.set _ZL21dequantize_block_q6_KIN3c104HalfEEvPKvPT_.private_seg_size, 0
	.set _ZL21dequantize_block_q6_KIN3c104HalfEEvPKvPT_.uses_vcc, 1
	.set _ZL21dequantize_block_q6_KIN3c104HalfEEvPKvPT_.uses_flat_scratch, 0
	.set _ZL21dequantize_block_q6_KIN3c104HalfEEvPKvPT_.has_dyn_sized_stack, 0
	.set _ZL21dequantize_block_q6_KIN3c104HalfEEvPKvPT_.has_recursion, 0
	.set _ZL21dequantize_block_q6_KIN3c104HalfEEvPKvPT_.has_indirect_call, 0
	.section	.AMDGPU.csdata,"",@progbits
; Kernel info:
; codeLenInByte = 476
; TotalNumSgprs: 10
; NumVgprs: 16
; ScratchSize: 0
; MemoryBound: 0
; FloatMode: 240
; IeeeMode: 1
; LDSByteSize: 0 bytes/workgroup (compile time only)
; SGPRBlocks: 0
; VGPRBlocks: 1
; NumSGPRsForWavesPerEU: 10
; NumVGPRsForWavesPerEU: 16
; Occupancy: 16
; WaveLimiterHint : 0
; COMPUTE_PGM_RSRC2:SCRATCH_EN: 0
; COMPUTE_PGM_RSRC2:USER_SGPR: 6
; COMPUTE_PGM_RSRC2:TRAP_HANDLER: 0
; COMPUTE_PGM_RSRC2:TGID_X_EN: 1
; COMPUTE_PGM_RSRC2:TGID_Y_EN: 0
; COMPUTE_PGM_RSRC2:TGID_Z_EN: 0
; COMPUTE_PGM_RSRC2:TIDIG_COMP_CNT: 0
	.section	.text._ZL24dequantize_block_iq2_xxsIN3c104HalfEEvPKvPT_,"axG",@progbits,_ZL24dequantize_block_iq2_xxsIN3c104HalfEEvPKvPT_,comdat
	.globl	_ZL24dequantize_block_iq2_xxsIN3c104HalfEEvPKvPT_ ; -- Begin function _ZL24dequantize_block_iq2_xxsIN3c104HalfEEvPKvPT_
	.p2align	8
	.type	_ZL24dequantize_block_iq2_xxsIN3c104HalfEEvPKvPT_,@function
_ZL24dequantize_block_iq2_xxsIN3c104HalfEEvPKvPT_: ; @_ZL24dequantize_block_iq2_xxsIN3c104HalfEEvPKvPT_
; %bb.0:
	s_load_dwordx4 s[0:3], s[4:5], 0x0
	v_and_b32_e32 v3, 7, v0
	s_mov_b32 s5, 0
	s_lshl_b32 s4, s6, 8
	s_mul_hi_u32 s7, s6, 0x42
	s_lshl_b64 s[4:5], s[4:5], 1
	v_lshlrev_b32_e32 v5, 3, v3
	s_mulk_i32 s6, 0x42
	v_lshrrev_b32_e32 v4, 3, v0
	v_mov_b32_e32 v6, 0
	v_and_b32_e32 v0, 0x3f8, v0
	v_lshlrev_b32_e32 v3, 6, v3
	v_lshlrev_b32_e32 v0, 1, v0
	s_waitcnt lgkmcnt(0)
	s_add_u32 s4, s2, s4
	s_addc_u32 s5, s3, s5
	s_add_u32 s0, s0, s6
	s_addc_u32 s1, s1, s7
	v_add_co_u32 v1, s2, s0, v5
	v_add_co_ci_u32_e64 v2, null, s1, 0, s2
	v_add_co_u32 v1, vcc_lo, v1, v4
	v_add_co_ci_u32_e64 v2, null, 0, v2, vcc_lo
	s_clause 0x2
	global_load_ubyte v1, v[1:2], off offset:2
	global_load_ushort v6, v6, s[0:1]
	global_load_dword v5, v5, s[0:1] offset:6
	v_mul_u32_u24_e32 v2, 7, v4
	s_getpc_b64 s[0:1]
	s_add_u32 s0, s0, _ZL11iq2xxs_grid@rel32@lo+4
	s_addc_u32 s1, s1, _ZL11iq2xxs_grid@rel32@hi+12
	s_getpc_b64 s[2:3]
	s_add_u32 s2, s2, _ZL12ksigns_iq2xs@rel32@lo+4
	s_addc_u32 s3, s3, _ZL12ksigns_iq2xs@rel32@hi+12
	s_waitcnt vmcnt(2)
	v_lshlrev_b32_e32 v1, 3, v1
	s_waitcnt vmcnt(1)
	v_cvt_f32_f16_e32 v6, v6
	s_waitcnt vmcnt(0)
	v_bfe_u32 v4, v5, v2, 7
	v_lshrrev_b32_e32 v5, 28, v5
	global_load_dwordx2 v[1:2], v1, s[0:1]
	global_load_sbyte v7, v4, s[2:3]
	v_add_co_u32 v3, s0, s4, v3
	v_cvt_f32_ubyte0_e32 v5, v5
	v_add_f32_e32 v5, 0.5, v5
	v_mul_f32_e32 v5, v5, v6
	v_add_co_ci_u32_e64 v6, null, s5, 0, s0
	v_mul_f32_e32 v5, 0x3e800000, v5
	s_waitcnt vmcnt(1)
	v_cvt_f32_ubyte0_e32 v8, v1
	s_waitcnt vmcnt(0)
	v_and_b32_e32 v9, 1, v7
	v_cvt_f32_ubyte1_e32 v10, v1
	v_and_b32_e32 v11, 2, v7
	v_cvt_f32_ubyte2_e32 v12, v1
	v_cvt_f32_ubyte3_e32 v1, v1
	v_cvt_f32_ubyte0_e32 v15, v2
	v_cvt_f32_ubyte1_e32 v17, v2
	v_cvt_f32_ubyte2_e32 v19, v2
	v_cvt_f32_ubyte3_e32 v2, v2
	v_mul_f32_e32 v8, v5, v8
	v_cmp_eq_u16_e32 vcc_lo, 0, v9
	v_and_b32_e32 v13, 4, v7
	v_mul_f32_e32 v10, v5, v10
	v_mul_f32_e32 v12, v5, v12
	;; [unrolled: 1-line block ×7, first 2 shown]
	v_cndmask_b32_e64 v5, -v8, v8, vcc_lo
	v_cmp_eq_u16_e32 vcc_lo, 0, v11
	v_and_b32_e32 v14, 8, v7
	v_and_b32_e32 v16, 16, v7
	;; [unrolled: 1-line block ×3, first 2 shown]
	v_cndmask_b32_e64 v8, -v10, v10, vcc_lo
	v_cmp_eq_u16_e32 vcc_lo, 0, v13
	v_cvt_f16_f32_e32 v8, v8
	v_cndmask_b32_e64 v9, -v12, v12, vcc_lo
	v_cmp_eq_u16_e32 vcc_lo, 0, v14
	v_cvt_f16_f32_e32 v9, v9
	;; [unrolled: 3-line block ×3, first 2 shown]
	v_cndmask_b32_e64 v10, -v15, v15, vcc_lo
	v_cmp_eq_u16_e32 vcc_lo, 0, v18
	v_pack_b32_f16 v1, v9, v1
	v_cvt_f16_f32_e32 v10, v10
	v_cndmask_b32_e64 v11, -v17, v17, vcc_lo
	v_cmp_gt_u32_e32 vcc_lo, 64, v4
	v_cvt_f16_f32_e32 v11, v11
	v_cndmask_b32_e64 v4, -v19, v19, vcc_lo
	v_cmp_gt_i16_e32 vcc_lo, 0, v7
	v_cvt_f16_f32_e32 v7, v5
	v_cvt_f16_f32_e32 v12, v4
	v_cndmask_b32_e64 v2, v2, -v2, vcc_lo
	v_add_co_u32 v4, vcc_lo, v3, v0
	v_add_co_ci_u32_e64 v5, null, 0, v6, vcc_lo
	v_cvt_f16_f32_e32 v2, v2
	v_pack_b32_f16 v0, v7, v8
	v_pack_b32_f16 v3, v12, v2
	;; [unrolled: 1-line block ×3, first 2 shown]
	global_store_dwordx4 v[4:5], v[0:3], off
	s_endpgm
	.section	.rodata,"a",@progbits
	.p2align	6, 0x0
	.amdhsa_kernel _ZL24dequantize_block_iq2_xxsIN3c104HalfEEvPKvPT_
		.amdhsa_group_segment_fixed_size 0
		.amdhsa_private_segment_fixed_size 0
		.amdhsa_kernarg_size 16
		.amdhsa_user_sgpr_count 6
		.amdhsa_user_sgpr_private_segment_buffer 1
		.amdhsa_user_sgpr_dispatch_ptr 0
		.amdhsa_user_sgpr_queue_ptr 0
		.amdhsa_user_sgpr_kernarg_segment_ptr 1
		.amdhsa_user_sgpr_dispatch_id 0
		.amdhsa_user_sgpr_flat_scratch_init 0
		.amdhsa_user_sgpr_private_segment_size 0
		.amdhsa_wavefront_size32 1
		.amdhsa_uses_dynamic_stack 0
		.amdhsa_system_sgpr_private_segment_wavefront_offset 0
		.amdhsa_system_sgpr_workgroup_id_x 1
		.amdhsa_system_sgpr_workgroup_id_y 0
		.amdhsa_system_sgpr_workgroup_id_z 0
		.amdhsa_system_sgpr_workgroup_info 0
		.amdhsa_system_vgpr_workitem_id 0
		.amdhsa_next_free_vgpr 20
		.amdhsa_next_free_sgpr 8
		.amdhsa_reserve_vcc 1
		.amdhsa_reserve_flat_scratch 0
		.amdhsa_float_round_mode_32 0
		.amdhsa_float_round_mode_16_64 0
		.amdhsa_float_denorm_mode_32 3
		.amdhsa_float_denorm_mode_16_64 3
		.amdhsa_dx10_clamp 1
		.amdhsa_ieee_mode 1
		.amdhsa_fp16_overflow 0
		.amdhsa_workgroup_processor_mode 1
		.amdhsa_memory_ordered 1
		.amdhsa_forward_progress 1
		.amdhsa_shared_vgpr_count 0
		.amdhsa_exception_fp_ieee_invalid_op 0
		.amdhsa_exception_fp_denorm_src 0
		.amdhsa_exception_fp_ieee_div_zero 0
		.amdhsa_exception_fp_ieee_overflow 0
		.amdhsa_exception_fp_ieee_underflow 0
		.amdhsa_exception_fp_ieee_inexact 0
		.amdhsa_exception_int_div_zero 0
	.end_amdhsa_kernel
	.section	.text._ZL24dequantize_block_iq2_xxsIN3c104HalfEEvPKvPT_,"axG",@progbits,_ZL24dequantize_block_iq2_xxsIN3c104HalfEEvPKvPT_,comdat
.Lfunc_end29:
	.size	_ZL24dequantize_block_iq2_xxsIN3c104HalfEEvPKvPT_, .Lfunc_end29-_ZL24dequantize_block_iq2_xxsIN3c104HalfEEvPKvPT_
                                        ; -- End function
	.set _ZL24dequantize_block_iq2_xxsIN3c104HalfEEvPKvPT_.num_vgpr, 20
	.set _ZL24dequantize_block_iq2_xxsIN3c104HalfEEvPKvPT_.num_agpr, 0
	.set _ZL24dequantize_block_iq2_xxsIN3c104HalfEEvPKvPT_.numbered_sgpr, 8
	.set _ZL24dequantize_block_iq2_xxsIN3c104HalfEEvPKvPT_.num_named_barrier, 0
	.set _ZL24dequantize_block_iq2_xxsIN3c104HalfEEvPKvPT_.private_seg_size, 0
	.set _ZL24dequantize_block_iq2_xxsIN3c104HalfEEvPKvPT_.uses_vcc, 1
	.set _ZL24dequantize_block_iq2_xxsIN3c104HalfEEvPKvPT_.uses_flat_scratch, 0
	.set _ZL24dequantize_block_iq2_xxsIN3c104HalfEEvPKvPT_.has_dyn_sized_stack, 0
	.set _ZL24dequantize_block_iq2_xxsIN3c104HalfEEvPKvPT_.has_recursion, 0
	.set _ZL24dequantize_block_iq2_xxsIN3c104HalfEEvPKvPT_.has_indirect_call, 0
	.section	.AMDGPU.csdata,"",@progbits
; Kernel info:
; codeLenInByte = 556
; TotalNumSgprs: 10
; NumVgprs: 20
; ScratchSize: 0
; MemoryBound: 0
; FloatMode: 240
; IeeeMode: 1
; LDSByteSize: 0 bytes/workgroup (compile time only)
; SGPRBlocks: 0
; VGPRBlocks: 2
; NumSGPRsForWavesPerEU: 10
; NumVGPRsForWavesPerEU: 20
; Occupancy: 16
; WaveLimiterHint : 0
; COMPUTE_PGM_RSRC2:SCRATCH_EN: 0
; COMPUTE_PGM_RSRC2:USER_SGPR: 6
; COMPUTE_PGM_RSRC2:TRAP_HANDLER: 0
; COMPUTE_PGM_RSRC2:TGID_X_EN: 1
; COMPUTE_PGM_RSRC2:TGID_Y_EN: 0
; COMPUTE_PGM_RSRC2:TGID_Z_EN: 0
; COMPUTE_PGM_RSRC2:TIDIG_COMP_CNT: 0
	.section	.text._ZL23dequantize_block_iq2_xsIN3c104HalfEEvPKvPT_,"axG",@progbits,_ZL23dequantize_block_iq2_xsIN3c104HalfEEvPKvPT_,comdat
	.globl	_ZL23dequantize_block_iq2_xsIN3c104HalfEEvPKvPT_ ; -- Begin function _ZL23dequantize_block_iq2_xsIN3c104HalfEEvPKvPT_
	.p2align	8
	.type	_ZL23dequantize_block_iq2_xsIN3c104HalfEEvPKvPT_,@function
_ZL23dequantize_block_iq2_xsIN3c104HalfEEvPKvPT_: ; @_ZL23dequantize_block_iq2_xsIN3c104HalfEEvPKvPT_
; %bb.0:
	s_load_dwordx4 s[0:3], s[4:5], 0x0
	v_and_b32_e32 v5, 7, v0
	s_mov_b32 s5, 0
	s_lshl_b32 s4, s6, 8
	v_lshrrev_b32_e32 v6, 2, v0
	s_lshl_b64 s[4:5], s[4:5], 1
	v_lshlrev_b32_e32 v1, 3, v5
	s_mul_hi_u32 s7, s6, 0x4a
	s_mulk_i32 s6, 0x4a
	v_and_b32_e32 v2, 0xfe, v6
	v_and_b32_e32 v0, 0x3f8, v0
	v_lshlrev_b32_e32 v0, 1, v0
	s_waitcnt lgkmcnt(0)
	s_add_u32 s4, s2, s4
	s_addc_u32 s5, s3, s5
	s_add_u32 s0, s0, s6
	s_addc_u32 s1, s1, s7
	v_add_co_u32 v1, s2, s0, v1
	v_add_co_ci_u32_e64 v3, null, s1, 0, s2
	v_add_co_u32 v1, vcc_lo, v1, v2
	v_add_co_ci_u32_e64 v2, null, 0, v3, vcc_lo
	global_load_ushort v7, v[1:2], off offset:2
	v_mov_b32_e32 v1, 0
	s_clause 0x1
	global_load_ushort v8, v1, s[0:1]
	global_load_ubyte v9, v5, s[0:1] offset:66
	v_mov_b32_e32 v1, 3
	s_getpc_b64 s[0:1]
	s_add_u32 s0, s0, _ZL10iq2xs_grid@rel32@lo+4
	s_addc_u32 s1, s1, _ZL10iq2xs_grid@rel32@hi+12
	s_getpc_b64 s[2:3]
	s_add_u32 s2, s2, _ZL12ksigns_iq2xs@rel32@lo+4
	s_addc_u32 s3, s3, _ZL12ksigns_iq2xs@rel32@hi+12
	v_lshlrev_b32_e32 v5, 6, v5
	s_waitcnt vmcnt(2)
	v_and_b32_e32 v2, 0x1ff, v7
	v_lshrrev_b16 v3, 9, v7
	v_lshlrev_b32_sdwa v1, v1, v2 dst_sel:DWORD dst_unused:UNUSED_PAD src0_sel:DWORD src1_sel:WORD_0
	v_and_b32_e32 v3, 0xffff, v3
	global_load_dwordx2 v[1:2], v1, s[0:1]
	v_add_co_u32 v3, s0, s2, v3
	v_add_co_ci_u32_e64 v4, null, s3, 0, s0
	v_add_co_u32 v5, s0, s4, v5
	global_load_sbyte v3, v[3:4], off
	v_and_b32_e32 v4, 0xfc, v6
	s_waitcnt vmcnt(3)
	v_cvt_f32_f16_e32 v6, v8
	s_waitcnt vmcnt(2)
	v_bfe_u32 v4, v9, v4, 4
	v_cvt_f32_ubyte0_e32 v4, v4
	v_add_f32_e32 v4, 0.5, v4
	v_mul_f32_e32 v4, v4, v6
	v_add_co_ci_u32_e64 v6, null, s5, 0, s0
	v_mul_f32_e32 v4, 0x3e800000, v4
	s_waitcnt vmcnt(1)
	v_cvt_f32_ubyte0_e32 v8, v1
	v_cvt_f32_ubyte1_e32 v9, v1
	v_cvt_f32_ubyte2_e32 v10, v1
	v_cvt_f32_ubyte3_e32 v1, v1
	v_cvt_f32_ubyte0_e32 v11, v2
	v_cvt_f32_ubyte1_e32 v12, v2
	v_cvt_f32_ubyte2_e32 v13, v2
	v_cvt_f32_ubyte3_e32 v2, v2
	s_waitcnt vmcnt(0)
	v_and_b32_e32 v14, 1, v3
	v_mul_f32_e32 v8, v4, v8
	v_and_b32_e32 v15, 2, v3
	v_mul_f32_e32 v9, v4, v9
	v_mul_f32_e32 v10, v4, v10
	v_cmp_eq_u16_e32 vcc_lo, 0, v14
	v_and_b32_e32 v16, 4, v3
	v_mul_f32_e32 v1, v4, v1
	v_mul_f32_e32 v11, v4, v11
	;; [unrolled: 1-line block ×5, first 2 shown]
	v_cndmask_b32_e64 v4, -v8, v8, vcc_lo
	v_cmp_eq_u16_e32 vcc_lo, 0, v15
	v_and_b32_e32 v17, 8, v3
	v_and_b32_e32 v18, 16, v3
	;; [unrolled: 1-line block ×3, first 2 shown]
	v_cndmask_b32_e64 v8, -v9, v9, vcc_lo
	v_cmp_eq_u16_e32 vcc_lo, 0, v16
	v_cvt_f16_f32_e32 v8, v8
	v_cndmask_b32_e64 v9, -v10, v10, vcc_lo
	v_cmp_eq_u16_e32 vcc_lo, 0, v17
	v_cvt_f16_f32_e32 v9, v9
	;; [unrolled: 3-line block ×3, first 2 shown]
	v_cndmask_b32_e64 v10, -v11, v11, vcc_lo
	v_cmp_eq_u16_e32 vcc_lo, 0, v19
	v_pack_b32_f16 v1, v9, v1
	v_cvt_f16_f32_e32 v10, v10
	v_cndmask_b32_e64 v11, -v12, v12, vcc_lo
	v_cmp_gt_i16_e32 vcc_lo, 0, v7
	v_cvt_f16_f32_e32 v12, v4
	v_cvt_f16_f32_e32 v11, v11
	v_cndmask_b32_e64 v7, v13, -v13, vcc_lo
	v_cmp_gt_i16_e32 vcc_lo, 0, v3
	v_cvt_f16_f32_e32 v3, v7
	v_cndmask_b32_e64 v2, v2, -v2, vcc_lo
	v_add_co_u32 v4, vcc_lo, v5, v0
	v_add_co_ci_u32_e64 v5, null, 0, v6, vcc_lo
	v_cvt_f16_f32_e32 v2, v2
	v_pack_b32_f16 v0, v12, v8
	v_pack_b32_f16 v3, v3, v2
	;; [unrolled: 1-line block ×3, first 2 shown]
	global_store_dwordx4 v[4:5], v[0:3], off
	s_endpgm
	.section	.rodata,"a",@progbits
	.p2align	6, 0x0
	.amdhsa_kernel _ZL23dequantize_block_iq2_xsIN3c104HalfEEvPKvPT_
		.amdhsa_group_segment_fixed_size 0
		.amdhsa_private_segment_fixed_size 0
		.amdhsa_kernarg_size 16
		.amdhsa_user_sgpr_count 6
		.amdhsa_user_sgpr_private_segment_buffer 1
		.amdhsa_user_sgpr_dispatch_ptr 0
		.amdhsa_user_sgpr_queue_ptr 0
		.amdhsa_user_sgpr_kernarg_segment_ptr 1
		.amdhsa_user_sgpr_dispatch_id 0
		.amdhsa_user_sgpr_flat_scratch_init 0
		.amdhsa_user_sgpr_private_segment_size 0
		.amdhsa_wavefront_size32 1
		.amdhsa_uses_dynamic_stack 0
		.amdhsa_system_sgpr_private_segment_wavefront_offset 0
		.amdhsa_system_sgpr_workgroup_id_x 1
		.amdhsa_system_sgpr_workgroup_id_y 0
		.amdhsa_system_sgpr_workgroup_id_z 0
		.amdhsa_system_sgpr_workgroup_info 0
		.amdhsa_system_vgpr_workitem_id 0
		.amdhsa_next_free_vgpr 20
		.amdhsa_next_free_sgpr 8
		.amdhsa_reserve_vcc 1
		.amdhsa_reserve_flat_scratch 0
		.amdhsa_float_round_mode_32 0
		.amdhsa_float_round_mode_16_64 0
		.amdhsa_float_denorm_mode_32 3
		.amdhsa_float_denorm_mode_16_64 3
		.amdhsa_dx10_clamp 1
		.amdhsa_ieee_mode 1
		.amdhsa_fp16_overflow 0
		.amdhsa_workgroup_processor_mode 1
		.amdhsa_memory_ordered 1
		.amdhsa_forward_progress 1
		.amdhsa_shared_vgpr_count 0
		.amdhsa_exception_fp_ieee_invalid_op 0
		.amdhsa_exception_fp_denorm_src 0
		.amdhsa_exception_fp_ieee_div_zero 0
		.amdhsa_exception_fp_ieee_overflow 0
		.amdhsa_exception_fp_ieee_underflow 0
		.amdhsa_exception_fp_ieee_inexact 0
		.amdhsa_exception_int_div_zero 0
	.end_amdhsa_kernel
	.section	.text._ZL23dequantize_block_iq2_xsIN3c104HalfEEvPKvPT_,"axG",@progbits,_ZL23dequantize_block_iq2_xsIN3c104HalfEEvPKvPT_,comdat
.Lfunc_end30:
	.size	_ZL23dequantize_block_iq2_xsIN3c104HalfEEvPKvPT_, .Lfunc_end30-_ZL23dequantize_block_iq2_xsIN3c104HalfEEvPKvPT_
                                        ; -- End function
	.set _ZL23dequantize_block_iq2_xsIN3c104HalfEEvPKvPT_.num_vgpr, 20
	.set _ZL23dequantize_block_iq2_xsIN3c104HalfEEvPKvPT_.num_agpr, 0
	.set _ZL23dequantize_block_iq2_xsIN3c104HalfEEvPKvPT_.numbered_sgpr, 8
	.set _ZL23dequantize_block_iq2_xsIN3c104HalfEEvPKvPT_.num_named_barrier, 0
	.set _ZL23dequantize_block_iq2_xsIN3c104HalfEEvPKvPT_.private_seg_size, 0
	.set _ZL23dequantize_block_iq2_xsIN3c104HalfEEvPKvPT_.uses_vcc, 1
	.set _ZL23dequantize_block_iq2_xsIN3c104HalfEEvPKvPT_.uses_flat_scratch, 0
	.set _ZL23dequantize_block_iq2_xsIN3c104HalfEEvPKvPT_.has_dyn_sized_stack, 0
	.set _ZL23dequantize_block_iq2_xsIN3c104HalfEEvPKvPT_.has_recursion, 0
	.set _ZL23dequantize_block_iq2_xsIN3c104HalfEEvPKvPT_.has_indirect_call, 0
	.section	.AMDGPU.csdata,"",@progbits
; Kernel info:
; codeLenInByte = 612
; TotalNumSgprs: 10
; NumVgprs: 20
; ScratchSize: 0
; MemoryBound: 0
; FloatMode: 240
; IeeeMode: 1
; LDSByteSize: 0 bytes/workgroup (compile time only)
; SGPRBlocks: 0
; VGPRBlocks: 2
; NumSGPRsForWavesPerEU: 10
; NumVGPRsForWavesPerEU: 20
; Occupancy: 16
; WaveLimiterHint : 0
; COMPUTE_PGM_RSRC2:SCRATCH_EN: 0
; COMPUTE_PGM_RSRC2:USER_SGPR: 6
; COMPUTE_PGM_RSRC2:TRAP_HANDLER: 0
; COMPUTE_PGM_RSRC2:TGID_X_EN: 1
; COMPUTE_PGM_RSRC2:TGID_Y_EN: 0
; COMPUTE_PGM_RSRC2:TGID_Z_EN: 0
; COMPUTE_PGM_RSRC2:TIDIG_COMP_CNT: 0
	.section	.text._ZL24dequantize_block_iq3_xxsIN3c104HalfEEvPKvPT_,"axG",@progbits,_ZL24dequantize_block_iq3_xxsIN3c104HalfEEvPKvPT_,comdat
	.globl	_ZL24dequantize_block_iq3_xxsIN3c104HalfEEvPKvPT_ ; -- Begin function _ZL24dequantize_block_iq3_xxsIN3c104HalfEEvPKvPT_
	.p2align	8
	.type	_ZL24dequantize_block_iq3_xxsIN3c104HalfEEvPKvPT_,@function
_ZL24dequantize_block_iq3_xxsIN3c104HalfEEvPKvPT_: ; @_ZL24dequantize_block_iq3_xxsIN3c104HalfEEvPKvPT_
; %bb.0:
	s_load_dwordx4 s[0:3], s[4:5], 0x0
	v_and_b32_e32 v3, 7, v0
	s_mov_b32 s5, 0
	s_lshl_b32 s4, s6, 8
	v_lshrrev_b32_e32 v4, 3, v0
	s_lshl_b64 s[4:5], s[4:5], 1
	v_lshlrev_b32_e32 v1, 3, v3
	s_mul_hi_u32 s7, s6, 0x62
	s_mulk_i32 s6, 0x62
	v_lshlrev_b32_e32 v2, 1, v4
	v_lshlrev_b32_e32 v6, 2, v3
	v_mul_u32_u24_e32 v4, 7, v4
	v_mov_b32_e32 v7, 0xffff
	v_and_b32_e32 v0, 0x3f8, v0
	v_lshlrev_b32_e32 v3, 6, v3
	v_lshlrev_b32_e32 v0, 1, v0
	s_waitcnt lgkmcnt(0)
	s_add_u32 s4, s2, s4
	s_addc_u32 s5, s3, s5
	s_add_u32 s0, s0, s6
	s_addc_u32 s1, s1, s7
	v_add_co_u32 v1, s2, s0, v1
	v_add_co_ci_u32_e64 v5, null, s1, 0, s2
	v_add_co_u32 v1, vcc_lo, v1, v2
	v_add_co_ci_u32_e64 v2, null, 0, v5, vcc_lo
	v_mov_b32_e32 v5, 0
	s_clause 0x2
	global_load_ushort v1, v[1:2], off offset:2
	global_load_ushort v2, v5, s[0:1]
	global_load_dword v5, v6, s[0:1] offset:66
	v_mov_b32_e32 v6, 2
	s_getpc_b64 s[0:1]
	s_add_u32 s0, s0, _ZL11iq3xxs_grid@rel32@lo+4
	s_addc_u32 s1, s1, _ZL11iq3xxs_grid@rel32@hi+12
	s_getpc_b64 s[2:3]
	s_add_u32 s2, s2, _ZL12ksigns_iq2xs@rel32@lo+4
	s_addc_u32 s3, s3, _ZL12ksigns_iq2xs@rel32@hi+12
	s_waitcnt vmcnt(2)
	v_lshlrev_b32_sdwa v6, v6, v1 dst_sel:DWORD dst_unused:UNUSED_PAD src0_sel:DWORD src1_sel:BYTE_0
	v_and_b32_sdwa v1, v7, v1 dst_sel:DWORD dst_unused:UNUSED_PAD src0_sel:DWORD src1_sel:BYTE_1
	s_waitcnt vmcnt(0)
	v_bfe_u32 v4, v5, v4, 7
	v_lshrrev_b32_e32 v5, 28, v5
	v_cvt_f32_f16_e32 v2, v2
	global_load_dword v6, v6, s[0:1]
	global_load_sbyte v7, v4, s[2:3]
	v_lshlrev_b32_e32 v1, 2, v1
	v_cvt_f32_ubyte0_e32 v5, v5
	global_load_dword v1, v1, s[0:1]
	v_add_f32_e32 v5, 0.5, v5
	v_add_co_u32 v3, s0, s4, v3
	v_mul_f32_e32 v2, v5, v2
	v_add_co_ci_u32_e64 v5, null, s5, 0, s0
	v_mul_f32_e32 v2, 0.5, v2
	s_waitcnt vmcnt(2)
	v_cvt_f32_ubyte0_e32 v8, v6
	s_waitcnt vmcnt(1)
	v_and_b32_e32 v9, 1, v7
	v_cvt_f32_ubyte1_e32 v11, v6
	v_and_b32_e32 v12, 2, v7
	v_cvt_f32_ubyte2_e32 v14, v6
	v_mul_f32_e32 v8, v2, v8
	v_cmp_eq_u16_e32 vcc_lo, 0, v9
	v_and_b32_e32 v15, 4, v7
	v_mul_f32_e32 v11, v2, v11
	v_cvt_f32_ubyte3_e32 v6, v6
	v_and_b32_e32 v16, 8, v7
	v_cndmask_b32_e64 v8, -v8, v8, vcc_lo
	v_cmp_eq_u16_e32 vcc_lo, 0, v12
	v_mul_f32_e32 v14, v2, v14
	v_and_b32_e32 v10, 16, v7
	s_waitcnt vmcnt(0)
	v_cvt_f32_ubyte0_e32 v17, v1
	v_mul_f32_e32 v6, v2, v6
	v_cndmask_b32_e64 v11, -v11, v11, vcc_lo
	v_cmp_eq_u16_e32 vcc_lo, 0, v15
	v_and_b32_e32 v13, 32, v7
	v_cvt_f32_ubyte1_e32 v18, v1
	v_cvt_f32_ubyte2_e32 v19, v1
	v_cvt_f32_ubyte3_e32 v1, v1
	v_cndmask_b32_e64 v14, -v14, v14, vcc_lo
	v_cmp_eq_u16_e32 vcc_lo, 0, v16
	v_mul_f32_e32 v9, v2, v17
	v_mul_f32_e32 v12, v2, v18
	;; [unrolled: 1-line block ×4, first 2 shown]
	v_cndmask_b32_e64 v6, -v6, v6, vcc_lo
	v_cmp_eq_u16_e32 vcc_lo, 0, v10
	v_cvt_f16_f32_e32 v8, v8
	v_cvt_f16_f32_e32 v6, v6
	v_cndmask_b32_e64 v2, -v9, v9, vcc_lo
	v_cmp_eq_u16_e32 vcc_lo, 0, v13
	v_cvt_f16_f32_e32 v9, v11
	v_cvt_f16_f32_e32 v11, v14
	v_cvt_f16_f32_e32 v2, v2
	v_cndmask_b32_e64 v10, -v12, v12, vcc_lo
	v_cmp_gt_u32_e32 vcc_lo, 64, v4
	v_cndmask_b32_e64 v4, -v15, v15, vcc_lo
	v_cmp_gt_i16_e32 vcc_lo, 0, v7
	v_cvt_f16_f32_e32 v7, v10
	v_cvt_f16_f32_e32 v10, v4
	v_cndmask_b32_e64 v1, v1, -v1, vcc_lo
	v_add_co_u32 v4, vcc_lo, v3, v0
	v_add_co_ci_u32_e64 v5, null, 0, v5, vcc_lo
	v_cvt_f16_f32_e32 v12, v1
	v_pack_b32_f16 v1, v11, v6
	v_pack_b32_f16 v2, v2, v7
	;; [unrolled: 1-line block ×4, first 2 shown]
	global_store_dwordx4 v[4:5], v[0:3], off
	s_endpgm
	.section	.rodata,"a",@progbits
	.p2align	6, 0x0
	.amdhsa_kernel _ZL24dequantize_block_iq3_xxsIN3c104HalfEEvPKvPT_
		.amdhsa_group_segment_fixed_size 0
		.amdhsa_private_segment_fixed_size 0
		.amdhsa_kernarg_size 16
		.amdhsa_user_sgpr_count 6
		.amdhsa_user_sgpr_private_segment_buffer 1
		.amdhsa_user_sgpr_dispatch_ptr 0
		.amdhsa_user_sgpr_queue_ptr 0
		.amdhsa_user_sgpr_kernarg_segment_ptr 1
		.amdhsa_user_sgpr_dispatch_id 0
		.amdhsa_user_sgpr_flat_scratch_init 0
		.amdhsa_user_sgpr_private_segment_size 0
		.amdhsa_wavefront_size32 1
		.amdhsa_uses_dynamic_stack 0
		.amdhsa_system_sgpr_private_segment_wavefront_offset 0
		.amdhsa_system_sgpr_workgroup_id_x 1
		.amdhsa_system_sgpr_workgroup_id_y 0
		.amdhsa_system_sgpr_workgroup_id_z 0
		.amdhsa_system_sgpr_workgroup_info 0
		.amdhsa_system_vgpr_workitem_id 0
		.amdhsa_next_free_vgpr 20
		.amdhsa_next_free_sgpr 8
		.amdhsa_reserve_vcc 1
		.amdhsa_reserve_flat_scratch 0
		.amdhsa_float_round_mode_32 0
		.amdhsa_float_round_mode_16_64 0
		.amdhsa_float_denorm_mode_32 3
		.amdhsa_float_denorm_mode_16_64 3
		.amdhsa_dx10_clamp 1
		.amdhsa_ieee_mode 1
		.amdhsa_fp16_overflow 0
		.amdhsa_workgroup_processor_mode 1
		.amdhsa_memory_ordered 1
		.amdhsa_forward_progress 1
		.amdhsa_shared_vgpr_count 0
		.amdhsa_exception_fp_ieee_invalid_op 0
		.amdhsa_exception_fp_denorm_src 0
		.amdhsa_exception_fp_ieee_div_zero 0
		.amdhsa_exception_fp_ieee_overflow 0
		.amdhsa_exception_fp_ieee_underflow 0
		.amdhsa_exception_fp_ieee_inexact 0
		.amdhsa_exception_int_div_zero 0
	.end_amdhsa_kernel
	.section	.text._ZL24dequantize_block_iq3_xxsIN3c104HalfEEvPKvPT_,"axG",@progbits,_ZL24dequantize_block_iq3_xxsIN3c104HalfEEvPKvPT_,comdat
.Lfunc_end31:
	.size	_ZL24dequantize_block_iq3_xxsIN3c104HalfEEvPKvPT_, .Lfunc_end31-_ZL24dequantize_block_iq3_xxsIN3c104HalfEEvPKvPT_
                                        ; -- End function
	.set _ZL24dequantize_block_iq3_xxsIN3c104HalfEEvPKvPT_.num_vgpr, 20
	.set _ZL24dequantize_block_iq3_xxsIN3c104HalfEEvPKvPT_.num_agpr, 0
	.set _ZL24dequantize_block_iq3_xxsIN3c104HalfEEvPKvPT_.numbered_sgpr, 8
	.set _ZL24dequantize_block_iq3_xxsIN3c104HalfEEvPKvPT_.num_named_barrier, 0
	.set _ZL24dequantize_block_iq3_xxsIN3c104HalfEEvPKvPT_.private_seg_size, 0
	.set _ZL24dequantize_block_iq3_xxsIN3c104HalfEEvPKvPT_.uses_vcc, 1
	.set _ZL24dequantize_block_iq3_xxsIN3c104HalfEEvPKvPT_.uses_flat_scratch, 0
	.set _ZL24dequantize_block_iq3_xxsIN3c104HalfEEvPKvPT_.has_dyn_sized_stack, 0
	.set _ZL24dequantize_block_iq3_xxsIN3c104HalfEEvPKvPT_.has_recursion, 0
	.set _ZL24dequantize_block_iq3_xxsIN3c104HalfEEvPKvPT_.has_indirect_call, 0
	.section	.AMDGPU.csdata,"",@progbits
; Kernel info:
; codeLenInByte = 596
; TotalNumSgprs: 10
; NumVgprs: 20
; ScratchSize: 0
; MemoryBound: 0
; FloatMode: 240
; IeeeMode: 1
; LDSByteSize: 0 bytes/workgroup (compile time only)
; SGPRBlocks: 0
; VGPRBlocks: 2
; NumSGPRsForWavesPerEU: 10
; NumVGPRsForWavesPerEU: 20
; Occupancy: 16
; WaveLimiterHint : 0
; COMPUTE_PGM_RSRC2:SCRATCH_EN: 0
; COMPUTE_PGM_RSRC2:USER_SGPR: 6
; COMPUTE_PGM_RSRC2:TRAP_HANDLER: 0
; COMPUTE_PGM_RSRC2:TGID_X_EN: 1
; COMPUTE_PGM_RSRC2:TGID_Y_EN: 0
; COMPUTE_PGM_RSRC2:TGID_Z_EN: 0
; COMPUTE_PGM_RSRC2:TIDIG_COMP_CNT: 0
	.section	.text._ZL22dequantize_block_iq1_sIN3c104HalfEEvPKvPT_,"axG",@progbits,_ZL22dequantize_block_iq1_sIN3c104HalfEEvPKvPT_,comdat
	.globl	_ZL22dequantize_block_iq1_sIN3c104HalfEEvPKvPT_ ; -- Begin function _ZL22dequantize_block_iq1_sIN3c104HalfEEvPKvPT_
	.p2align	8
	.type	_ZL22dequantize_block_iq1_sIN3c104HalfEEvPKvPT_,@function
_ZL22dequantize_block_iq1_sIN3c104HalfEEvPKvPT_: ; @_ZL22dequantize_block_iq1_sIN3c104HalfEEvPKvPT_
; %bb.0:
	s_load_dwordx4 s[0:3], s[4:5], 0x0
	v_and_b32_e32 v3, 7, v0
	s_mov_b32 s7, 0
	v_lshrrev_b32_e32 v4, 3, v0
	s_lshl_b64 s[4:5], s[6:7], 9
	s_mul_hi_u32 s7, s6, 50
	v_lshlrev_b32_e32 v1, 1, v3
	s_mul_i32 s6, s6, 50
	v_and_b32_e32 v0, 0x3f8, v0
	v_lshlrev_b32_e32 v3, 6, v3
	v_lshlrev_b32_e32 v7, 1, v0
	s_waitcnt lgkmcnt(0)
	s_add_u32 s2, s2, s4
	s_addc_u32 s3, s3, s5
	s_add_u32 s0, s0, s6
	s_addc_u32 s1, s1, s7
	v_add_co_u32 v2, s4, s0, v1
	v_add_co_ci_u32_e64 v5, null, s1, 0, s4
	global_load_ushort v6, v1, s[0:1] offset:34
	v_add_co_u32 v1, vcc_lo, v2, v1
	v_add_co_ci_u32_e64 v2, null, 0, v5, vcc_lo
	v_mov_b32_e32 v5, 0xbf600000
	v_add_co_u32 v1, vcc_lo, v1, v4
	v_add_co_ci_u32_e64 v2, null, 0, v2, vcc_lo
	global_load_ubyte v1, v[1:2], off offset:2
	v_mul_u32_u24_e32 v2, 3, v4
	v_mov_b32_e32 v4, 0
	s_waitcnt vmcnt(1)
	v_lshrrev_b32_sdwa v2, v2, v6 dst_sel:DWORD dst_unused:UNUSED_PAD src0_sel:DWORD src1_sel:WORD_0
	v_cmp_lt_i16_e32 vcc_lo, -1, v6
	v_lshlrev_b32_e32 v2, 8, v2
	s_waitcnt vmcnt(0)
	v_and_or_b32 v1, 0x700, v2, v1
	global_load_ushort v2, v4, s[0:1]
	s_getpc_b64 s[0:1]
	s_add_u32 s0, s0, _ZL13iq1s_grid_gpu@rel32@lo+4
	s_addc_u32 s1, s1, _ZL13iq1s_grid_gpu@rel32@hi+12
	v_lshrrev_b16 v4, 11, v6
	v_lshlrev_b32_e32 v1, 3, v1
	v_and_b32_e32 v4, 14, v4
	global_load_dword v1, v1, s[0:1]
	v_or_b32_e32 v4, 1, v4
	s_waitcnt vmcnt(1)
	v_cvt_f32_f16_e32 v0, v2
	v_cvt_f32_ubyte0_e32 v2, v4
	v_add_co_u32 v4, s0, s2, v3
	v_cndmask_b32_e32 v3, 0xbf900000, v5, vcc_lo
	v_add_co_ci_u32_e64 v8, null, s3, 0, s0
	v_mul_f32_e32 v6, v0, v2
	v_add_co_u32 v4, vcc_lo, v4, v7
	s_waitcnt vmcnt(0)
	v_and_b32_e32 v2, 15, v1
	v_bfe_u32 v5, v1, 8, 4
	v_bfe_u32 v9, v1, 16, 4
	;; [unrolled: 1-line block ×4, first 2 shown]
	v_and_b32_e32 v0, 0xf000000, v1
	v_bfe_u32 v11, v1, 12, 4
	v_lshrrev_b32_e32 v1, 28, v1
	v_cvt_f32_ubyte0_e32 v2, v2
	v_cvt_f32_ubyte0_e32 v5, v5
	v_cvt_f32_ubyte0_e32 v9, v9
	v_cvt_f32_ubyte0_e32 v10, v10
	v_cvt_f32_ubyte0_e32 v12, v12
	v_cvt_f32_ubyte3_e32 v0, v0
	v_cvt_f32_ubyte0_e32 v11, v11
	v_cvt_f32_ubyte0_e32 v1, v1
	v_add_f32_e32 v2, v3, v2
	v_add_f32_e32 v13, v3, v5
	;; [unrolled: 1-line block ×8, first 2 shown]
	v_fma_mixlo_f16 v0, v6, v2, 0
	v_fma_mixlo_f16 v1, v6, v5, 0
	;; [unrolled: 1-line block ×4, first 2 shown]
	v_add_co_ci_u32_e64 v5, null, 0, v8, vcc_lo
	v_fma_mixhi_f16 v1, v6, v9, 0
	v_fma_mixhi_f16 v2, v6, v11, 0
	;; [unrolled: 1-line block ×4, first 2 shown]
	global_store_dwordx4 v[4:5], v[0:3], off
	s_endpgm
	.section	.rodata,"a",@progbits
	.p2align	6, 0x0
	.amdhsa_kernel _ZL22dequantize_block_iq1_sIN3c104HalfEEvPKvPT_
		.amdhsa_group_segment_fixed_size 0
		.amdhsa_private_segment_fixed_size 0
		.amdhsa_kernarg_size 16
		.amdhsa_user_sgpr_count 6
		.amdhsa_user_sgpr_private_segment_buffer 1
		.amdhsa_user_sgpr_dispatch_ptr 0
		.amdhsa_user_sgpr_queue_ptr 0
		.amdhsa_user_sgpr_kernarg_segment_ptr 1
		.amdhsa_user_sgpr_dispatch_id 0
		.amdhsa_user_sgpr_flat_scratch_init 0
		.amdhsa_user_sgpr_private_segment_size 0
		.amdhsa_wavefront_size32 1
		.amdhsa_uses_dynamic_stack 0
		.amdhsa_system_sgpr_private_segment_wavefront_offset 0
		.amdhsa_system_sgpr_workgroup_id_x 1
		.amdhsa_system_sgpr_workgroup_id_y 0
		.amdhsa_system_sgpr_workgroup_id_z 0
		.amdhsa_system_sgpr_workgroup_info 0
		.amdhsa_system_vgpr_workitem_id 0
		.amdhsa_next_free_vgpr 15
		.amdhsa_next_free_sgpr 8
		.amdhsa_reserve_vcc 1
		.amdhsa_reserve_flat_scratch 0
		.amdhsa_float_round_mode_32 0
		.amdhsa_float_round_mode_16_64 0
		.amdhsa_float_denorm_mode_32 3
		.amdhsa_float_denorm_mode_16_64 3
		.amdhsa_dx10_clamp 1
		.amdhsa_ieee_mode 1
		.amdhsa_fp16_overflow 0
		.amdhsa_workgroup_processor_mode 1
		.amdhsa_memory_ordered 1
		.amdhsa_forward_progress 1
		.amdhsa_shared_vgpr_count 0
		.amdhsa_exception_fp_ieee_invalid_op 0
		.amdhsa_exception_fp_denorm_src 0
		.amdhsa_exception_fp_ieee_div_zero 0
		.amdhsa_exception_fp_ieee_overflow 0
		.amdhsa_exception_fp_ieee_underflow 0
		.amdhsa_exception_fp_ieee_inexact 0
		.amdhsa_exception_int_div_zero 0
	.end_amdhsa_kernel
	.section	.text._ZL22dequantize_block_iq1_sIN3c104HalfEEvPKvPT_,"axG",@progbits,_ZL22dequantize_block_iq1_sIN3c104HalfEEvPKvPT_,comdat
.Lfunc_end32:
	.size	_ZL22dequantize_block_iq1_sIN3c104HalfEEvPKvPT_, .Lfunc_end32-_ZL22dequantize_block_iq1_sIN3c104HalfEEvPKvPT_
                                        ; -- End function
	.set _ZL22dequantize_block_iq1_sIN3c104HalfEEvPKvPT_.num_vgpr, 15
	.set _ZL22dequantize_block_iq1_sIN3c104HalfEEvPKvPT_.num_agpr, 0
	.set _ZL22dequantize_block_iq1_sIN3c104HalfEEvPKvPT_.numbered_sgpr, 8
	.set _ZL22dequantize_block_iq1_sIN3c104HalfEEvPKvPT_.num_named_barrier, 0
	.set _ZL22dequantize_block_iq1_sIN3c104HalfEEvPKvPT_.private_seg_size, 0
	.set _ZL22dequantize_block_iq1_sIN3c104HalfEEvPKvPT_.uses_vcc, 1
	.set _ZL22dequantize_block_iq1_sIN3c104HalfEEvPKvPT_.uses_flat_scratch, 0
	.set _ZL22dequantize_block_iq1_sIN3c104HalfEEvPKvPT_.has_dyn_sized_stack, 0
	.set _ZL22dequantize_block_iq1_sIN3c104HalfEEvPKvPT_.has_recursion, 0
	.set _ZL22dequantize_block_iq1_sIN3c104HalfEEvPKvPT_.has_indirect_call, 0
	.section	.AMDGPU.csdata,"",@progbits
; Kernel info:
; codeLenInByte = 500
; TotalNumSgprs: 10
; NumVgprs: 15
; ScratchSize: 0
; MemoryBound: 0
; FloatMode: 240
; IeeeMode: 1
; LDSByteSize: 0 bytes/workgroup (compile time only)
; SGPRBlocks: 0
; VGPRBlocks: 1
; NumSGPRsForWavesPerEU: 10
; NumVGPRsForWavesPerEU: 15
; Occupancy: 16
; WaveLimiterHint : 0
; COMPUTE_PGM_RSRC2:SCRATCH_EN: 0
; COMPUTE_PGM_RSRC2:USER_SGPR: 6
; COMPUTE_PGM_RSRC2:TRAP_HANDLER: 0
; COMPUTE_PGM_RSRC2:TGID_X_EN: 1
; COMPUTE_PGM_RSRC2:TGID_Y_EN: 0
; COMPUTE_PGM_RSRC2:TGID_Z_EN: 0
; COMPUTE_PGM_RSRC2:TIDIG_COMP_CNT: 0
	.section	.text._ZL23dequantize_block_iq4_nlIN3c104HalfEEvPKvPT_,"axG",@progbits,_ZL23dequantize_block_iq4_nlIN3c104HalfEEvPKvPT_,comdat
	.globl	_ZL23dequantize_block_iq4_nlIN3c104HalfEEvPKvPT_ ; -- Begin function _ZL23dequantize_block_iq4_nlIN3c104HalfEEvPKvPT_
	.p2align	8
	.type	_ZL23dequantize_block_iq4_nlIN3c104HalfEEvPKvPT_,@function
_ZL23dequantize_block_iq4_nlIN3c104HalfEEvPKvPT_: ; @_ZL23dequantize_block_iq4_nlIN3c104HalfEEvPKvPT_
; %bb.0:
	s_load_dwordx4 s[0:3], s[4:5], 0x0
	s_lshl_b32 s4, s6, 3
	s_mul_i32 s5, s6, 0x90
	v_and_b32_e32 v4, 7, v0
	s_mul_hi_u32 s4, s4, 18
	v_lshrrev_b32_e32 v2, 1, v0
	v_and_b32_e32 v5, 0x1fc, v2
	s_waitcnt lgkmcnt(0)
	s_add_u32 s0, s0, s5
	s_addc_u32 s1, s1, s4
	v_mad_u64_u32 v[0:1], null, v4, 18, s[0:1]
	s_mov_b32 s1, 0
	s_lshl_b32 s0, s6, 8
	s_lshl_b64 s[0:1], s[0:1], 1
	s_add_u32 s2, s2, s0
	v_add_co_u32 v2, vcc_lo, v0, v5
	v_add_co_ci_u32_e64 v3, null, 0, v1, vcc_lo
	s_addc_u32 s3, s3, s1
	s_getpc_b64 s[0:1]
	s_add_u32 s0, s0, _ZL13kvalues_iq4nl@rel32@lo+4
	s_addc_u32 s1, s1, _ZL13kvalues_iq4nl@rel32@hi+12
	s_clause 0x1
	global_load_ushort v6, v[0:1], off
	global_load_dword v2, v[2:3], off offset:2
	s_waitcnt vmcnt(0)
	v_lshrrev_b16 v0, 4, v2
	v_lshrrev_b32_e32 v1, 8, v2
	v_lshrrev_b32_e32 v3, 24, v2
	v_and_b32_e32 v7, 15, v2
	v_bfe_u32 v8, v2, 8, 4
	v_and_b32_e32 v0, 15, v0
	v_lshrrev_b16 v1, 4, v1
	v_lshrrev_b16 v3, 4, v3
	v_bfe_u32 v9, v2, 16, 4
	v_bfe_u32 v10, v2, 20, 4
	v_and_b32_e32 v0, 0xffff, v0
	v_and_b32_e32 v11, 15, v1
	v_bfe_u32 v12, v2, 24, 4
	v_and_b32_e32 v2, 0xffff, v3
	v_add_co_u32 v0, s4, s0, v0
	v_add_co_ci_u32_e64 v1, null, s1, 0, s4
	v_and_b32_e32 v3, 0xffff, v11
	s_clause 0x2
	global_load_sbyte v7, v7, s[0:1]
	global_load_sbyte v11, v[0:1], off
	global_load_sbyte v8, v8, s[0:1]
	v_add_co_u32 v0, s4, s0, v3
	v_add_co_ci_u32_e64 v1, null, s1, 0, s4
	v_add_co_u32 v2, s4, s0, v2
	v_add_co_ci_u32_e64 v3, null, s1, 0, s4
	s_clause 0x4
	global_load_sbyte v9, v9, s[0:1]
	global_load_sbyte v10, v10, s[0:1]
	global_load_sbyte v1, v[0:1], off
	global_load_sbyte v12, v12, s[0:1]
	global_load_sbyte v3, v[2:3], off
	v_lshlrev_b32_e32 v0, 6, v4
	v_lshlrev_b32_e32 v4, 1, v5
	s_waitcnt vmcnt(7)
	v_cvt_f32_i32_e32 v2, v7
	s_waitcnt vmcnt(6)
	v_cvt_f32_i32_e32 v5, v11
	v_add_co_u32 v7, s0, s2, v0
	v_add_co_ci_u32_e64 v11, null, s3, 0, s0
	v_fma_mixlo_f16 v0, v6, v2, 0 op_sel_hi:[1,0,0]
	v_fma_mixlo_f16 v2, v6, v5, 0 op_sel_hi:[1,0,0]
	s_waitcnt vmcnt(5)
	v_cvt_f32_i32_e32 v8, v8
	s_waitcnt vmcnt(4)
	v_cvt_f32_i32_e32 v5, v9
	;; [unrolled: 2-line block ×6, first 2 shown]
	v_fma_mixlo_f16 v1, v6, v5, 0 op_sel_hi:[1,0,0]
	v_fma_mixlo_f16 v3, v6, v9, 0 op_sel_hi:[1,0,0]
	v_add_co_u32 v4, vcc_lo, v7, v4
	v_add_co_ci_u32_e64 v5, null, 0, v11, vcc_lo
	v_fma_mixhi_f16 v0, v6, v8, 0 op_sel_hi:[1,0,0]
	v_fma_mixhi_f16 v1, v6, v12, 0 op_sel_hi:[1,0,0]
	;; [unrolled: 1-line block ×4, first 2 shown]
	global_store_dwordx2 v[4:5], v[0:1], off
	global_store_dwordx2 v[4:5], v[2:3], off offset:32
	s_endpgm
	.section	.rodata,"a",@progbits
	.p2align	6, 0x0
	.amdhsa_kernel _ZL23dequantize_block_iq4_nlIN3c104HalfEEvPKvPT_
		.amdhsa_group_segment_fixed_size 0
		.amdhsa_private_segment_fixed_size 0
		.amdhsa_kernarg_size 16
		.amdhsa_user_sgpr_count 6
		.amdhsa_user_sgpr_private_segment_buffer 1
		.amdhsa_user_sgpr_dispatch_ptr 0
		.amdhsa_user_sgpr_queue_ptr 0
		.amdhsa_user_sgpr_kernarg_segment_ptr 1
		.amdhsa_user_sgpr_dispatch_id 0
		.amdhsa_user_sgpr_flat_scratch_init 0
		.amdhsa_user_sgpr_private_segment_size 0
		.amdhsa_wavefront_size32 1
		.amdhsa_uses_dynamic_stack 0
		.amdhsa_system_sgpr_private_segment_wavefront_offset 0
		.amdhsa_system_sgpr_workgroup_id_x 1
		.amdhsa_system_sgpr_workgroup_id_y 0
		.amdhsa_system_sgpr_workgroup_id_z 0
		.amdhsa_system_sgpr_workgroup_info 0
		.amdhsa_system_vgpr_workitem_id 0
		.amdhsa_next_free_vgpr 14
		.amdhsa_next_free_sgpr 7
		.amdhsa_reserve_vcc 1
		.amdhsa_reserve_flat_scratch 0
		.amdhsa_float_round_mode_32 0
		.amdhsa_float_round_mode_16_64 0
		.amdhsa_float_denorm_mode_32 3
		.amdhsa_float_denorm_mode_16_64 3
		.amdhsa_dx10_clamp 1
		.amdhsa_ieee_mode 1
		.amdhsa_fp16_overflow 0
		.amdhsa_workgroup_processor_mode 1
		.amdhsa_memory_ordered 1
		.amdhsa_forward_progress 1
		.amdhsa_shared_vgpr_count 0
		.amdhsa_exception_fp_ieee_invalid_op 0
		.amdhsa_exception_fp_denorm_src 0
		.amdhsa_exception_fp_ieee_div_zero 0
		.amdhsa_exception_fp_ieee_overflow 0
		.amdhsa_exception_fp_ieee_underflow 0
		.amdhsa_exception_fp_ieee_inexact 0
		.amdhsa_exception_int_div_zero 0
	.end_amdhsa_kernel
	.section	.text._ZL23dequantize_block_iq4_nlIN3c104HalfEEvPKvPT_,"axG",@progbits,_ZL23dequantize_block_iq4_nlIN3c104HalfEEvPKvPT_,comdat
.Lfunc_end33:
	.size	_ZL23dequantize_block_iq4_nlIN3c104HalfEEvPKvPT_, .Lfunc_end33-_ZL23dequantize_block_iq4_nlIN3c104HalfEEvPKvPT_
                                        ; -- End function
	.set _ZL23dequantize_block_iq4_nlIN3c104HalfEEvPKvPT_.num_vgpr, 14
	.set _ZL23dequantize_block_iq4_nlIN3c104HalfEEvPKvPT_.num_agpr, 0
	.set _ZL23dequantize_block_iq4_nlIN3c104HalfEEvPKvPT_.numbered_sgpr, 7
	.set _ZL23dequantize_block_iq4_nlIN3c104HalfEEvPKvPT_.num_named_barrier, 0
	.set _ZL23dequantize_block_iq4_nlIN3c104HalfEEvPKvPT_.private_seg_size, 0
	.set _ZL23dequantize_block_iq4_nlIN3c104HalfEEvPKvPT_.uses_vcc, 1
	.set _ZL23dequantize_block_iq4_nlIN3c104HalfEEvPKvPT_.uses_flat_scratch, 0
	.set _ZL23dequantize_block_iq4_nlIN3c104HalfEEvPKvPT_.has_dyn_sized_stack, 0
	.set _ZL23dequantize_block_iq4_nlIN3c104HalfEEvPKvPT_.has_recursion, 0
	.set _ZL23dequantize_block_iq4_nlIN3c104HalfEEvPKvPT_.has_indirect_call, 0
	.section	.AMDGPU.csdata,"",@progbits
; Kernel info:
; codeLenInByte = 548
; TotalNumSgprs: 9
; NumVgprs: 14
; ScratchSize: 0
; MemoryBound: 0
; FloatMode: 240
; IeeeMode: 1
; LDSByteSize: 0 bytes/workgroup (compile time only)
; SGPRBlocks: 0
; VGPRBlocks: 1
; NumSGPRsForWavesPerEU: 9
; NumVGPRsForWavesPerEU: 14
; Occupancy: 16
; WaveLimiterHint : 0
; COMPUTE_PGM_RSRC2:SCRATCH_EN: 0
; COMPUTE_PGM_RSRC2:USER_SGPR: 6
; COMPUTE_PGM_RSRC2:TRAP_HANDLER: 0
; COMPUTE_PGM_RSRC2:TGID_X_EN: 1
; COMPUTE_PGM_RSRC2:TGID_Y_EN: 0
; COMPUTE_PGM_RSRC2:TGID_Z_EN: 0
; COMPUTE_PGM_RSRC2:TIDIG_COMP_CNT: 0
	.section	.text._ZL22dequantize_block_iq3_sIN3c104HalfEEvPKvPT_,"axG",@progbits,_ZL22dequantize_block_iq3_sIN3c104HalfEEvPKvPT_,comdat
	.globl	_ZL22dequantize_block_iq3_sIN3c104HalfEEvPKvPT_ ; -- Begin function _ZL22dequantize_block_iq3_sIN3c104HalfEEvPKvPT_
	.p2align	8
	.type	_ZL22dequantize_block_iq3_sIN3c104HalfEEvPKvPT_,@function
_ZL22dequantize_block_iq3_sIN3c104HalfEEvPKvPT_: ; @_ZL22dequantize_block_iq3_sIN3c104HalfEEvPKvPT_
; %bb.0:
	s_load_dwordx4 s[0:3], s[4:5], 0x0
	v_and_b32_e32 v3, 7, v0
	s_mov_b32 s5, 0
	s_lshl_b32 s4, s6, 8
	v_lshrrev_b32_e32 v4, 3, v0
	s_lshl_b64 s[4:5], s[4:5], 1
	v_lshlrev_b32_e32 v1, 3, v3
	s_mul_hi_u32 s7, s6, 0x6e
	s_mulk_i32 s6, 0x6e
	v_lshlrev_b32_e32 v5, 1, v4
	v_bfe_u32 v6, v0, 1, 2
	v_lshl_add_u32 v4, v3, 2, v4
	v_mov_b32_e32 v9, 0xffff
	v_mov_b32_e32 v7, 0
	v_sub_nc_u32_e32 v8, 8, v5
	s_waitcnt lgkmcnt(0)
	s_add_u32 s2, s2, s4
	s_addc_u32 s3, s3, s5
	s_add_u32 s0, s0, s6
	s_addc_u32 s1, s1, s7
	v_add_co_u32 v1, s4, s0, v1
	v_add_co_ci_u32_e64 v2, null, s1, 0, s4
	v_add_co_u32 v1, vcc_lo, v1, v5
	v_add_co_ci_u32_e64 v2, null, 0, v2, vcc_lo
	v_sub_nc_u32_e32 v5, 7, v5
	s_clause 0x4
	global_load_ushort v1, v[1:2], off offset:2
	global_load_ubyte v2, v6, s[0:1] offset:106
	global_load_sbyte v4, v4, s[0:1] offset:74
	global_load_ubyte v6, v3, s[0:1] offset:66
	global_load_ushort v7, v7, s[0:1]
	s_getpc_b64 s[0:1]
	s_add_u32 s0, s0, _ZL10iq3xs_grid@rel32@lo+4
	s_addc_u32 s1, s1, _ZL10iq3xs_grid@rel32@hi+12
	v_lshlrev_b32_e32 v3, 6, v3
	s_waitcnt vmcnt(4)
	v_and_b32_e32 v10, 0xff, v1
	v_and_b32_sdwa v1, v9, v1 dst_sel:DWORD dst_unused:UNUSED_PAD src0_sel:DWORD src1_sel:BYTE_1
	s_waitcnt vmcnt(2)
	v_and_b32_e32 v9, 16, v4
	s_waitcnt vmcnt(1)
	v_lshlrev_b32_e32 v8, v8, v6
	v_lshlrev_b32_e32 v5, v5, v6
	v_and_b32_e32 v11, 4, v4
	v_and_b32_e32 v12, 64, v4
	;; [unrolled: 1-line block ×3, first 2 shown]
	v_and_or_b32 v6, 0x100, v8, v10
	v_and_or_b32 v1, 0x100, v5, v1
	v_and_b32_e32 v8, 1, v4
	v_and_b32_e32 v10, 2, v4
	v_lshlrev_b32_e32 v5, 2, v6
	v_lshlrev_b32_e32 v1, 2, v1
	;; [unrolled: 1-line block ×3, first 2 shown]
	v_cmp_eq_u16_e32 vcc_lo, 0, v8
	v_and_b32_e32 v0, 0x3f8, v0
	s_clause 0x1
	global_load_dword v5, v5, s[0:1]
	global_load_dword v1, v1, s[0:1]
	v_add_co_u32 v3, s0, s2, v3
	v_and_b32_e32 v6, 4, v6
	v_lshlrev_b32_e32 v0, 1, v0
	v_bfe_u32 v2, v2, v6, 4
	s_waitcnt vmcnt(2)
	v_cvt_f32_f16_e32 v6, v7
	v_add_co_ci_u32_e64 v7, null, s3, 0, s0
	v_cvt_f32_ubyte0_e32 v2, v2
	v_add_f32_e32 v2, 0.5, v2
	v_mul_f32_e32 v2, v2, v6
	v_and_b32_e32 v6, 32, v4
	v_mul_f32_e32 v2, 0.5, v2
	s_waitcnt vmcnt(1)
	v_cvt_f32_ubyte0_e32 v14, v5
	s_waitcnt vmcnt(0)
	v_cvt_f32_ubyte0_e32 v15, v1
	v_cvt_f32_ubyte1_e32 v16, v5
	v_cvt_f32_ubyte1_e32 v17, v1
	v_cvt_f32_ubyte2_e32 v18, v5
	v_cvt_f32_ubyte2_e32 v19, v1
	v_cvt_f32_ubyte3_e32 v5, v5
	v_cvt_f32_ubyte3_e32 v1, v1
	v_mul_f32_e32 v14, v2, v14
	v_mul_f32_e32 v15, v2, v15
	;; [unrolled: 1-line block ×8, first 2 shown]
	v_cndmask_b32_e64 v2, -v14, v14, vcc_lo
	v_cmp_eq_u16_e32 vcc_lo, 0, v9
	v_cndmask_b32_e64 v8, -v15, v15, vcc_lo
	v_cmp_eq_u16_e32 vcc_lo, 0, v10
	;; [unrolled: 2-line block ×4, first 2 shown]
	v_cvt_f16_f32_e32 v6, v6
	v_cndmask_b32_e64 v10, -v18, v18, vcc_lo
	v_cmp_eq_u16_e32 vcc_lo, 0, v12
	v_cvt_f16_f32_e32 v12, v2
	v_cvt_f16_f32_e32 v2, v8
	;; [unrolled: 1-line block ×4, first 2 shown]
	v_cndmask_b32_e64 v11, -v19, v19, vcc_lo
	v_cmp_eq_u16_e32 vcc_lo, 0, v13
	v_pack_b32_f16 v2, v2, v6
	v_cvt_f16_f32_e32 v10, v11
	v_cndmask_b32_e64 v5, -v5, v5, vcc_lo
	v_cmp_gt_i16_e32 vcc_lo, 0, v4
	v_cvt_f16_f32_e32 v11, v5
	v_cndmask_b32_e64 v1, v1, -v1, vcc_lo
	v_add_co_u32 v4, vcc_lo, v3, v0
	v_add_co_ci_u32_e64 v5, null, 0, v7, vcc_lo
	v_cvt_f16_f32_e32 v1, v1
	v_pack_b32_f16 v0, v12, v8
	v_pack_b32_f16 v3, v10, v1
	;; [unrolled: 1-line block ×3, first 2 shown]
	global_store_dwordx4 v[4:5], v[0:3], off
	s_endpgm
	.section	.rodata,"a",@progbits
	.p2align	6, 0x0
	.amdhsa_kernel _ZL22dequantize_block_iq3_sIN3c104HalfEEvPKvPT_
		.amdhsa_group_segment_fixed_size 0
		.amdhsa_private_segment_fixed_size 0
		.amdhsa_kernarg_size 16
		.amdhsa_user_sgpr_count 6
		.amdhsa_user_sgpr_private_segment_buffer 1
		.amdhsa_user_sgpr_dispatch_ptr 0
		.amdhsa_user_sgpr_queue_ptr 0
		.amdhsa_user_sgpr_kernarg_segment_ptr 1
		.amdhsa_user_sgpr_dispatch_id 0
		.amdhsa_user_sgpr_flat_scratch_init 0
		.amdhsa_user_sgpr_private_segment_size 0
		.amdhsa_wavefront_size32 1
		.amdhsa_uses_dynamic_stack 0
		.amdhsa_system_sgpr_private_segment_wavefront_offset 0
		.amdhsa_system_sgpr_workgroup_id_x 1
		.amdhsa_system_sgpr_workgroup_id_y 0
		.amdhsa_system_sgpr_workgroup_id_z 0
		.amdhsa_system_sgpr_workgroup_info 0
		.amdhsa_system_vgpr_workitem_id 0
		.amdhsa_next_free_vgpr 20
		.amdhsa_next_free_sgpr 8
		.amdhsa_reserve_vcc 1
		.amdhsa_reserve_flat_scratch 0
		.amdhsa_float_round_mode_32 0
		.amdhsa_float_round_mode_16_64 0
		.amdhsa_float_denorm_mode_32 3
		.amdhsa_float_denorm_mode_16_64 3
		.amdhsa_dx10_clamp 1
		.amdhsa_ieee_mode 1
		.amdhsa_fp16_overflow 0
		.amdhsa_workgroup_processor_mode 1
		.amdhsa_memory_ordered 1
		.amdhsa_forward_progress 1
		.amdhsa_shared_vgpr_count 0
		.amdhsa_exception_fp_ieee_invalid_op 0
		.amdhsa_exception_fp_denorm_src 0
		.amdhsa_exception_fp_ieee_div_zero 0
		.amdhsa_exception_fp_ieee_overflow 0
		.amdhsa_exception_fp_ieee_underflow 0
		.amdhsa_exception_fp_ieee_inexact 0
		.amdhsa_exception_int_div_zero 0
	.end_amdhsa_kernel
	.section	.text._ZL22dequantize_block_iq3_sIN3c104HalfEEvPKvPT_,"axG",@progbits,_ZL22dequantize_block_iq3_sIN3c104HalfEEvPKvPT_,comdat
.Lfunc_end34:
	.size	_ZL22dequantize_block_iq3_sIN3c104HalfEEvPKvPT_, .Lfunc_end34-_ZL22dequantize_block_iq3_sIN3c104HalfEEvPKvPT_
                                        ; -- End function
	.set _ZL22dequantize_block_iq3_sIN3c104HalfEEvPKvPT_.num_vgpr, 20
	.set _ZL22dequantize_block_iq3_sIN3c104HalfEEvPKvPT_.num_agpr, 0
	.set _ZL22dequantize_block_iq3_sIN3c104HalfEEvPKvPT_.numbered_sgpr, 8
	.set _ZL22dequantize_block_iq3_sIN3c104HalfEEvPKvPT_.num_named_barrier, 0
	.set _ZL22dequantize_block_iq3_sIN3c104HalfEEvPKvPT_.private_seg_size, 0
	.set _ZL22dequantize_block_iq3_sIN3c104HalfEEvPKvPT_.uses_vcc, 1
	.set _ZL22dequantize_block_iq3_sIN3c104HalfEEvPKvPT_.uses_flat_scratch, 0
	.set _ZL22dequantize_block_iq3_sIN3c104HalfEEvPKvPT_.has_dyn_sized_stack, 0
	.set _ZL22dequantize_block_iq3_sIN3c104HalfEEvPKvPT_.has_recursion, 0
	.set _ZL22dequantize_block_iq3_sIN3c104HalfEEvPKvPT_.has_indirect_call, 0
	.section	.AMDGPU.csdata,"",@progbits
; Kernel info:
; codeLenInByte = 648
; TotalNumSgprs: 10
; NumVgprs: 20
; ScratchSize: 0
; MemoryBound: 0
; FloatMode: 240
; IeeeMode: 1
; LDSByteSize: 0 bytes/workgroup (compile time only)
; SGPRBlocks: 0
; VGPRBlocks: 2
; NumSGPRsForWavesPerEU: 10
; NumVGPRsForWavesPerEU: 20
; Occupancy: 16
; WaveLimiterHint : 0
; COMPUTE_PGM_RSRC2:SCRATCH_EN: 0
; COMPUTE_PGM_RSRC2:USER_SGPR: 6
; COMPUTE_PGM_RSRC2:TRAP_HANDLER: 0
; COMPUTE_PGM_RSRC2:TGID_X_EN: 1
; COMPUTE_PGM_RSRC2:TGID_Y_EN: 0
; COMPUTE_PGM_RSRC2:TGID_Z_EN: 0
; COMPUTE_PGM_RSRC2:TIDIG_COMP_CNT: 0
	.section	.text._ZL22dequantize_block_iq2_sIN3c104HalfEEvPKvPT_,"axG",@progbits,_ZL22dequantize_block_iq2_sIN3c104HalfEEvPKvPT_,comdat
	.globl	_ZL22dequantize_block_iq2_sIN3c104HalfEEvPKvPT_ ; -- Begin function _ZL22dequantize_block_iq2_sIN3c104HalfEEvPKvPT_
	.p2align	8
	.type	_ZL22dequantize_block_iq2_sIN3c104HalfEEvPKvPT_,@function
_ZL22dequantize_block_iq2_sIN3c104HalfEEvPKvPT_: ; @_ZL22dequantize_block_iq2_sIN3c104HalfEEvPKvPT_
; %bb.0:
	s_load_dwordx4 s[0:3], s[4:5], 0x0
	s_mov_b32 s5, 0
	s_lshl_b32 s4, s6, 8
	v_lshrrev_b32_e32 v1, 3, v0
	v_and_b32_e32 v3, 7, v0
	s_lshl_b64 s[4:5], s[4:5], 1
	s_mul_hi_u32 s7, s6, 0x52
	s_mulk_i32 s6, 0x52
	v_lshl_add_u32 v2, v3, 2, v1
	v_lshlrev_b32_e32 v1, 1, v1
	v_sub_nc_u32_e32 v1, 8, v1
	s_waitcnt lgkmcnt(0)
	s_add_u32 s2, s2, s4
	s_addc_u32 s3, s3, s5
	s_add_u32 s0, s0, s6
	s_addc_u32 s1, s1, s7
	s_clause 0x3
	global_load_ubyte v4, v3, s[0:1] offset:66
	global_load_ubyte v5, v2, s[0:1] offset:2
	global_load_sbyte v6, v2, s[0:1] offset:34
	global_load_ubyte v7, v3, s[0:1] offset:74
	v_mov_b32_e32 v2, 0
	v_lshlrev_b32_e32 v3, 6, v3
	global_load_ushort v8, v2, s[0:1]
	s_getpc_b64 s[0:1]
	s_add_u32 s0, s0, _ZL9iq2s_grid@rel32@lo+4
	s_addc_u32 s1, s1, _ZL9iq2s_grid@rel32@hi+12
	s_waitcnt vmcnt(4)
	v_lshlrev_b32_e32 v1, v1, v4
	v_lshrrev_b32_e32 v4, 2, v0
	s_waitcnt vmcnt(2)
	v_and_b32_e32 v9, 2, v6
	v_and_b32_e32 v10, 4, v6
	;; [unrolled: 1-line block ×3, first 2 shown]
	v_and_or_b32 v1, 0x300, v1, v5
	v_and_b32_e32 v4, 0xfc, v4
	v_and_b32_e32 v12, 32, v6
	s_waitcnt vmcnt(0)
	v_cvt_f32_f16_e32 v5, v8
	v_and_b32_e32 v8, 1, v6
	v_lshlrev_b32_e32 v1, 3, v1
	v_bfe_u32 v4, v7, v4, 4
	v_and_b32_e32 v13, 64, v6
	v_and_b32_e32 v0, 0x3f8, v0
	v_cmp_eq_u16_e32 vcc_lo, 0, v8
	global_load_dwordx2 v[1:2], v1, s[0:1]
	v_cvt_f32_ubyte0_e32 v4, v4
	v_add_co_u32 v3, s0, s2, v3
	v_lshlrev_b32_e32 v0, 1, v0
	v_add_co_ci_u32_e64 v7, null, s3, 0, s0
	v_add_f32_e32 v4, 0.5, v4
	v_mul_f32_e32 v4, v4, v5
	v_and_b32_e32 v5, 8, v6
	v_mul_f32_e32 v4, 0x3e800000, v4
	s_waitcnt vmcnt(0)
	v_cvt_f32_ubyte0_e32 v14, v1
	v_cvt_f32_ubyte1_e32 v15, v1
	v_cvt_f32_ubyte2_e32 v16, v1
	v_cvt_f32_ubyte3_e32 v1, v1
	v_cvt_f32_ubyte0_e32 v17, v2
	v_cvt_f32_ubyte1_e32 v18, v2
	v_cvt_f32_ubyte2_e32 v19, v2
	v_cvt_f32_ubyte3_e32 v2, v2
	v_mul_f32_e32 v14, v4, v14
	v_mul_f32_e32 v15, v4, v15
	;; [unrolled: 1-line block ×8, first 2 shown]
	v_cndmask_b32_e64 v4, -v14, v14, vcc_lo
	v_cmp_eq_u16_e32 vcc_lo, 0, v9
	v_cndmask_b32_e64 v8, -v15, v15, vcc_lo
	v_cmp_eq_u16_e32 vcc_lo, 0, v10
	v_cvt_f16_f32_e32 v8, v8
	v_cndmask_b32_e64 v9, -v16, v16, vcc_lo
	v_cmp_eq_u16_e32 vcc_lo, 0, v5
	v_cvt_f16_f32_e32 v9, v9
	;; [unrolled: 3-line block ×3, first 2 shown]
	v_cndmask_b32_e64 v5, -v17, v17, vcc_lo
	v_cmp_eq_u16_e32 vcc_lo, 0, v12
	v_pack_b32_f16 v1, v9, v1
	v_cvt_f16_f32_e32 v12, v5
	v_cndmask_b32_e64 v10, -v18, v18, vcc_lo
	v_cmp_eq_u16_e32 vcc_lo, 0, v13
	v_cvt_f16_f32_e32 v10, v10
	v_cndmask_b32_e64 v11, -v19, v19, vcc_lo
	v_cmp_gt_i16_e32 vcc_lo, 0, v6
	v_cvt_f16_f32_e32 v6, v4
	v_cvt_f16_f32_e32 v11, v11
	v_cndmask_b32_e64 v2, v2, -v2, vcc_lo
	v_add_co_u32 v4, vcc_lo, v3, v0
	v_add_co_ci_u32_e64 v5, null, 0, v7, vcc_lo
	v_cvt_f16_f32_e32 v2, v2
	v_pack_b32_f16 v0, v6, v8
	v_pack_b32_f16 v3, v11, v2
	;; [unrolled: 1-line block ×3, first 2 shown]
	global_store_dwordx4 v[4:5], v[0:3], off
	s_endpgm
	.section	.rodata,"a",@progbits
	.p2align	6, 0x0
	.amdhsa_kernel _ZL22dequantize_block_iq2_sIN3c104HalfEEvPKvPT_
		.amdhsa_group_segment_fixed_size 0
		.amdhsa_private_segment_fixed_size 0
		.amdhsa_kernarg_size 16
		.amdhsa_user_sgpr_count 6
		.amdhsa_user_sgpr_private_segment_buffer 1
		.amdhsa_user_sgpr_dispatch_ptr 0
		.amdhsa_user_sgpr_queue_ptr 0
		.amdhsa_user_sgpr_kernarg_segment_ptr 1
		.amdhsa_user_sgpr_dispatch_id 0
		.amdhsa_user_sgpr_flat_scratch_init 0
		.amdhsa_user_sgpr_private_segment_size 0
		.amdhsa_wavefront_size32 1
		.amdhsa_uses_dynamic_stack 0
		.amdhsa_system_sgpr_private_segment_wavefront_offset 0
		.amdhsa_system_sgpr_workgroup_id_x 1
		.amdhsa_system_sgpr_workgroup_id_y 0
		.amdhsa_system_sgpr_workgroup_id_z 0
		.amdhsa_system_sgpr_workgroup_info 0
		.amdhsa_system_vgpr_workitem_id 0
		.amdhsa_next_free_vgpr 20
		.amdhsa_next_free_sgpr 8
		.amdhsa_reserve_vcc 1
		.amdhsa_reserve_flat_scratch 0
		.amdhsa_float_round_mode_32 0
		.amdhsa_float_round_mode_16_64 0
		.amdhsa_float_denorm_mode_32 3
		.amdhsa_float_denorm_mode_16_64 3
		.amdhsa_dx10_clamp 1
		.amdhsa_ieee_mode 1
		.amdhsa_fp16_overflow 0
		.amdhsa_workgroup_processor_mode 1
		.amdhsa_memory_ordered 1
		.amdhsa_forward_progress 1
		.amdhsa_shared_vgpr_count 0
		.amdhsa_exception_fp_ieee_invalid_op 0
		.amdhsa_exception_fp_denorm_src 0
		.amdhsa_exception_fp_ieee_div_zero 0
		.amdhsa_exception_fp_ieee_overflow 0
		.amdhsa_exception_fp_ieee_underflow 0
		.amdhsa_exception_fp_ieee_inexact 0
		.amdhsa_exception_int_div_zero 0
	.end_amdhsa_kernel
	.section	.text._ZL22dequantize_block_iq2_sIN3c104HalfEEvPKvPT_,"axG",@progbits,_ZL22dequantize_block_iq2_sIN3c104HalfEEvPKvPT_,comdat
.Lfunc_end35:
	.size	_ZL22dequantize_block_iq2_sIN3c104HalfEEvPKvPT_, .Lfunc_end35-_ZL22dequantize_block_iq2_sIN3c104HalfEEvPKvPT_
                                        ; -- End function
	.set _ZL22dequantize_block_iq2_sIN3c104HalfEEvPKvPT_.num_vgpr, 20
	.set _ZL22dequantize_block_iq2_sIN3c104HalfEEvPKvPT_.num_agpr, 0
	.set _ZL22dequantize_block_iq2_sIN3c104HalfEEvPKvPT_.numbered_sgpr, 8
	.set _ZL22dequantize_block_iq2_sIN3c104HalfEEvPKvPT_.num_named_barrier, 0
	.set _ZL22dequantize_block_iq2_sIN3c104HalfEEvPKvPT_.private_seg_size, 0
	.set _ZL22dequantize_block_iq2_sIN3c104HalfEEvPKvPT_.uses_vcc, 1
	.set _ZL22dequantize_block_iq2_sIN3c104HalfEEvPKvPT_.uses_flat_scratch, 0
	.set _ZL22dequantize_block_iq2_sIN3c104HalfEEvPKvPT_.has_dyn_sized_stack, 0
	.set _ZL22dequantize_block_iq2_sIN3c104HalfEEvPKvPT_.has_recursion, 0
	.set _ZL22dequantize_block_iq2_sIN3c104HalfEEvPKvPT_.has_indirect_call, 0
	.section	.AMDGPU.csdata,"",@progbits
; Kernel info:
; codeLenInByte = 544
; TotalNumSgprs: 10
; NumVgprs: 20
; ScratchSize: 0
; MemoryBound: 0
; FloatMode: 240
; IeeeMode: 1
; LDSByteSize: 0 bytes/workgroup (compile time only)
; SGPRBlocks: 0
; VGPRBlocks: 2
; NumSGPRsForWavesPerEU: 10
; NumVGPRsForWavesPerEU: 20
; Occupancy: 16
; WaveLimiterHint : 0
; COMPUTE_PGM_RSRC2:SCRATCH_EN: 0
; COMPUTE_PGM_RSRC2:USER_SGPR: 6
; COMPUTE_PGM_RSRC2:TRAP_HANDLER: 0
; COMPUTE_PGM_RSRC2:TGID_X_EN: 1
; COMPUTE_PGM_RSRC2:TGID_Y_EN: 0
; COMPUTE_PGM_RSRC2:TGID_Z_EN: 0
; COMPUTE_PGM_RSRC2:TIDIG_COMP_CNT: 0
	.section	.text._ZL23dequantize_block_iq4_xsIN3c104HalfEEvPKvPT_,"axG",@progbits,_ZL23dequantize_block_iq4_xsIN3c104HalfEEvPKvPT_,comdat
	.globl	_ZL23dequantize_block_iq4_xsIN3c104HalfEEvPKvPT_ ; -- Begin function _ZL23dequantize_block_iq4_xsIN3c104HalfEEvPKvPT_
	.p2align	8
	.type	_ZL23dequantize_block_iq4_xsIN3c104HalfEEvPKvPT_,@function
_ZL23dequantize_block_iq4_xsIN3c104HalfEEvPKvPT_: ; @_ZL23dequantize_block_iq4_xsIN3c104HalfEEvPKvPT_
; %bb.0:
	s_load_dwordx4 s[0:3], s[4:5], 0x0
	v_lshrrev_b32_e32 v1, 1, v0
	v_and_b32_e32 v5, 7, v0
	s_mov_b32 s5, 0
	s_lshl_b32 s4, s6, 8
	s_mul_hi_u32 s7, s6, 0x88
	s_lshl_b64 s[4:5], s[4:5], 1
	v_and_b32_e32 v6, 0x1fc, v1
	v_lshlrev_b32_e32 v1, 4, v5
	s_mulk_i32 s6, 0x88
	s_waitcnt lgkmcnt(0)
	s_add_u32 s2, s2, s4
	s_addc_u32 s3, s3, s5
	s_add_u32 s0, s0, s6
	s_addc_u32 s1, s1, s7
	v_add_co_u32 v1, s4, s0, v1
	v_add_co_ci_u32_e64 v2, null, s1, 0, s4
	v_add_co_u32 v1, vcc_lo, v1, v6
	v_add_co_ci_u32_e64 v2, null, 0, v2, vcc_lo
	global_load_dword v3, v[1:2], off offset:8
	v_mov_b32_e32 v1, 0
	v_bfe_u32 v2, v0, 1, 2
	v_lshlrev_b32_e32 v0, 2, v0
	s_clause 0x1
	global_load_dword v7, v1, s[0:1]
	global_load_ubyte v8, v2, s[0:1] offset:4
	s_getpc_b64 s[0:1]
	s_add_u32 s0, s0, _ZL13kvalues_iq4nl@rel32@lo+4
	s_addc_u32 s1, s1, _ZL13kvalues_iq4nl@rel32@hi+12
	v_and_b32_e32 v0, 4, v0
	s_waitcnt vmcnt(2)
	v_lshrrev_b16 v1, 4, v3
	v_lshrrev_b32_e32 v2, 8, v3
	v_lshrrev_b32_e32 v4, 24, v3
	v_and_b32_e32 v9, 15, v3
	v_bfe_u32 v10, v3, 8, 4
	v_and_b32_e32 v1, 15, v1
	v_lshrrev_b16 v2, 4, v2
	v_lshrrev_b16 v4, 4, v4
	v_bfe_u32 v11, v3, 16, 4
	v_bfe_u32 v12, v3, 20, 4
	v_and_b32_e32 v1, 0xffff, v1
	v_and_b32_e32 v13, 15, v2
	v_bfe_u32 v14, v3, 24, 4
	v_and_b32_e32 v3, 0xffff, v4
	s_waitcnt vmcnt(0)
	v_bfe_u32 v0, v8, v0, 4
	v_add_co_u32 v1, s4, s0, v1
	v_and_b32_e32 v4, 0xffff, v13
	v_add_co_ci_u32_e64 v2, null, s1, 0, s4
	s_clause 0x2
	global_load_sbyte v9, v9, s[0:1]
	global_load_sbyte v13, v[1:2], off
	global_load_sbyte v10, v10, s[0:1]
	v_add_co_u32 v1, s4, s0, v4
	v_add_co_ci_u32_e64 v2, null, s1, 0, s4
	v_add_co_u32 v3, s4, s0, v3
	v_add_co_ci_u32_e64 v4, null, s1, 0, s4
	s_clause 0x4
	global_load_sbyte v11, v11, s[0:1]
	global_load_sbyte v12, v12, s[0:1]
	global_load_sbyte v1, v[1:2], off
	global_load_sbyte v14, v14, s[0:1]
	global_load_sbyte v3, v[3:4], off
	v_lshlrev_b32_e32 v2, 1, v5
	v_lshlrev_b32_e32 v4, 6, v5
	;; [unrolled: 1-line block ×3, first 2 shown]
	v_lshrrev_b32_sdwa v2, v2, v7 dst_sel:DWORD dst_unused:UNUSED_PAD src0_sel:DWORD src1_sel:WORD_1
	v_add_co_u32 v4, s0, s2, v4
	v_lshlrev_b32_e32 v2, 4, v2
	v_add_co_u32 v4, vcc_lo, v4, v5
	v_and_or_b32 v0, v2, 48, v0
	v_cvt_f32_f16_e32 v2, v7
	v_add_co_ci_u32_e64 v7, null, s3, 0, s0
	v_subrev_nc_u32_e32 v0, 32, v0
	v_add_co_ci_u32_e64 v5, null, 0, v7, vcc_lo
	v_cvt_f32_i32_e32 v0, v0
	v_mul_f32_e32 v6, v2, v0
	s_waitcnt vmcnt(7)
	v_cvt_f32_i32_e32 v0, v9
	s_waitcnt vmcnt(6)
	v_cvt_f32_i32_e32 v2, v13
	;; [unrolled: 2-line block ×3, first 2 shown]
	v_fma_mixlo_f16 v0, v6, v0, 0
	v_fma_mixlo_f16 v2, v6, v2, 0
	s_waitcnt vmcnt(4)
	v_cvt_f32_i32_e32 v9, v11
	s_waitcnt vmcnt(3)
	v_cvt_f32_i32_e32 v10, v12
	;; [unrolled: 2-line block ×5, first 2 shown]
	v_fma_mixlo_f16 v1, v6, v9, 0
	v_fma_mixlo_f16 v3, v6, v10, 0
	v_fma_mixhi_f16 v0, v6, v8, 0
	v_fma_mixhi_f16 v2, v6, v11, 0
	;; [unrolled: 1-line block ×4, first 2 shown]
	global_store_dwordx2 v[4:5], v[0:1], off
	global_store_dwordx2 v[4:5], v[2:3], off offset:32
	s_endpgm
	.section	.rodata,"a",@progbits
	.p2align	6, 0x0
	.amdhsa_kernel _ZL23dequantize_block_iq4_xsIN3c104HalfEEvPKvPT_
		.amdhsa_group_segment_fixed_size 0
		.amdhsa_private_segment_fixed_size 0
		.amdhsa_kernarg_size 16
		.amdhsa_user_sgpr_count 6
		.amdhsa_user_sgpr_private_segment_buffer 1
		.amdhsa_user_sgpr_dispatch_ptr 0
		.amdhsa_user_sgpr_queue_ptr 0
		.amdhsa_user_sgpr_kernarg_segment_ptr 1
		.amdhsa_user_sgpr_dispatch_id 0
		.amdhsa_user_sgpr_flat_scratch_init 0
		.amdhsa_user_sgpr_private_segment_size 0
		.amdhsa_wavefront_size32 1
		.amdhsa_uses_dynamic_stack 0
		.amdhsa_system_sgpr_private_segment_wavefront_offset 0
		.amdhsa_system_sgpr_workgroup_id_x 1
		.amdhsa_system_sgpr_workgroup_id_y 0
		.amdhsa_system_sgpr_workgroup_id_z 0
		.amdhsa_system_sgpr_workgroup_info 0
		.amdhsa_system_vgpr_workitem_id 0
		.amdhsa_next_free_vgpr 15
		.amdhsa_next_free_sgpr 8
		.amdhsa_reserve_vcc 1
		.amdhsa_reserve_flat_scratch 0
		.amdhsa_float_round_mode_32 0
		.amdhsa_float_round_mode_16_64 0
		.amdhsa_float_denorm_mode_32 3
		.amdhsa_float_denorm_mode_16_64 3
		.amdhsa_dx10_clamp 1
		.amdhsa_ieee_mode 1
		.amdhsa_fp16_overflow 0
		.amdhsa_workgroup_processor_mode 1
		.amdhsa_memory_ordered 1
		.amdhsa_forward_progress 1
		.amdhsa_shared_vgpr_count 0
		.amdhsa_exception_fp_ieee_invalid_op 0
		.amdhsa_exception_fp_denorm_src 0
		.amdhsa_exception_fp_ieee_div_zero 0
		.amdhsa_exception_fp_ieee_overflow 0
		.amdhsa_exception_fp_ieee_underflow 0
		.amdhsa_exception_fp_ieee_inexact 0
		.amdhsa_exception_int_div_zero 0
	.end_amdhsa_kernel
	.section	.text._ZL23dequantize_block_iq4_xsIN3c104HalfEEvPKvPT_,"axG",@progbits,_ZL23dequantize_block_iq4_xsIN3c104HalfEEvPKvPT_,comdat
.Lfunc_end36:
	.size	_ZL23dequantize_block_iq4_xsIN3c104HalfEEvPKvPT_, .Lfunc_end36-_ZL23dequantize_block_iq4_xsIN3c104HalfEEvPKvPT_
                                        ; -- End function
	.set _ZL23dequantize_block_iq4_xsIN3c104HalfEEvPKvPT_.num_vgpr, 15
	.set _ZL23dequantize_block_iq4_xsIN3c104HalfEEvPKvPT_.num_agpr, 0
	.set _ZL23dequantize_block_iq4_xsIN3c104HalfEEvPKvPT_.numbered_sgpr, 8
	.set _ZL23dequantize_block_iq4_xsIN3c104HalfEEvPKvPT_.num_named_barrier, 0
	.set _ZL23dequantize_block_iq4_xsIN3c104HalfEEvPKvPT_.private_seg_size, 0
	.set _ZL23dequantize_block_iq4_xsIN3c104HalfEEvPKvPT_.uses_vcc, 1
	.set _ZL23dequantize_block_iq4_xsIN3c104HalfEEvPKvPT_.uses_flat_scratch, 0
	.set _ZL23dequantize_block_iq4_xsIN3c104HalfEEvPKvPT_.has_dyn_sized_stack, 0
	.set _ZL23dequantize_block_iq4_xsIN3c104HalfEEvPKvPT_.has_recursion, 0
	.set _ZL23dequantize_block_iq4_xsIN3c104HalfEEvPKvPT_.has_indirect_call, 0
	.section	.AMDGPU.csdata,"",@progbits
; Kernel info:
; codeLenInByte = 636
; TotalNumSgprs: 10
; NumVgprs: 15
; ScratchSize: 0
; MemoryBound: 0
; FloatMode: 240
; IeeeMode: 1
; LDSByteSize: 0 bytes/workgroup (compile time only)
; SGPRBlocks: 0
; VGPRBlocks: 1
; NumSGPRsForWavesPerEU: 10
; NumVGPRsForWavesPerEU: 15
; Occupancy: 16
; WaveLimiterHint : 0
; COMPUTE_PGM_RSRC2:SCRATCH_EN: 0
; COMPUTE_PGM_RSRC2:USER_SGPR: 6
; COMPUTE_PGM_RSRC2:TRAP_HANDLER: 0
; COMPUTE_PGM_RSRC2:TGID_X_EN: 1
; COMPUTE_PGM_RSRC2:TGID_Y_EN: 0
; COMPUTE_PGM_RSRC2:TGID_Z_EN: 0
; COMPUTE_PGM_RSRC2:TIDIG_COMP_CNT: 0
	.section	.text._ZL22dequantize_block_iq1_mIN3c104HalfEEvPKvPT_,"axG",@progbits,_ZL22dequantize_block_iq1_mIN3c104HalfEEvPKvPT_,comdat
	.globl	_ZL22dequantize_block_iq1_mIN3c104HalfEEvPKvPT_ ; -- Begin function _ZL22dequantize_block_iq1_mIN3c104HalfEEvPKvPT_
	.p2align	8
	.type	_ZL22dequantize_block_iq1_mIN3c104HalfEEvPKvPT_,@function
_ZL22dequantize_block_iq1_mIN3c104HalfEEvPKvPT_: ; @_ZL22dequantize_block_iq1_mIN3c104HalfEEvPKvPT_
; %bb.0:
	s_load_dwordx4 s[0:3], s[4:5], 0x0
	v_and_b32_e32 v5, 7, v0
	s_mov_b32 s7, 0
	v_lshrrev_b32_e32 v1, 3, v0
	s_lshl_b64 s[4:5], s[6:7], 9
	s_mul_hi_u32 s7, s6, 56
	v_lshlrev_b32_e32 v2, 2, v5
	s_mul_i32 s6, s6, 56
	v_lshrrev_b32_e32 v3, 4, v0
	v_lshlrev_b32_e32 v6, 1, v5
	v_add_nc_u32_e32 v7, v6, v3
	s_waitcnt lgkmcnt(0)
	s_add_u32 s2, s2, s4
	s_addc_u32 s3, s3, s5
	s_add_u32 s0, s0, s6
	s_addc_u32 s1, s1, s7
	v_add_co_u32 v2, s4, s0, v2
	v_add_co_ci_u32_e64 v4, null, s1, 0, s4
	v_add_co_u32 v1, vcc_lo, v2, v1
	v_add_co_ci_u32_e64 v2, null, 0, v4, vcc_lo
	s_clause 0x1
	global_load_ubyte v8, v[1:2], off
	global_load_ubyte v9, v7, s[0:1] offset:32
	v_add_nc_u16 v1, v6, v3
	v_mov_b32_e32 v2, 0
	v_lshrrev_b32_e32 v6, 1, v0
	v_and_b32_e32 v7, 3, v7
	v_and_b32_e32 v0, 0x3f8, v0
	v_lshrrev_b16 v1, 1, v1
	v_and_b32_e32 v6, 4, v6
	v_and_b32_e32 v3, 62, v1
	global_load_dwordx2 v[1:2], v2, s[0:1] offset:48
	v_add_co_u32 v3, s0, s0, v3
	v_add_co_ci_u32_e64 v4, null, s1, 0, s0
	s_getpc_b64 s[0:1]
	s_add_u32 s0, s0, _ZL13iq1s_grid_gpu@rel32@lo+4
	s_addc_u32 s1, s1, _ZL13iq1s_grid_gpu@rel32@hi+12
	global_load_ushort v3, v[3:4], off offset:48
	s_waitcnt vmcnt(2)
	v_lshrrev_b32_e32 v4, v6, v9
	v_lshlrev_b32_e32 v6, 8, v4
	v_and_or_b32 v6, 0x700, v6, v8
	v_mov_b32_e32 v8, 0xbf600000
	v_lshlrev_b32_e32 v6, 3, v6
	global_load_dword v6, v6, s[0:1]
	s_waitcnt vmcnt(2)
	v_readfirstlane_b32 s0, v2
	v_mul_u32_u24_e32 v2, 3, v7
	v_readfirstlane_b32 s1, v1
	v_lshlrev_b32_e32 v1, 6, v5
	v_lshlrev_b32_e32 v5, 1, v0
	s_lshr_b32 s4, s0, 16
	s_waitcnt vmcnt(1)
	v_lshrrev_b32_e32 v2, v2, v3
	s_bfe_u32 s5, s1, 0x4000c
	s_lshr_b32 s1, s1, 24
	s_lshr_b32 s0, s0, 4
	s_and_b32 s1, s1, 0xf0
	v_lshlrev_b32_e32 v2, 1, v2
	s_and_b32 s0, s0, 0xf00
	s_or_b32 s1, s1, s5
	v_and_b32_e32 v3, 8, v4
	s_and_b32 s4, s4, 0xf000
	v_and_or_b32 v2, v2, 14, 1
	s_or_b32 s0, s1, s0
	s_or_b32 s0, s0, s4
	v_cmp_eq_u32_e32 vcc_lo, 0, v3
	v_cvt_f32_f16_e32 v0, s0
	v_cvt_f32_ubyte0_e32 v2, v2
	v_add_co_u32 v4, s0, s2, v1
	v_cndmask_b32_e32 v1, 0xbf900000, v8, vcc_lo
	v_add_co_ci_u32_e64 v7, null, s3, 0, s0
	v_mul_f32_e32 v8, v0, v2
	v_add_co_u32 v4, vcc_lo, v4, v5
	v_add_co_ci_u32_e64 v5, null, 0, v7, vcc_lo
	s_waitcnt vmcnt(0)
	v_and_b32_e32 v2, 15, v6
	v_bfe_u32 v3, v6, 8, 4
	v_bfe_u32 v9, v6, 16, 4
	;; [unrolled: 1-line block ×4, first 2 shown]
	v_and_b32_e32 v0, 0xf000000, v6
	v_bfe_u32 v11, v6, 12, 4
	v_lshrrev_b32_e32 v6, 28, v6
	v_cvt_f32_ubyte0_e32 v2, v2
	v_cvt_f32_ubyte0_e32 v3, v3
	;; [unrolled: 1-line block ×5, first 2 shown]
	v_cvt_f32_ubyte3_e32 v0, v0
	v_cvt_f32_ubyte0_e32 v11, v11
	v_cvt_f32_ubyte0_e32 v6, v6
	v_add_f32_e32 v2, v1, v2
	v_add_f32_e32 v13, v1, v3
	v_add_f32_e32 v3, v1, v9
	v_add_f32_e32 v10, v1, v10
	v_add_f32_e32 v12, v1, v12
	v_add_f32_e32 v9, v1, v0
	v_add_f32_e32 v11, v1, v11
	v_add_f32_e32 v6, v1, v6
	v_fma_mixlo_f16 v0, v8, v2, 0
	v_fma_mixlo_f16 v1, v8, v3, 0
	;; [unrolled: 1-line block ×4, first 2 shown]
	v_fma_mixhi_f16 v0, v8, v13, 0
	v_fma_mixhi_f16 v1, v8, v9, 0
	v_fma_mixhi_f16 v2, v8, v11, 0
	v_fma_mixhi_f16 v3, v8, v6, 0
	global_store_dwordx4 v[4:5], v[0:3], off
	s_endpgm
	.section	.rodata,"a",@progbits
	.p2align	6, 0x0
	.amdhsa_kernel _ZL22dequantize_block_iq1_mIN3c104HalfEEvPKvPT_
		.amdhsa_group_segment_fixed_size 0
		.amdhsa_private_segment_fixed_size 0
		.amdhsa_kernarg_size 16
		.amdhsa_user_sgpr_count 6
		.amdhsa_user_sgpr_private_segment_buffer 1
		.amdhsa_user_sgpr_dispatch_ptr 0
		.amdhsa_user_sgpr_queue_ptr 0
		.amdhsa_user_sgpr_kernarg_segment_ptr 1
		.amdhsa_user_sgpr_dispatch_id 0
		.amdhsa_user_sgpr_flat_scratch_init 0
		.amdhsa_user_sgpr_private_segment_size 0
		.amdhsa_wavefront_size32 1
		.amdhsa_uses_dynamic_stack 0
		.amdhsa_system_sgpr_private_segment_wavefront_offset 0
		.amdhsa_system_sgpr_workgroup_id_x 1
		.amdhsa_system_sgpr_workgroup_id_y 0
		.amdhsa_system_sgpr_workgroup_id_z 0
		.amdhsa_system_sgpr_workgroup_info 0
		.amdhsa_system_vgpr_workitem_id 0
		.amdhsa_next_free_vgpr 14
		.amdhsa_next_free_sgpr 8
		.amdhsa_reserve_vcc 1
		.amdhsa_reserve_flat_scratch 0
		.amdhsa_float_round_mode_32 0
		.amdhsa_float_round_mode_16_64 0
		.amdhsa_float_denorm_mode_32 3
		.amdhsa_float_denorm_mode_16_64 3
		.amdhsa_dx10_clamp 1
		.amdhsa_ieee_mode 1
		.amdhsa_fp16_overflow 0
		.amdhsa_workgroup_processor_mode 1
		.amdhsa_memory_ordered 1
		.amdhsa_forward_progress 1
		.amdhsa_shared_vgpr_count 0
		.amdhsa_exception_fp_ieee_invalid_op 0
		.amdhsa_exception_fp_denorm_src 0
		.amdhsa_exception_fp_ieee_div_zero 0
		.amdhsa_exception_fp_ieee_overflow 0
		.amdhsa_exception_fp_ieee_underflow 0
		.amdhsa_exception_fp_ieee_inexact 0
		.amdhsa_exception_int_div_zero 0
	.end_amdhsa_kernel
	.section	.text._ZL22dequantize_block_iq1_mIN3c104HalfEEvPKvPT_,"axG",@progbits,_ZL22dequantize_block_iq1_mIN3c104HalfEEvPKvPT_,comdat
.Lfunc_end37:
	.size	_ZL22dequantize_block_iq1_mIN3c104HalfEEvPKvPT_, .Lfunc_end37-_ZL22dequantize_block_iq1_mIN3c104HalfEEvPKvPT_
                                        ; -- End function
	.set _ZL22dequantize_block_iq1_mIN3c104HalfEEvPKvPT_.num_vgpr, 14
	.set _ZL22dequantize_block_iq1_mIN3c104HalfEEvPKvPT_.num_agpr, 0
	.set _ZL22dequantize_block_iq1_mIN3c104HalfEEvPKvPT_.numbered_sgpr, 8
	.set _ZL22dequantize_block_iq1_mIN3c104HalfEEvPKvPT_.num_named_barrier, 0
	.set _ZL22dequantize_block_iq1_mIN3c104HalfEEvPKvPT_.private_seg_size, 0
	.set _ZL22dequantize_block_iq1_mIN3c104HalfEEvPKvPT_.uses_vcc, 1
	.set _ZL22dequantize_block_iq1_mIN3c104HalfEEvPKvPT_.uses_flat_scratch, 0
	.set _ZL22dequantize_block_iq1_mIN3c104HalfEEvPKvPT_.has_dyn_sized_stack, 0
	.set _ZL22dequantize_block_iq1_mIN3c104HalfEEvPKvPT_.has_recursion, 0
	.set _ZL22dequantize_block_iq1_mIN3c104HalfEEvPKvPT_.has_indirect_call, 0
	.section	.AMDGPU.csdata,"",@progbits
; Kernel info:
; codeLenInByte = 620
; TotalNumSgprs: 10
; NumVgprs: 14
; ScratchSize: 0
; MemoryBound: 0
; FloatMode: 240
; IeeeMode: 1
; LDSByteSize: 0 bytes/workgroup (compile time only)
; SGPRBlocks: 0
; VGPRBlocks: 1
; NumSGPRsForWavesPerEU: 10
; NumVGPRsForWavesPerEU: 14
; Occupancy: 16
; WaveLimiterHint : 0
; COMPUTE_PGM_RSRC2:SCRATCH_EN: 0
; COMPUTE_PGM_RSRC2:USER_SGPR: 6
; COMPUTE_PGM_RSRC2:TRAP_HANDLER: 0
; COMPUTE_PGM_RSRC2:TGID_X_EN: 1
; COMPUTE_PGM_RSRC2:TGID_Y_EN: 0
; COMPUTE_PGM_RSRC2:TGID_Z_EN: 0
; COMPUTE_PGM_RSRC2:TIDIG_COMP_CNT: 0
	.section	.text._ZL16dequantize_blockILi32ELi2EXadL_ZL15dequantize_q4_0PKviiR7__half2EEN3c108BFloat16EEvS1_PT2_l,"axG",@progbits,_ZL16dequantize_blockILi32ELi2EXadL_ZL15dequantize_q4_0PKviiR7__half2EEN3c108BFloat16EEvS1_PT2_l,comdat
	.globl	_ZL16dequantize_blockILi32ELi2EXadL_ZL15dequantize_q4_0PKviiR7__half2EEN3c108BFloat16EEvS1_PT2_l ; -- Begin function _ZL16dequantize_blockILi32ELi2EXadL_ZL15dequantize_q4_0PKviiR7__half2EEN3c108BFloat16EEvS1_PT2_l
	.p2align	8
	.type	_ZL16dequantize_blockILi32ELi2EXadL_ZL15dequantize_q4_0PKviiR7__half2EEN3c108BFloat16EEvS1_PT2_l,@function
_ZL16dequantize_blockILi32ELi2EXadL_ZL15dequantize_q4_0PKviiR7__half2EEN3c108BFloat16EEvS1_PT2_l: ; @_ZL16dequantize_blockILi32ELi2EXadL_ZL15dequantize_q4_0PKviiR7__half2EEN3c108BFloat16EEvS1_PT2_l
; %bb.0:
	s_clause 0x1
	s_load_dword s2, s[4:5], 0x24
	s_load_dwordx2 s[0:1], s[4:5], 0x10
	v_mov_b32_e32 v1, 0
	s_waitcnt lgkmcnt(0)
	s_and_b32 s2, s2, 0xffff
	v_mad_u64_u32 v[4:5], null, s2, s6, v[0:1]
	v_lshlrev_b64 v[2:3], 1, v[4:5]
	v_cmp_gt_i64_e32 vcc_lo, s[0:1], v[2:3]
	s_and_saveexec_b32 s0, vcc_lo
	s_cbranch_execz .LBB38_2
; %bb.1:
	s_load_dwordx4 s[0:3], s[4:5], 0x0
	v_alignbit_b32 v0, v5, v4, 4
	v_and_b32_e32 v7, 15, v4
	s_waitcnt lgkmcnt(0)
	v_mad_i64_i32 v[5:6], null, v0, 18, s[0:1]
	v_add_co_u32 v3, vcc_lo, v5, v7
	v_add_co_ci_u32_e64 v4, null, 0, v6, vcc_lo
	s_clause 0x1
	global_load_ubyte v0, v[3:4], off offset:2
	global_load_ushort v3, v[5:6], off
	s_waitcnt vmcnt(1)
	v_and_b32_e32 v4, 15, v0
	v_lshrrev_b32_e32 v0, 4, v0
	s_waitcnt vmcnt(0)
	v_lshl_or_b32 v3, v3, 16, v3
	v_cvt_f32_ubyte0_e32 v4, v4
	v_cvt_f32_ubyte0_e32 v0, v0
	v_cvt_f16_f32_e32 v4, v4
	v_cvt_f16_f32_e32 v0, v0
	v_pack_b32_f16 v0, v4, v0
	v_pk_add_f16 v0, 0xc800, v0 op_sel_hi:[0,1]
	v_pk_mul_f16 v3, v0, v3
	v_mov_b32_e32 v0, v1
	v_and_or_b32 v1, 0xffffffe0, v2, v7
	v_cvt_f32_f16_e32 v4, v3
	v_cvt_f32_f16_sdwa v2, v3 dst_sel:DWORD dst_unused:UNUSED_PAD src0_sel:WORD_1
	v_ashrrev_i64 v[0:1], 31, v[0:1]
	v_cmp_o_f16_sdwa vcc_lo, v3, v3 src0_sel:WORD_1 src1_sel:WORD_1
	v_bfe_u32 v5, v4, 16, 1
	v_bfe_u32 v6, v2, 16, 1
	v_add_co_u32 v0, s0, s2, v0
	v_add3_u32 v4, v4, v5, 0x7fff
	v_add_co_ci_u32_e64 v1, null, s3, v1, s0
	v_cmp_o_f16_e64 s0, v3, v3
	v_mov_b32_e32 v5, 0x7fc0
	v_lshrrev_b32_e32 v4, 16, v4
	v_add3_u32 v2, v2, v6, 0x7fff
	v_cndmask_b32_e64 v3, 0x7fc0, v4, s0
	v_cndmask_b32_sdwa v2, v5, v2, vcc_lo dst_sel:DWORD dst_unused:UNUSED_PAD src0_sel:DWORD src1_sel:WORD_1
	global_store_short v[0:1], v3, off
	global_store_short v[0:1], v2, off offset:32
.LBB38_2:
	s_endpgm
	.section	.rodata,"a",@progbits
	.p2align	6, 0x0
	.amdhsa_kernel _ZL16dequantize_blockILi32ELi2EXadL_ZL15dequantize_q4_0PKviiR7__half2EEN3c108BFloat16EEvS1_PT2_l
		.amdhsa_group_segment_fixed_size 0
		.amdhsa_private_segment_fixed_size 0
		.amdhsa_kernarg_size 280
		.amdhsa_user_sgpr_count 6
		.amdhsa_user_sgpr_private_segment_buffer 1
		.amdhsa_user_sgpr_dispatch_ptr 0
		.amdhsa_user_sgpr_queue_ptr 0
		.amdhsa_user_sgpr_kernarg_segment_ptr 1
		.amdhsa_user_sgpr_dispatch_id 0
		.amdhsa_user_sgpr_flat_scratch_init 0
		.amdhsa_user_sgpr_private_segment_size 0
		.amdhsa_wavefront_size32 1
		.amdhsa_uses_dynamic_stack 0
		.amdhsa_system_sgpr_private_segment_wavefront_offset 0
		.amdhsa_system_sgpr_workgroup_id_x 1
		.amdhsa_system_sgpr_workgroup_id_y 0
		.amdhsa_system_sgpr_workgroup_id_z 0
		.amdhsa_system_sgpr_workgroup_info 0
		.amdhsa_system_vgpr_workitem_id 0
		.amdhsa_next_free_vgpr 8
		.amdhsa_next_free_sgpr 7
		.amdhsa_reserve_vcc 1
		.amdhsa_reserve_flat_scratch 0
		.amdhsa_float_round_mode_32 0
		.amdhsa_float_round_mode_16_64 0
		.amdhsa_float_denorm_mode_32 3
		.amdhsa_float_denorm_mode_16_64 3
		.amdhsa_dx10_clamp 1
		.amdhsa_ieee_mode 1
		.amdhsa_fp16_overflow 0
		.amdhsa_workgroup_processor_mode 1
		.amdhsa_memory_ordered 1
		.amdhsa_forward_progress 1
		.amdhsa_shared_vgpr_count 0
		.amdhsa_exception_fp_ieee_invalid_op 0
		.amdhsa_exception_fp_denorm_src 0
		.amdhsa_exception_fp_ieee_div_zero 0
		.amdhsa_exception_fp_ieee_overflow 0
		.amdhsa_exception_fp_ieee_underflow 0
		.amdhsa_exception_fp_ieee_inexact 0
		.amdhsa_exception_int_div_zero 0
	.end_amdhsa_kernel
	.section	.text._ZL16dequantize_blockILi32ELi2EXadL_ZL15dequantize_q4_0PKviiR7__half2EEN3c108BFloat16EEvS1_PT2_l,"axG",@progbits,_ZL16dequantize_blockILi32ELi2EXadL_ZL15dequantize_q4_0PKviiR7__half2EEN3c108BFloat16EEvS1_PT2_l,comdat
.Lfunc_end38:
	.size	_ZL16dequantize_blockILi32ELi2EXadL_ZL15dequantize_q4_0PKviiR7__half2EEN3c108BFloat16EEvS1_PT2_l, .Lfunc_end38-_ZL16dequantize_blockILi32ELi2EXadL_ZL15dequantize_q4_0PKviiR7__half2EEN3c108BFloat16EEvS1_PT2_l
                                        ; -- End function
	.set _ZL16dequantize_blockILi32ELi2EXadL_ZL15dequantize_q4_0PKviiR7__half2EEN3c108BFloat16EEvS1_PT2_l.num_vgpr, 8
	.set _ZL16dequantize_blockILi32ELi2EXadL_ZL15dequantize_q4_0PKviiR7__half2EEN3c108BFloat16EEvS1_PT2_l.num_agpr, 0
	.set _ZL16dequantize_blockILi32ELi2EXadL_ZL15dequantize_q4_0PKviiR7__half2EEN3c108BFloat16EEvS1_PT2_l.numbered_sgpr, 7
	.set _ZL16dequantize_blockILi32ELi2EXadL_ZL15dequantize_q4_0PKviiR7__half2EEN3c108BFloat16EEvS1_PT2_l.num_named_barrier, 0
	.set _ZL16dequantize_blockILi32ELi2EXadL_ZL15dequantize_q4_0PKviiR7__half2EEN3c108BFloat16EEvS1_PT2_l.private_seg_size, 0
	.set _ZL16dequantize_blockILi32ELi2EXadL_ZL15dequantize_q4_0PKviiR7__half2EEN3c108BFloat16EEvS1_PT2_l.uses_vcc, 1
	.set _ZL16dequantize_blockILi32ELi2EXadL_ZL15dequantize_q4_0PKviiR7__half2EEN3c108BFloat16EEvS1_PT2_l.uses_flat_scratch, 0
	.set _ZL16dequantize_blockILi32ELi2EXadL_ZL15dequantize_q4_0PKviiR7__half2EEN3c108BFloat16EEvS1_PT2_l.has_dyn_sized_stack, 0
	.set _ZL16dequantize_blockILi32ELi2EXadL_ZL15dequantize_q4_0PKviiR7__half2EEN3c108BFloat16EEvS1_PT2_l.has_recursion, 0
	.set _ZL16dequantize_blockILi32ELi2EXadL_ZL15dequantize_q4_0PKviiR7__half2EEN3c108BFloat16EEvS1_PT2_l.has_indirect_call, 0
	.section	.AMDGPU.csdata,"",@progbits
; Kernel info:
; codeLenInByte = 360
; TotalNumSgprs: 9
; NumVgprs: 8
; ScratchSize: 0
; MemoryBound: 0
; FloatMode: 240
; IeeeMode: 1
; LDSByteSize: 0 bytes/workgroup (compile time only)
; SGPRBlocks: 0
; VGPRBlocks: 0
; NumSGPRsForWavesPerEU: 9
; NumVGPRsForWavesPerEU: 8
; Occupancy: 16
; WaveLimiterHint : 0
; COMPUTE_PGM_RSRC2:SCRATCH_EN: 0
; COMPUTE_PGM_RSRC2:USER_SGPR: 6
; COMPUTE_PGM_RSRC2:TRAP_HANDLER: 0
; COMPUTE_PGM_RSRC2:TGID_X_EN: 1
; COMPUTE_PGM_RSRC2:TGID_Y_EN: 0
; COMPUTE_PGM_RSRC2:TGID_Z_EN: 0
; COMPUTE_PGM_RSRC2:TIDIG_COMP_CNT: 0
	.section	.text._ZL16dequantize_blockILi32ELi2EXadL_ZL15dequantize_q4_1PKviiR7__half2EEN3c108BFloat16EEvS1_PT2_l,"axG",@progbits,_ZL16dequantize_blockILi32ELi2EXadL_ZL15dequantize_q4_1PKviiR7__half2EEN3c108BFloat16EEvS1_PT2_l,comdat
	.globl	_ZL16dequantize_blockILi32ELi2EXadL_ZL15dequantize_q4_1PKviiR7__half2EEN3c108BFloat16EEvS1_PT2_l ; -- Begin function _ZL16dequantize_blockILi32ELi2EXadL_ZL15dequantize_q4_1PKviiR7__half2EEN3c108BFloat16EEvS1_PT2_l
	.p2align	8
	.type	_ZL16dequantize_blockILi32ELi2EXadL_ZL15dequantize_q4_1PKviiR7__half2EEN3c108BFloat16EEvS1_PT2_l,@function
_ZL16dequantize_blockILi32ELi2EXadL_ZL15dequantize_q4_1PKviiR7__half2EEN3c108BFloat16EEvS1_PT2_l: ; @_ZL16dequantize_blockILi32ELi2EXadL_ZL15dequantize_q4_1PKviiR7__half2EEN3c108BFloat16EEvS1_PT2_l
; %bb.0:
	s_clause 0x1
	s_load_dword s2, s[4:5], 0x24
	s_load_dwordx2 s[0:1], s[4:5], 0x10
	v_mov_b32_e32 v1, 0
	s_waitcnt lgkmcnt(0)
	s_and_b32 s2, s2, 0xffff
	v_mad_u64_u32 v[4:5], null, s2, s6, v[0:1]
	v_lshlrev_b64 v[2:3], 1, v[4:5]
	v_cmp_gt_i64_e32 vcc_lo, s[0:1], v[2:3]
	s_and_saveexec_b32 s0, vcc_lo
	s_cbranch_execz .LBB39_2
; %bb.1:
	s_load_dwordx4 s[0:3], s[4:5], 0x0
	v_alignbit_b32 v0, v5, v4, 4
	v_and_b32_e32 v7, 15, v4
	s_waitcnt lgkmcnt(0)
	v_mad_i64_i32 v[5:6], null, v0, 20, s[0:1]
	v_add_co_u32 v3, vcc_lo, v5, v7
	v_add_co_ci_u32_e64 v4, null, 0, v6, vcc_lo
	s_clause 0x1
	global_load_ubyte v0, v[3:4], off offset:4
	global_load_dword v3, v[5:6], off
	v_mov_b32_e32 v5, 0x10001
	s_waitcnt vmcnt(1)
	v_and_b32_e32 v4, 15, v0
	v_lshrrev_b32_e32 v0, 4, v0
	s_waitcnt vmcnt(0)
	v_lshrrev_b32_e32 v6, 16, v3
	v_mul_u32_u24_sdwa v5, v3, v5 dst_sel:DWORD dst_unused:UNUSED_PAD src0_sel:WORD_0 src1_sel:DWORD
	v_cvt_f32_ubyte0_e32 v4, v4
	v_cvt_f32_ubyte0_e32 v0, v0
	v_and_or_b32 v3, 0xffff0000, v3, v6
	v_cvt_f16_f32_e32 v4, v4
	v_cvt_f16_f32_e32 v0, v0
	v_pack_b32_f16 v0, v4, v0
	v_pk_fma_f16 v3, v0, v5, v3
	v_mov_b32_e32 v0, v1
	v_and_or_b32 v1, 0xffffffe0, v2, v7
	v_cvt_f32_f16_e32 v4, v3
	v_cvt_f32_f16_sdwa v2, v3 dst_sel:DWORD dst_unused:UNUSED_PAD src0_sel:WORD_1
	v_ashrrev_i64 v[0:1], 31, v[0:1]
	v_cmp_o_f16_sdwa vcc_lo, v3, v3 src0_sel:WORD_1 src1_sel:WORD_1
	v_bfe_u32 v5, v4, 16, 1
	v_bfe_u32 v6, v2, 16, 1
	v_add_co_u32 v0, s0, s2, v0
	v_add3_u32 v4, v4, v5, 0x7fff
	v_add_co_ci_u32_e64 v1, null, s3, v1, s0
	v_cmp_o_f16_e64 s0, v3, v3
	v_mov_b32_e32 v5, 0x7fc0
	v_lshrrev_b32_e32 v4, 16, v4
	v_add3_u32 v2, v2, v6, 0x7fff
	v_cndmask_b32_e64 v3, 0x7fc0, v4, s0
	v_cndmask_b32_sdwa v2, v5, v2, vcc_lo dst_sel:DWORD dst_unused:UNUSED_PAD src0_sel:DWORD src1_sel:WORD_1
	global_store_short v[0:1], v3, off
	global_store_short v[0:1], v2, off offset:32
.LBB39_2:
	s_endpgm
	.section	.rodata,"a",@progbits
	.p2align	6, 0x0
	.amdhsa_kernel _ZL16dequantize_blockILi32ELi2EXadL_ZL15dequantize_q4_1PKviiR7__half2EEN3c108BFloat16EEvS1_PT2_l
		.amdhsa_group_segment_fixed_size 0
		.amdhsa_private_segment_fixed_size 0
		.amdhsa_kernarg_size 280
		.amdhsa_user_sgpr_count 6
		.amdhsa_user_sgpr_private_segment_buffer 1
		.amdhsa_user_sgpr_dispatch_ptr 0
		.amdhsa_user_sgpr_queue_ptr 0
		.amdhsa_user_sgpr_kernarg_segment_ptr 1
		.amdhsa_user_sgpr_dispatch_id 0
		.amdhsa_user_sgpr_flat_scratch_init 0
		.amdhsa_user_sgpr_private_segment_size 0
		.amdhsa_wavefront_size32 1
		.amdhsa_uses_dynamic_stack 0
		.amdhsa_system_sgpr_private_segment_wavefront_offset 0
		.amdhsa_system_sgpr_workgroup_id_x 1
		.amdhsa_system_sgpr_workgroup_id_y 0
		.amdhsa_system_sgpr_workgroup_id_z 0
		.amdhsa_system_sgpr_workgroup_info 0
		.amdhsa_system_vgpr_workitem_id 0
		.amdhsa_next_free_vgpr 8
		.amdhsa_next_free_sgpr 7
		.amdhsa_reserve_vcc 1
		.amdhsa_reserve_flat_scratch 0
		.amdhsa_float_round_mode_32 0
		.amdhsa_float_round_mode_16_64 0
		.amdhsa_float_denorm_mode_32 3
		.amdhsa_float_denorm_mode_16_64 3
		.amdhsa_dx10_clamp 1
		.amdhsa_ieee_mode 1
		.amdhsa_fp16_overflow 0
		.amdhsa_workgroup_processor_mode 1
		.amdhsa_memory_ordered 1
		.amdhsa_forward_progress 1
		.amdhsa_shared_vgpr_count 0
		.amdhsa_exception_fp_ieee_invalid_op 0
		.amdhsa_exception_fp_denorm_src 0
		.amdhsa_exception_fp_ieee_div_zero 0
		.amdhsa_exception_fp_ieee_overflow 0
		.amdhsa_exception_fp_ieee_underflow 0
		.amdhsa_exception_fp_ieee_inexact 0
		.amdhsa_exception_int_div_zero 0
	.end_amdhsa_kernel
	.section	.text._ZL16dequantize_blockILi32ELi2EXadL_ZL15dequantize_q4_1PKviiR7__half2EEN3c108BFloat16EEvS1_PT2_l,"axG",@progbits,_ZL16dequantize_blockILi32ELi2EXadL_ZL15dequantize_q4_1PKviiR7__half2EEN3c108BFloat16EEvS1_PT2_l,comdat
.Lfunc_end39:
	.size	_ZL16dequantize_blockILi32ELi2EXadL_ZL15dequantize_q4_1PKviiR7__half2EEN3c108BFloat16EEvS1_PT2_l, .Lfunc_end39-_ZL16dequantize_blockILi32ELi2EXadL_ZL15dequantize_q4_1PKviiR7__half2EEN3c108BFloat16EEvS1_PT2_l
                                        ; -- End function
	.set _ZL16dequantize_blockILi32ELi2EXadL_ZL15dequantize_q4_1PKviiR7__half2EEN3c108BFloat16EEvS1_PT2_l.num_vgpr, 8
	.set _ZL16dequantize_blockILi32ELi2EXadL_ZL15dequantize_q4_1PKviiR7__half2EEN3c108BFloat16EEvS1_PT2_l.num_agpr, 0
	.set _ZL16dequantize_blockILi32ELi2EXadL_ZL15dequantize_q4_1PKviiR7__half2EEN3c108BFloat16EEvS1_PT2_l.numbered_sgpr, 7
	.set _ZL16dequantize_blockILi32ELi2EXadL_ZL15dequantize_q4_1PKviiR7__half2EEN3c108BFloat16EEvS1_PT2_l.num_named_barrier, 0
	.set _ZL16dequantize_blockILi32ELi2EXadL_ZL15dequantize_q4_1PKviiR7__half2EEN3c108BFloat16EEvS1_PT2_l.private_seg_size, 0
	.set _ZL16dequantize_blockILi32ELi2EXadL_ZL15dequantize_q4_1PKviiR7__half2EEN3c108BFloat16EEvS1_PT2_l.uses_vcc, 1
	.set _ZL16dequantize_blockILi32ELi2EXadL_ZL15dequantize_q4_1PKviiR7__half2EEN3c108BFloat16EEvS1_PT2_l.uses_flat_scratch, 0
	.set _ZL16dequantize_blockILi32ELi2EXadL_ZL15dequantize_q4_1PKviiR7__half2EEN3c108BFloat16EEvS1_PT2_l.has_dyn_sized_stack, 0
	.set _ZL16dequantize_blockILi32ELi2EXadL_ZL15dequantize_q4_1PKviiR7__half2EEN3c108BFloat16EEvS1_PT2_l.has_recursion, 0
	.set _ZL16dequantize_blockILi32ELi2EXadL_ZL15dequantize_q4_1PKviiR7__half2EEN3c108BFloat16EEvS1_PT2_l.has_indirect_call, 0
	.section	.AMDGPU.csdata,"",@progbits
; Kernel info:
; codeLenInByte = 372
; TotalNumSgprs: 9
; NumVgprs: 8
; ScratchSize: 0
; MemoryBound: 0
; FloatMode: 240
; IeeeMode: 1
; LDSByteSize: 0 bytes/workgroup (compile time only)
; SGPRBlocks: 0
; VGPRBlocks: 0
; NumSGPRsForWavesPerEU: 9
; NumVGPRsForWavesPerEU: 8
; Occupancy: 16
; WaveLimiterHint : 0
; COMPUTE_PGM_RSRC2:SCRATCH_EN: 0
; COMPUTE_PGM_RSRC2:USER_SGPR: 6
; COMPUTE_PGM_RSRC2:TRAP_HANDLER: 0
; COMPUTE_PGM_RSRC2:TGID_X_EN: 1
; COMPUTE_PGM_RSRC2:TGID_Y_EN: 0
; COMPUTE_PGM_RSRC2:TGID_Z_EN: 0
; COMPUTE_PGM_RSRC2:TIDIG_COMP_CNT: 0
	.section	.text._ZL16dequantize_blockILi32ELi2EXadL_ZL15dequantize_q5_0PKviiR7__half2EEN3c108BFloat16EEvS1_PT2_l,"axG",@progbits,_ZL16dequantize_blockILi32ELi2EXadL_ZL15dequantize_q5_0PKviiR7__half2EEN3c108BFloat16EEvS1_PT2_l,comdat
	.globl	_ZL16dequantize_blockILi32ELi2EXadL_ZL15dequantize_q5_0PKviiR7__half2EEN3c108BFloat16EEvS1_PT2_l ; -- Begin function _ZL16dequantize_blockILi32ELi2EXadL_ZL15dequantize_q5_0PKviiR7__half2EEN3c108BFloat16EEvS1_PT2_l
	.p2align	8
	.type	_ZL16dequantize_blockILi32ELi2EXadL_ZL15dequantize_q5_0PKviiR7__half2EEN3c108BFloat16EEvS1_PT2_l,@function
_ZL16dequantize_blockILi32ELi2EXadL_ZL15dequantize_q5_0PKviiR7__half2EEN3c108BFloat16EEvS1_PT2_l: ; @_ZL16dequantize_blockILi32ELi2EXadL_ZL15dequantize_q5_0PKviiR7__half2EEN3c108BFloat16EEvS1_PT2_l
; %bb.0:
	s_clause 0x1
	s_load_dword s2, s[4:5], 0x24
	s_load_dwordx2 s[0:1], s[4:5], 0x10
	v_mov_b32_e32 v1, 0
	s_waitcnt lgkmcnt(0)
	s_and_b32 s2, s2, 0xffff
	v_mad_u64_u32 v[2:3], null, s2, s6, v[0:1]
	v_lshlrev_b64 v[0:1], 1, v[2:3]
	v_cmp_gt_i64_e32 vcc_lo, s[0:1], v[0:1]
	s_and_saveexec_b32 s0, vcc_lo
	s_cbranch_execz .LBB40_2
; %bb.1:
	s_load_dwordx4 s[0:3], s[4:5], 0x0
	v_alignbit_b32 v1, v3, v2, 4
	v_and_b32_e32 v5, 15, v2
	v_and_or_b32 v0, 0xffffffe0, v0, v5
	s_waitcnt lgkmcnt(0)
	v_mad_i64_i32 v[3:4], null, v1, 22, s[0:1]
	s_clause 0x1
	global_load_dword v6, v[3:4], off
	global_load_ushort v7, v[3:4], off offset:4
	v_add_co_u32 v1, vcc_lo, v3, v5
	v_add_co_ci_u32_e64 v2, null, 0, v4, vcc_lo
	v_add_nc_u32_e32 v3, 12, v5
	global_load_ubyte v1, v[1:2], off offset:6
	s_waitcnt vmcnt(1)
	v_perm_b32 v2, v6, v7, 0x1000706
	v_lshrrev_b32_e32 v4, v5, v2
	v_lshrrev_b32_e32 v2, v3, v2
	s_waitcnt vmcnt(0)
	v_and_b32_e32 v3, 15, v1
	v_lshrrev_b16 v1, 4, v1
	v_lshlrev_b32_e32 v4, 4, v4
	v_and_or_b32 v1, v2, 16, v1
	v_and_or_b32 v2, v4, 16, v3
	v_and_b32_e32 v3, 0xffff, v6
	v_cvt_f32_ubyte0_e32 v1, v1
	v_cvt_f32_ubyte0_e32 v2, v2
	v_cvt_f16_f32_e32 v1, v1
	v_cvt_f16_f32_e32 v2, v2
	v_pack_b32_f16 v1, v2, v1
	v_lshl_or_b32 v2, v6, 16, v3
	v_pk_add_f16 v1, 0xcc00, v1 op_sel_hi:[0,1]
	v_pk_mul_f16 v2, v1, v2
	v_ashrrev_i32_e32 v1, 31, v0
	v_cvt_f32_f16_e32 v3, v2
	v_cvt_f32_f16_sdwa v5, v2 dst_sel:DWORD dst_unused:UNUSED_PAD src0_sel:WORD_1
	v_lshlrev_b64 v[0:1], 1, v[0:1]
	v_cmp_o_f16_sdwa vcc_lo, v2, v2 src0_sel:WORD_1 src1_sel:WORD_1
	v_bfe_u32 v4, v3, 16, 1
	v_bfe_u32 v6, v5, 16, 1
	v_add_co_u32 v0, s0, s2, v0
	v_add3_u32 v3, v3, v4, 0x7fff
	v_add_co_ci_u32_e64 v1, null, s3, v1, s0
	v_cmp_o_f16_e64 s0, v2, v2
	v_mov_b32_e32 v4, 0x7fc0
	v_lshrrev_b32_e32 v3, 16, v3
	v_add3_u32 v5, v5, v6, 0x7fff
	v_cndmask_b32_e64 v2, 0x7fc0, v3, s0
	v_cndmask_b32_sdwa v3, v4, v5, vcc_lo dst_sel:DWORD dst_unused:UNUSED_PAD src0_sel:DWORD src1_sel:WORD_1
	global_store_short v[0:1], v2, off
	global_store_short v[0:1], v3, off offset:32
.LBB40_2:
	s_endpgm
	.section	.rodata,"a",@progbits
	.p2align	6, 0x0
	.amdhsa_kernel _ZL16dequantize_blockILi32ELi2EXadL_ZL15dequantize_q5_0PKviiR7__half2EEN3c108BFloat16EEvS1_PT2_l
		.amdhsa_group_segment_fixed_size 0
		.amdhsa_private_segment_fixed_size 0
		.amdhsa_kernarg_size 280
		.amdhsa_user_sgpr_count 6
		.amdhsa_user_sgpr_private_segment_buffer 1
		.amdhsa_user_sgpr_dispatch_ptr 0
		.amdhsa_user_sgpr_queue_ptr 0
		.amdhsa_user_sgpr_kernarg_segment_ptr 1
		.amdhsa_user_sgpr_dispatch_id 0
		.amdhsa_user_sgpr_flat_scratch_init 0
		.amdhsa_user_sgpr_private_segment_size 0
		.amdhsa_wavefront_size32 1
		.amdhsa_uses_dynamic_stack 0
		.amdhsa_system_sgpr_private_segment_wavefront_offset 0
		.amdhsa_system_sgpr_workgroup_id_x 1
		.amdhsa_system_sgpr_workgroup_id_y 0
		.amdhsa_system_sgpr_workgroup_id_z 0
		.amdhsa_system_sgpr_workgroup_info 0
		.amdhsa_system_vgpr_workitem_id 0
		.amdhsa_next_free_vgpr 8
		.amdhsa_next_free_sgpr 7
		.amdhsa_reserve_vcc 1
		.amdhsa_reserve_flat_scratch 0
		.amdhsa_float_round_mode_32 0
		.amdhsa_float_round_mode_16_64 0
		.amdhsa_float_denorm_mode_32 3
		.amdhsa_float_denorm_mode_16_64 3
		.amdhsa_dx10_clamp 1
		.amdhsa_ieee_mode 1
		.amdhsa_fp16_overflow 0
		.amdhsa_workgroup_processor_mode 1
		.amdhsa_memory_ordered 1
		.amdhsa_forward_progress 1
		.amdhsa_shared_vgpr_count 0
		.amdhsa_exception_fp_ieee_invalid_op 0
		.amdhsa_exception_fp_denorm_src 0
		.amdhsa_exception_fp_ieee_div_zero 0
		.amdhsa_exception_fp_ieee_overflow 0
		.amdhsa_exception_fp_ieee_underflow 0
		.amdhsa_exception_fp_ieee_inexact 0
		.amdhsa_exception_int_div_zero 0
	.end_amdhsa_kernel
	.section	.text._ZL16dequantize_blockILi32ELi2EXadL_ZL15dequantize_q5_0PKviiR7__half2EEN3c108BFloat16EEvS1_PT2_l,"axG",@progbits,_ZL16dequantize_blockILi32ELi2EXadL_ZL15dequantize_q5_0PKviiR7__half2EEN3c108BFloat16EEvS1_PT2_l,comdat
.Lfunc_end40:
	.size	_ZL16dequantize_blockILi32ELi2EXadL_ZL15dequantize_q5_0PKviiR7__half2EEN3c108BFloat16EEvS1_PT2_l, .Lfunc_end40-_ZL16dequantize_blockILi32ELi2EXadL_ZL15dequantize_q5_0PKviiR7__half2EEN3c108BFloat16EEvS1_PT2_l
                                        ; -- End function
	.set _ZL16dequantize_blockILi32ELi2EXadL_ZL15dequantize_q5_0PKviiR7__half2EEN3c108BFloat16EEvS1_PT2_l.num_vgpr, 8
	.set _ZL16dequantize_blockILi32ELi2EXadL_ZL15dequantize_q5_0PKviiR7__half2EEN3c108BFloat16EEvS1_PT2_l.num_agpr, 0
	.set _ZL16dequantize_blockILi32ELi2EXadL_ZL15dequantize_q5_0PKviiR7__half2EEN3c108BFloat16EEvS1_PT2_l.numbered_sgpr, 7
	.set _ZL16dequantize_blockILi32ELi2EXadL_ZL15dequantize_q5_0PKviiR7__half2EEN3c108BFloat16EEvS1_PT2_l.num_named_barrier, 0
	.set _ZL16dequantize_blockILi32ELi2EXadL_ZL15dequantize_q5_0PKviiR7__half2EEN3c108BFloat16EEvS1_PT2_l.private_seg_size, 0
	.set _ZL16dequantize_blockILi32ELi2EXadL_ZL15dequantize_q5_0PKviiR7__half2EEN3c108BFloat16EEvS1_PT2_l.uses_vcc, 1
	.set _ZL16dequantize_blockILi32ELi2EXadL_ZL15dequantize_q5_0PKviiR7__half2EEN3c108BFloat16EEvS1_PT2_l.uses_flat_scratch, 0
	.set _ZL16dequantize_blockILi32ELi2EXadL_ZL15dequantize_q5_0PKviiR7__half2EEN3c108BFloat16EEvS1_PT2_l.has_dyn_sized_stack, 0
	.set _ZL16dequantize_blockILi32ELi2EXadL_ZL15dequantize_q5_0PKviiR7__half2EEN3c108BFloat16EEvS1_PT2_l.has_recursion, 0
	.set _ZL16dequantize_blockILi32ELi2EXadL_ZL15dequantize_q5_0PKviiR7__half2EEN3c108BFloat16EEvS1_PT2_l.has_indirect_call, 0
	.section	.AMDGPU.csdata,"",@progbits
; Kernel info:
; codeLenInByte = 424
; TotalNumSgprs: 9
; NumVgprs: 8
; ScratchSize: 0
; MemoryBound: 0
; FloatMode: 240
; IeeeMode: 1
; LDSByteSize: 0 bytes/workgroup (compile time only)
; SGPRBlocks: 0
; VGPRBlocks: 0
; NumSGPRsForWavesPerEU: 9
; NumVGPRsForWavesPerEU: 8
; Occupancy: 16
; WaveLimiterHint : 0
; COMPUTE_PGM_RSRC2:SCRATCH_EN: 0
; COMPUTE_PGM_RSRC2:USER_SGPR: 6
; COMPUTE_PGM_RSRC2:TRAP_HANDLER: 0
; COMPUTE_PGM_RSRC2:TGID_X_EN: 1
; COMPUTE_PGM_RSRC2:TGID_Y_EN: 0
; COMPUTE_PGM_RSRC2:TGID_Z_EN: 0
; COMPUTE_PGM_RSRC2:TIDIG_COMP_CNT: 0
	.section	.text._ZL16dequantize_blockILi32ELi2EXadL_ZL15dequantize_q5_1PKviiR7__half2EEN3c108BFloat16EEvS1_PT2_l,"axG",@progbits,_ZL16dequantize_blockILi32ELi2EXadL_ZL15dequantize_q5_1PKviiR7__half2EEN3c108BFloat16EEvS1_PT2_l,comdat
	.globl	_ZL16dequantize_blockILi32ELi2EXadL_ZL15dequantize_q5_1PKviiR7__half2EEN3c108BFloat16EEvS1_PT2_l ; -- Begin function _ZL16dequantize_blockILi32ELi2EXadL_ZL15dequantize_q5_1PKviiR7__half2EEN3c108BFloat16EEvS1_PT2_l
	.p2align	8
	.type	_ZL16dequantize_blockILi32ELi2EXadL_ZL15dequantize_q5_1PKviiR7__half2EEN3c108BFloat16EEvS1_PT2_l,@function
_ZL16dequantize_blockILi32ELi2EXadL_ZL15dequantize_q5_1PKviiR7__half2EEN3c108BFloat16EEvS1_PT2_l: ; @_ZL16dequantize_blockILi32ELi2EXadL_ZL15dequantize_q5_1PKviiR7__half2EEN3c108BFloat16EEvS1_PT2_l
; %bb.0:
	s_clause 0x1
	s_load_dword s2, s[4:5], 0x24
	s_load_dwordx2 s[0:1], s[4:5], 0x10
	v_mov_b32_e32 v1, 0
	s_waitcnt lgkmcnt(0)
	s_and_b32 s2, s2, 0xffff
	v_mad_u64_u32 v[2:3], null, s2, s6, v[0:1]
	v_lshlrev_b64 v[0:1], 1, v[2:3]
	v_cmp_gt_i64_e32 vcc_lo, s[0:1], v[0:1]
	s_and_saveexec_b32 s0, vcc_lo
	s_cbranch_execz .LBB41_2
; %bb.1:
	s_load_dwordx4 s[0:3], s[4:5], 0x0
	v_alignbit_b32 v1, v3, v2, 4
	v_and_b32_e32 v5, 15, v2
	v_and_or_b32 v0, 0xffffffe0, v0, v5
	s_waitcnt lgkmcnt(0)
	v_mad_i64_i32 v[3:4], null, v1, 24, s[0:1]
	global_load_dwordx2 v[1:2], v[3:4], off
	v_add_co_u32 v3, vcc_lo, v3, v5
	v_add_co_ci_u32_e64 v4, null, 0, v4, vcc_lo
	global_load_ubyte v3, v[3:4], off offset:8
	v_add_nc_u32_e32 v4, 12, v5
	s_waitcnt vmcnt(1)
	v_lshrrev_b32_e32 v6, v5, v2
	v_lshrrev_b32_e32 v2, v4, v2
	v_lshlrev_b32_e32 v4, 4, v6
	s_waitcnt vmcnt(0)
	v_and_b32_e32 v6, 15, v3
	v_lshrrev_b16 v3, 4, v3
	v_and_or_b32 v4, v4, 16, v6
	v_and_or_b32 v2, v2, 16, v3
	v_lshrrev_b32_e32 v6, 16, v1
	v_cvt_f32_ubyte0_e32 v3, v4
	v_cvt_f32_ubyte0_e32 v2, v2
	v_mov_b32_e32 v4, 0x10001
	v_cvt_f16_f32_e32 v3, v3
	v_cvt_f16_f32_e32 v2, v2
	v_mul_u32_u24_sdwa v4, v1, v4 dst_sel:DWORD dst_unused:UNUSED_PAD src0_sel:WORD_0 src1_sel:DWORD
	v_and_or_b32 v1, 0xffff0000, v1, v6
	v_pack_b32_f16 v2, v3, v2
	v_pk_fma_f16 v2, v2, v4, v1
	v_ashrrev_i32_e32 v1, 31, v0
	v_cvt_f32_f16_e32 v3, v2
	v_cvt_f32_f16_sdwa v5, v2 dst_sel:DWORD dst_unused:UNUSED_PAD src0_sel:WORD_1
	v_lshlrev_b64 v[0:1], 1, v[0:1]
	v_cmp_o_f16_sdwa vcc_lo, v2, v2 src0_sel:WORD_1 src1_sel:WORD_1
	v_bfe_u32 v4, v3, 16, 1
	v_bfe_u32 v6, v5, 16, 1
	v_add_co_u32 v0, s0, s2, v0
	v_add3_u32 v3, v3, v4, 0x7fff
	v_add_co_ci_u32_e64 v1, null, s3, v1, s0
	v_cmp_o_f16_e64 s0, v2, v2
	v_mov_b32_e32 v4, 0x7fc0
	v_lshrrev_b32_e32 v3, 16, v3
	v_add3_u32 v5, v5, v6, 0x7fff
	v_cndmask_b32_e64 v2, 0x7fc0, v3, s0
	v_cndmask_b32_sdwa v3, v4, v5, vcc_lo dst_sel:DWORD dst_unused:UNUSED_PAD src0_sel:DWORD src1_sel:WORD_1
	global_store_short v[0:1], v2, off
	global_store_short v[0:1], v3, off offset:32
.LBB41_2:
	s_endpgm
	.section	.rodata,"a",@progbits
	.p2align	6, 0x0
	.amdhsa_kernel _ZL16dequantize_blockILi32ELi2EXadL_ZL15dequantize_q5_1PKviiR7__half2EEN3c108BFloat16EEvS1_PT2_l
		.amdhsa_group_segment_fixed_size 0
		.amdhsa_private_segment_fixed_size 0
		.amdhsa_kernarg_size 280
		.amdhsa_user_sgpr_count 6
		.amdhsa_user_sgpr_private_segment_buffer 1
		.amdhsa_user_sgpr_dispatch_ptr 0
		.amdhsa_user_sgpr_queue_ptr 0
		.amdhsa_user_sgpr_kernarg_segment_ptr 1
		.amdhsa_user_sgpr_dispatch_id 0
		.amdhsa_user_sgpr_flat_scratch_init 0
		.amdhsa_user_sgpr_private_segment_size 0
		.amdhsa_wavefront_size32 1
		.amdhsa_uses_dynamic_stack 0
		.amdhsa_system_sgpr_private_segment_wavefront_offset 0
		.amdhsa_system_sgpr_workgroup_id_x 1
		.amdhsa_system_sgpr_workgroup_id_y 0
		.amdhsa_system_sgpr_workgroup_id_z 0
		.amdhsa_system_sgpr_workgroup_info 0
		.amdhsa_system_vgpr_workitem_id 0
		.amdhsa_next_free_vgpr 7
		.amdhsa_next_free_sgpr 7
		.amdhsa_reserve_vcc 1
		.amdhsa_reserve_flat_scratch 0
		.amdhsa_float_round_mode_32 0
		.amdhsa_float_round_mode_16_64 0
		.amdhsa_float_denorm_mode_32 3
		.amdhsa_float_denorm_mode_16_64 3
		.amdhsa_dx10_clamp 1
		.amdhsa_ieee_mode 1
		.amdhsa_fp16_overflow 0
		.amdhsa_workgroup_processor_mode 1
		.amdhsa_memory_ordered 1
		.amdhsa_forward_progress 1
		.amdhsa_shared_vgpr_count 0
		.amdhsa_exception_fp_ieee_invalid_op 0
		.amdhsa_exception_fp_denorm_src 0
		.amdhsa_exception_fp_ieee_div_zero 0
		.amdhsa_exception_fp_ieee_overflow 0
		.amdhsa_exception_fp_ieee_underflow 0
		.amdhsa_exception_fp_ieee_inexact 0
		.amdhsa_exception_int_div_zero 0
	.end_amdhsa_kernel
	.section	.text._ZL16dequantize_blockILi32ELi2EXadL_ZL15dequantize_q5_1PKviiR7__half2EEN3c108BFloat16EEvS1_PT2_l,"axG",@progbits,_ZL16dequantize_blockILi32ELi2EXadL_ZL15dequantize_q5_1PKviiR7__half2EEN3c108BFloat16EEvS1_PT2_l,comdat
.Lfunc_end41:
	.size	_ZL16dequantize_blockILi32ELi2EXadL_ZL15dequantize_q5_1PKviiR7__half2EEN3c108BFloat16EEvS1_PT2_l, .Lfunc_end41-_ZL16dequantize_blockILi32ELi2EXadL_ZL15dequantize_q5_1PKviiR7__half2EEN3c108BFloat16EEvS1_PT2_l
                                        ; -- End function
	.set _ZL16dequantize_blockILi32ELi2EXadL_ZL15dequantize_q5_1PKviiR7__half2EEN3c108BFloat16EEvS1_PT2_l.num_vgpr, 7
	.set _ZL16dequantize_blockILi32ELi2EXadL_ZL15dequantize_q5_1PKviiR7__half2EEN3c108BFloat16EEvS1_PT2_l.num_agpr, 0
	.set _ZL16dequantize_blockILi32ELi2EXadL_ZL15dequantize_q5_1PKviiR7__half2EEN3c108BFloat16EEvS1_PT2_l.numbered_sgpr, 7
	.set _ZL16dequantize_blockILi32ELi2EXadL_ZL15dequantize_q5_1PKviiR7__half2EEN3c108BFloat16EEvS1_PT2_l.num_named_barrier, 0
	.set _ZL16dequantize_blockILi32ELi2EXadL_ZL15dequantize_q5_1PKviiR7__half2EEN3c108BFloat16EEvS1_PT2_l.private_seg_size, 0
	.set _ZL16dequantize_blockILi32ELi2EXadL_ZL15dequantize_q5_1PKviiR7__half2EEN3c108BFloat16EEvS1_PT2_l.uses_vcc, 1
	.set _ZL16dequantize_blockILi32ELi2EXadL_ZL15dequantize_q5_1PKviiR7__half2EEN3c108BFloat16EEvS1_PT2_l.uses_flat_scratch, 0
	.set _ZL16dequantize_blockILi32ELi2EXadL_ZL15dequantize_q5_1PKviiR7__half2EEN3c108BFloat16EEvS1_PT2_l.has_dyn_sized_stack, 0
	.set _ZL16dequantize_blockILi32ELi2EXadL_ZL15dequantize_q5_1PKviiR7__half2EEN3c108BFloat16EEvS1_PT2_l.has_recursion, 0
	.set _ZL16dequantize_blockILi32ELi2EXadL_ZL15dequantize_q5_1PKviiR7__half2EEN3c108BFloat16EEvS1_PT2_l.has_indirect_call, 0
	.section	.AMDGPU.csdata,"",@progbits
; Kernel info:
; codeLenInByte = 404
; TotalNumSgprs: 9
; NumVgprs: 7
; ScratchSize: 0
; MemoryBound: 0
; FloatMode: 240
; IeeeMode: 1
; LDSByteSize: 0 bytes/workgroup (compile time only)
; SGPRBlocks: 0
; VGPRBlocks: 0
; NumSGPRsForWavesPerEU: 9
; NumVGPRsForWavesPerEU: 7
; Occupancy: 16
; WaveLimiterHint : 0
; COMPUTE_PGM_RSRC2:SCRATCH_EN: 0
; COMPUTE_PGM_RSRC2:USER_SGPR: 6
; COMPUTE_PGM_RSRC2:TRAP_HANDLER: 0
; COMPUTE_PGM_RSRC2:TGID_X_EN: 1
; COMPUTE_PGM_RSRC2:TGID_Y_EN: 0
; COMPUTE_PGM_RSRC2:TGID_Z_EN: 0
; COMPUTE_PGM_RSRC2:TIDIG_COMP_CNT: 0
	.section	.text._ZL16dequantize_blockILi32ELi1EXadL_ZL15dequantize_q8_0PKviiR7__half2EEN3c108BFloat16EEvS1_PT2_l,"axG",@progbits,_ZL16dequantize_blockILi32ELi1EXadL_ZL15dequantize_q8_0PKviiR7__half2EEN3c108BFloat16EEvS1_PT2_l,comdat
	.globl	_ZL16dequantize_blockILi32ELi1EXadL_ZL15dequantize_q8_0PKviiR7__half2EEN3c108BFloat16EEvS1_PT2_l ; -- Begin function _ZL16dequantize_blockILi32ELi1EXadL_ZL15dequantize_q8_0PKviiR7__half2EEN3c108BFloat16EEvS1_PT2_l
	.p2align	8
	.type	_ZL16dequantize_blockILi32ELi1EXadL_ZL15dequantize_q8_0PKviiR7__half2EEN3c108BFloat16EEvS1_PT2_l,@function
_ZL16dequantize_blockILi32ELi1EXadL_ZL15dequantize_q8_0PKviiR7__half2EEN3c108BFloat16EEvS1_PT2_l: ; @_ZL16dequantize_blockILi32ELi1EXadL_ZL15dequantize_q8_0PKviiR7__half2EEN3c108BFloat16EEvS1_PT2_l
; %bb.0:
	s_clause 0x1
	s_load_dword s2, s[4:5], 0x24
	s_load_dwordx2 s[0:1], s[4:5], 0x10
	v_mov_b32_e32 v1, 0
	s_waitcnt lgkmcnt(0)
	s_and_b32 s2, s2, 0xffff
	v_mad_u64_u32 v[2:3], null, s2, s6, v[0:1]
	v_lshlrev_b64 v[4:5], 1, v[2:3]
	v_cmp_gt_i64_e32 vcc_lo, s[0:1], v[4:5]
	s_and_saveexec_b32 s0, vcc_lo
	s_cbranch_execz .LBB42_2
; %bb.1:
	s_load_dwordx4 s[0:3], s[4:5], 0x0
	v_alignbit_b32 v0, v3, v2, 4
	v_lshlrev_b32_e32 v2, 1, v2
	v_mov_b32_e32 v7, 0x7fc0
	s_waitcnt lgkmcnt(0)
	v_mad_i64_i32 v[5:6], null, v0, 34, s[0:1]
	v_and_b32_e32 v0, 30, v4
	v_add_co_u32 v3, vcc_lo, v5, v0
	v_add_co_ci_u32_e64 v4, null, 0, v6, vcc_lo
	s_clause 0x1
	global_load_ushort v0, v[3:4], off offset:2
	global_load_ushort v3, v[5:6], off
	s_waitcnt vmcnt(1)
	v_ashrrev_i16 v4, 8, v0
	v_cvt_f16_i16_sdwa v0, sext(v0) dst_sel:DWORD dst_unused:UNUSED_PAD src0_sel:BYTE_0
	s_waitcnt vmcnt(0)
	v_lshl_or_b32 v3, v3, 16, v3
	v_cvt_f16_i16_e32 v4, v4
	v_pack_b32_f16 v0, v0, v4
	v_pk_mul_f16 v3, v0, v3
	v_mov_b32_e32 v0, 1
	v_cvt_f32_f16_e32 v4, v3
	v_cvt_f32_f16_sdwa v5, v3 dst_sel:DWORD dst_unused:UNUSED_PAD src0_sel:WORD_1
	v_cmp_o_f16_e32 vcc_lo, v3, v3
	v_cmp_o_f16_sdwa s0, v3, v3 src0_sel:WORD_1 src1_sel:WORD_1
	v_and_b32_sdwa v6, v4, v0 dst_sel:DWORD dst_unused:UNUSED_PAD src0_sel:WORD_1 src1_sel:DWORD
	v_and_b32_sdwa v8, v5, v0 dst_sel:DWORD dst_unused:UNUSED_PAD src0_sel:WORD_1 src1_sel:DWORD
	v_ashrrev_i64 v[0:1], 31, v[1:2]
	v_add3_u32 v2, v4, v6, 0x7fff
	v_add3_u32 v3, v5, v8, 0x7fff
	v_cndmask_b32_sdwa v2, v7, v2, vcc_lo dst_sel:DWORD dst_unused:UNUSED_PAD src0_sel:DWORD src1_sel:WORD_1
	s_mov_b32 vcc_lo, s0
	v_cndmask_b32_sdwa v3, v7, v3, vcc_lo dst_sel:DWORD dst_unused:UNUSED_PAD src0_sel:DWORD src1_sel:WORD_1
	v_add_co_u32 v0, vcc_lo, s2, v0
	v_add_co_ci_u32_e64 v1, null, s3, v1, vcc_lo
	v_perm_b32 v2, v3, v2, 0x5040100
	global_store_dword v[0:1], v2, off
.LBB42_2:
	s_endpgm
	.section	.rodata,"a",@progbits
	.p2align	6, 0x0
	.amdhsa_kernel _ZL16dequantize_blockILi32ELi1EXadL_ZL15dequantize_q8_0PKviiR7__half2EEN3c108BFloat16EEvS1_PT2_l
		.amdhsa_group_segment_fixed_size 0
		.amdhsa_private_segment_fixed_size 0
		.amdhsa_kernarg_size 280
		.amdhsa_user_sgpr_count 6
		.amdhsa_user_sgpr_private_segment_buffer 1
		.amdhsa_user_sgpr_dispatch_ptr 0
		.amdhsa_user_sgpr_queue_ptr 0
		.amdhsa_user_sgpr_kernarg_segment_ptr 1
		.amdhsa_user_sgpr_dispatch_id 0
		.amdhsa_user_sgpr_flat_scratch_init 0
		.amdhsa_user_sgpr_private_segment_size 0
		.amdhsa_wavefront_size32 1
		.amdhsa_uses_dynamic_stack 0
		.amdhsa_system_sgpr_private_segment_wavefront_offset 0
		.amdhsa_system_sgpr_workgroup_id_x 1
		.amdhsa_system_sgpr_workgroup_id_y 0
		.amdhsa_system_sgpr_workgroup_id_z 0
		.amdhsa_system_sgpr_workgroup_info 0
		.amdhsa_system_vgpr_workitem_id 0
		.amdhsa_next_free_vgpr 9
		.amdhsa_next_free_sgpr 7
		.amdhsa_reserve_vcc 1
		.amdhsa_reserve_flat_scratch 0
		.amdhsa_float_round_mode_32 0
		.amdhsa_float_round_mode_16_64 0
		.amdhsa_float_denorm_mode_32 3
		.amdhsa_float_denorm_mode_16_64 3
		.amdhsa_dx10_clamp 1
		.amdhsa_ieee_mode 1
		.amdhsa_fp16_overflow 0
		.amdhsa_workgroup_processor_mode 1
		.amdhsa_memory_ordered 1
		.amdhsa_forward_progress 1
		.amdhsa_shared_vgpr_count 0
		.amdhsa_exception_fp_ieee_invalid_op 0
		.amdhsa_exception_fp_denorm_src 0
		.amdhsa_exception_fp_ieee_div_zero 0
		.amdhsa_exception_fp_ieee_overflow 0
		.amdhsa_exception_fp_ieee_underflow 0
		.amdhsa_exception_fp_ieee_inexact 0
		.amdhsa_exception_int_div_zero 0
	.end_amdhsa_kernel
	.section	.text._ZL16dequantize_blockILi32ELi1EXadL_ZL15dequantize_q8_0PKviiR7__half2EEN3c108BFloat16EEvS1_PT2_l,"axG",@progbits,_ZL16dequantize_blockILi32ELi1EXadL_ZL15dequantize_q8_0PKviiR7__half2EEN3c108BFloat16EEvS1_PT2_l,comdat
.Lfunc_end42:
	.size	_ZL16dequantize_blockILi32ELi1EXadL_ZL15dequantize_q8_0PKviiR7__half2EEN3c108BFloat16EEvS1_PT2_l, .Lfunc_end42-_ZL16dequantize_blockILi32ELi1EXadL_ZL15dequantize_q8_0PKviiR7__half2EEN3c108BFloat16EEvS1_PT2_l
                                        ; -- End function
	.set _ZL16dequantize_blockILi32ELi1EXadL_ZL15dequantize_q8_0PKviiR7__half2EEN3c108BFloat16EEvS1_PT2_l.num_vgpr, 9
	.set _ZL16dequantize_blockILi32ELi1EXadL_ZL15dequantize_q8_0PKviiR7__half2EEN3c108BFloat16EEvS1_PT2_l.num_agpr, 0
	.set _ZL16dequantize_blockILi32ELi1EXadL_ZL15dequantize_q8_0PKviiR7__half2EEN3c108BFloat16EEvS1_PT2_l.numbered_sgpr, 7
	.set _ZL16dequantize_blockILi32ELi1EXadL_ZL15dequantize_q8_0PKviiR7__half2EEN3c108BFloat16EEvS1_PT2_l.num_named_barrier, 0
	.set _ZL16dequantize_blockILi32ELi1EXadL_ZL15dequantize_q8_0PKviiR7__half2EEN3c108BFloat16EEvS1_PT2_l.private_seg_size, 0
	.set _ZL16dequantize_blockILi32ELi1EXadL_ZL15dequantize_q8_0PKviiR7__half2EEN3c108BFloat16EEvS1_PT2_l.uses_vcc, 1
	.set _ZL16dequantize_blockILi32ELi1EXadL_ZL15dequantize_q8_0PKviiR7__half2EEN3c108BFloat16EEvS1_PT2_l.uses_flat_scratch, 0
	.set _ZL16dequantize_blockILi32ELi1EXadL_ZL15dequantize_q8_0PKviiR7__half2EEN3c108BFloat16EEvS1_PT2_l.has_dyn_sized_stack, 0
	.set _ZL16dequantize_blockILi32ELi1EXadL_ZL15dequantize_q8_0PKviiR7__half2EEN3c108BFloat16EEvS1_PT2_l.has_recursion, 0
	.set _ZL16dequantize_blockILi32ELi1EXadL_ZL15dequantize_q8_0PKviiR7__half2EEN3c108BFloat16EEvS1_PT2_l.has_indirect_call, 0
	.section	.AMDGPU.csdata,"",@progbits
; Kernel info:
; codeLenInByte = 332
; TotalNumSgprs: 9
; NumVgprs: 9
; ScratchSize: 0
; MemoryBound: 0
; FloatMode: 240
; IeeeMode: 1
; LDSByteSize: 0 bytes/workgroup (compile time only)
; SGPRBlocks: 0
; VGPRBlocks: 1
; NumSGPRsForWavesPerEU: 9
; NumVGPRsForWavesPerEU: 9
; Occupancy: 16
; WaveLimiterHint : 0
; COMPUTE_PGM_RSRC2:SCRATCH_EN: 0
; COMPUTE_PGM_RSRC2:USER_SGPR: 6
; COMPUTE_PGM_RSRC2:TRAP_HANDLER: 0
; COMPUTE_PGM_RSRC2:TGID_X_EN: 1
; COMPUTE_PGM_RSRC2:TGID_Y_EN: 0
; COMPUTE_PGM_RSRC2:TGID_Z_EN: 0
; COMPUTE_PGM_RSRC2:TIDIG_COMP_CNT: 0
	.section	.text._ZL21dequantize_block_q2_KIN3c108BFloat16EEvPKvPT_,"axG",@progbits,_ZL21dequantize_block_q2_KIN3c108BFloat16EEvPKvPT_,comdat
	.globl	_ZL21dequantize_block_q2_KIN3c108BFloat16EEvPKvPT_ ; -- Begin function _ZL21dequantize_block_q2_KIN3c108BFloat16EEvPKvPT_
	.p2align	8
	.type	_ZL21dequantize_block_q2_KIN3c108BFloat16EEvPKvPT_,@function
_ZL21dequantize_block_q2_KIN3c108BFloat16EEvPKvPT_: ; @_ZL21dequantize_block_q2_KIN3c108BFloat16EEvPKvPT_
; %bb.0:
	s_load_dwordx4 s[0:3], s[4:5], 0x0
	v_lshrrev_b32_e32 v1, 5, v0
	v_bfe_u32 v2, v0, 4, 1
	s_mul_i32 s4, s6, 0x54
	s_mul_hi_u32 s5, s6, 0x54
	v_mov_b32_e32 v7, 0x7fc0
	v_lshl_or_b32 v2, v1, 3, v2
	v_lshlrev_b32_e32 v1, 8, v1
	s_waitcnt lgkmcnt(0)
	s_add_u32 s0, s0, s4
	s_addc_u32 s1, s1, s5
	s_clause 0x4
	global_load_ubyte v3, v2, s[0:1]
	global_load_ubyte v4, v0, s[0:1] offset:16
	global_load_ubyte v5, v2, s[0:1] offset:2
	global_load_ubyte v6, v2, s[0:1] offset:4
	global_load_ubyte v2, v2, s[0:1] offset:6
	s_load_dword s4, s[0:1], 0x50
	s_mov_b32 s1, 0
	s_lshl_b32 s0, s6, 8
	v_and_b32_e32 v0, 31, v0
	s_lshl_b64 s[0:1], s[0:1], 1
	s_add_u32 s0, s2, s0
	s_addc_u32 s1, s3, s1
	v_lshlrev_b32_e32 v0, 1, v0
	v_add_co_u32 v1, s0, s0, v1
	v_add_co_u32 v0, vcc_lo, v1, v0
	s_waitcnt lgkmcnt(0)
	s_lshr_b32 s2, s4, 16
	s_waitcnt vmcnt(4)
	v_and_b32_e32 v8, 15, v3
	s_waitcnt vmcnt(3)
	v_and_b32_e32 v9, 3, v4
	v_lshrrev_b16 v3, 4, v3
	s_waitcnt vmcnt(2)
	v_and_b32_e32 v10, 15, v5
	v_bfe_u32 v11, v4, 2, 2
	v_bfe_u32 v13, v4, 4, 2
	s_waitcnt vmcnt(0)
	v_and_b32_e32 v14, 15, v2
	v_lshrrev_b32_e32 v4, 6, v4
	v_mul_u32_u24_sdwa v8, v9, v8 dst_sel:DWORD dst_unused:UNUSED_PAD src0_sel:DWORD src1_sel:WORD_0
	v_lshrrev_b16 v5, 4, v5
	v_and_b32_e32 v12, 15, v6
	v_lshrrev_b16 v2, 4, v2
	v_cvt_f16_u16_e32 v3, v3
	v_mul_u32_u24_sdwa v9, v11, v10 dst_sel:DWORD dst_unused:UNUSED_PAD src0_sel:DWORD src1_sel:WORD_0
	v_mul_u32_u24_sdwa v4, v4, v14 dst_sel:DWORD dst_unused:UNUSED_PAD src0_sel:DWORD src1_sel:WORD_0
	v_cvt_f32_ubyte0_e32 v8, v8
	v_lshrrev_b16 v6, 4, v6
	v_cvt_f16_u16_e32 v5, v5
	v_mul_u32_u24_sdwa v10, v13, v12 dst_sel:DWORD dst_unused:UNUSED_PAD src0_sel:DWORD src1_sel:WORD_0
	v_cvt_f16_u16_e32 v2, v2
	v_mul_f16_e32 v3, s2, v3
	v_cvt_f32_ubyte0_e32 v9, v9
	v_cvt_f32_ubyte0_e32 v4, v4
	v_cvt_f16_f32_e32 v8, v8
	v_cvt_f16_u16_e32 v6, v6
	v_mul_f16_e32 v5, s2, v5
	v_cvt_f32_ubyte0_e32 v10, v10
	v_cvt_f16_f32_e32 v9, v9
	v_mul_f16_e32 v2, s2, v2
	v_cvt_f16_f32_e32 v4, v4
	v_fma_f16 v3, s4, v8, -v3
	v_mul_f16_e32 v6, s2, v6
	v_cvt_f16_f32_e32 v10, v10
	v_fma_f16 v5, s4, v9, -v5
	v_fma_f16 v2, s4, v4, -v2
	v_cvt_f32_f16_e32 v4, v3
	v_fma_f16 v6, s4, v10, -v6
	v_cvt_f32_f16_e32 v8, v5
	v_add_co_ci_u32_e64 v10, null, s1, 0, s0
	v_bfe_u32 v12, v4, 16, 1
	v_cvt_f32_f16_e32 v9, v6
	v_bfe_u32 v13, v8, 16, 1
	v_cvt_f32_f16_e32 v11, v2
	v_add_co_ci_u32_e64 v1, null, 0, v10, vcc_lo
	v_add3_u32 v4, v4, v12, 0x7fff
	v_bfe_u32 v14, v9, 16, 1
	v_add3_u32 v8, v8, v13, 0x7fff
	v_cmp_o_f16_e32 vcc_lo, v2, v2
	v_cmp_o_f16_e64 s0, v3, v3
	v_lshrrev_b32_e32 v2, 16, v4
	v_add3_u32 v9, v9, v14, 0x7fff
	v_lshrrev_b32_e32 v8, 16, v8
	v_bfe_u32 v10, v11, 16, 1
	v_cndmask_b32_e64 v2, 0x7fc0, v2, s0
	v_cmp_o_f16_e64 s0, v5, v5
	v_lshrrev_b32_e32 v9, 16, v9
	v_add3_u32 v4, v11, v10, 0x7fff
	v_cndmask_b32_e64 v3, 0x7fc0, v8, s0
	v_cmp_o_f16_e64 s0, v6, v6
	v_cndmask_b32_sdwa v4, v7, v4, vcc_lo dst_sel:DWORD dst_unused:UNUSED_PAD src0_sel:DWORD src1_sel:WORD_1
	v_cndmask_b32_e64 v5, 0x7fc0, v9, s0
	global_store_short v[0:1], v2, off
	global_store_short v[0:1], v3, off offset:64
	global_store_short v[0:1], v5, off offset:128
	;; [unrolled: 1-line block ×3, first 2 shown]
	s_endpgm
	.section	.rodata,"a",@progbits
	.p2align	6, 0x0
	.amdhsa_kernel _ZL21dequantize_block_q2_KIN3c108BFloat16EEvPKvPT_
		.amdhsa_group_segment_fixed_size 0
		.amdhsa_private_segment_fixed_size 0
		.amdhsa_kernarg_size 16
		.amdhsa_user_sgpr_count 6
		.amdhsa_user_sgpr_private_segment_buffer 1
		.amdhsa_user_sgpr_dispatch_ptr 0
		.amdhsa_user_sgpr_queue_ptr 0
		.amdhsa_user_sgpr_kernarg_segment_ptr 1
		.amdhsa_user_sgpr_dispatch_id 0
		.amdhsa_user_sgpr_flat_scratch_init 0
		.amdhsa_user_sgpr_private_segment_size 0
		.amdhsa_wavefront_size32 1
		.amdhsa_uses_dynamic_stack 0
		.amdhsa_system_sgpr_private_segment_wavefront_offset 0
		.amdhsa_system_sgpr_workgroup_id_x 1
		.amdhsa_system_sgpr_workgroup_id_y 0
		.amdhsa_system_sgpr_workgroup_id_z 0
		.amdhsa_system_sgpr_workgroup_info 0
		.amdhsa_system_vgpr_workitem_id 0
		.amdhsa_next_free_vgpr 15
		.amdhsa_next_free_sgpr 7
		.amdhsa_reserve_vcc 1
		.amdhsa_reserve_flat_scratch 0
		.amdhsa_float_round_mode_32 0
		.amdhsa_float_round_mode_16_64 0
		.amdhsa_float_denorm_mode_32 3
		.amdhsa_float_denorm_mode_16_64 3
		.amdhsa_dx10_clamp 1
		.amdhsa_ieee_mode 1
		.amdhsa_fp16_overflow 0
		.amdhsa_workgroup_processor_mode 1
		.amdhsa_memory_ordered 1
		.amdhsa_forward_progress 1
		.amdhsa_shared_vgpr_count 0
		.amdhsa_exception_fp_ieee_invalid_op 0
		.amdhsa_exception_fp_denorm_src 0
		.amdhsa_exception_fp_ieee_div_zero 0
		.amdhsa_exception_fp_ieee_overflow 0
		.amdhsa_exception_fp_ieee_underflow 0
		.amdhsa_exception_fp_ieee_inexact 0
		.amdhsa_exception_int_div_zero 0
	.end_amdhsa_kernel
	.section	.text._ZL21dequantize_block_q2_KIN3c108BFloat16EEvPKvPT_,"axG",@progbits,_ZL21dequantize_block_q2_KIN3c108BFloat16EEvPKvPT_,comdat
.Lfunc_end43:
	.size	_ZL21dequantize_block_q2_KIN3c108BFloat16EEvPKvPT_, .Lfunc_end43-_ZL21dequantize_block_q2_KIN3c108BFloat16EEvPKvPT_
                                        ; -- End function
	.set _ZL21dequantize_block_q2_KIN3c108BFloat16EEvPKvPT_.num_vgpr, 15
	.set _ZL21dequantize_block_q2_KIN3c108BFloat16EEvPKvPT_.num_agpr, 0
	.set _ZL21dequantize_block_q2_KIN3c108BFloat16EEvPKvPT_.numbered_sgpr, 7
	.set _ZL21dequantize_block_q2_KIN3c108BFloat16EEvPKvPT_.num_named_barrier, 0
	.set _ZL21dequantize_block_q2_KIN3c108BFloat16EEvPKvPT_.private_seg_size, 0
	.set _ZL21dequantize_block_q2_KIN3c108BFloat16EEvPKvPT_.uses_vcc, 1
	.set _ZL21dequantize_block_q2_KIN3c108BFloat16EEvPKvPT_.uses_flat_scratch, 0
	.set _ZL21dequantize_block_q2_KIN3c108BFloat16EEvPKvPT_.has_dyn_sized_stack, 0
	.set _ZL21dequantize_block_q2_KIN3c108BFloat16EEvPKvPT_.has_recursion, 0
	.set _ZL21dequantize_block_q2_KIN3c108BFloat16EEvPKvPT_.has_indirect_call, 0
	.section	.AMDGPU.csdata,"",@progbits
; Kernel info:
; codeLenInByte = 620
; TotalNumSgprs: 9
; NumVgprs: 15
; ScratchSize: 0
; MemoryBound: 0
; FloatMode: 240
; IeeeMode: 1
; LDSByteSize: 0 bytes/workgroup (compile time only)
; SGPRBlocks: 0
; VGPRBlocks: 1
; NumSGPRsForWavesPerEU: 9
; NumVGPRsForWavesPerEU: 15
; Occupancy: 16
; WaveLimiterHint : 0
; COMPUTE_PGM_RSRC2:SCRATCH_EN: 0
; COMPUTE_PGM_RSRC2:USER_SGPR: 6
; COMPUTE_PGM_RSRC2:TRAP_HANDLER: 0
; COMPUTE_PGM_RSRC2:TGID_X_EN: 1
; COMPUTE_PGM_RSRC2:TGID_Y_EN: 0
; COMPUTE_PGM_RSRC2:TGID_Z_EN: 0
; COMPUTE_PGM_RSRC2:TIDIG_COMP_CNT: 0
	.section	.text._ZL21dequantize_block_q3_KIN3c108BFloat16EEvPKvPT_,"axG",@progbits,_ZL21dequantize_block_q3_KIN3c108BFloat16EEvPKvPT_,comdat
	.globl	_ZL21dequantize_block_q3_KIN3c108BFloat16EEvPKvPT_ ; -- Begin function _ZL21dequantize_block_q3_KIN3c108BFloat16EEvPKvPT_
	.p2align	8
	.type	_ZL21dequantize_block_q3_KIN3c108BFloat16EEvPKvPT_,@function
_ZL21dequantize_block_q3_KIN3c108BFloat16EEvPKvPT_: ; @_ZL21dequantize_block_q3_KIN3c108BFloat16EEvPKvPT_
; %bb.0:
	v_lshrrev_b32_e32 v4, 5, v0
	v_lshrrev_b32_e32 v6, 3, v0
	s_load_dwordx4 s[0:3], s[4:5], 0x0
	v_bfe_u32 v7, v0, 2, 1
	s_mov_b32 s7, 0
	v_lshlrev_b32_e32 v1, 2, v4
	s_mov_b32 s4, exec_lo
                                        ; implicit-def: $vgpr9
                                        ; implicit-def: $vgpr8
	v_sub_nc_u32_e32 v5, v6, v1
	v_mov_b32_e32 v1, s6
	v_mov_b32_e32 v2, s7
	v_lshlrev_b32_e32 v3, 1, v5
	v_lshl_add_u32 v11, v4, 3, v3
	v_or_b32_e32 v10, v11, v7
	v_cmpx_lt_i32_e32 3, v10
	s_xor_b32 s4, exec_lo, s4
	s_cbranch_execz .LBB44_10
; %bb.1:
	v_mov_b32_e32 v1, s6
	s_mov_b32 s5, exec_lo
	v_mov_b32_e32 v2, s7
                                        ; implicit-def: $vgpr9
                                        ; implicit-def: $vgpr8
	v_cmpx_lt_u32_e32 7, v11
	s_xor_b32 s5, exec_lo, s5
	s_cbranch_execz .LBB44_7
; %bb.2:
	s_mul_i32 s7, s6, 0x6e
	s_mul_hi_u32 s9, s6, 0x6e
	s_waitcnt lgkmcnt(0)
	s_add_u32 s8, s0, s7
	s_addc_u32 s9, s1, s9
	v_add_co_u32 v1, s7, s8, v10
	global_load_ubyte v9, v10, s[8:9] offset:88
	v_add_co_ci_u32_e64 v2, null, s9, 0, s7
	s_mov_b32 s7, 0
	s_mov_b32 s8, exec_lo
                                        ; implicit-def: $vgpr8
	v_cmpx_lt_u32_e32 11, v11
	s_xor_b32 s8, exec_lo, s8
	s_cbranch_execz .LBB44_4
; %bb.3:
	global_load_ubyte v1, v[1:2], off offset:92
	s_waitcnt vmcnt(0)
	v_lshrrev_b16 v8, 2, v1
                                        ; implicit-def: $vgpr1_vgpr2
.LBB44_4:
	s_andn2_saveexec_b32 s8, s8
	s_cbranch_execz .LBB44_6
; %bb.5:
	global_load_ubyte v8, v[1:2], off offset:96
.LBB44_6:
	s_or_b32 exec_lo, exec_lo, s8
	v_mov_b32_e32 v1, s6
	s_waitcnt vmcnt(0)
	v_lshrrev_b16 v9, 4, v9
	v_mov_b32_e32 v2, s7
                                        ; implicit-def: $vgpr10
.LBB44_7:
	s_andn2_saveexec_b32 s5, s5
	s_cbranch_execz .LBB44_9
; %bb.8:
	s_mul_i32 s7, s6, 0x6e
	s_mul_hi_u32 s9, s6, 0x6e
	s_waitcnt lgkmcnt(0)
	s_add_u32 s8, s0, s7
	s_addc_u32 s9, s1, s9
	s_clause 0x1
	global_load_ubyte v2, v10, s[8:9] offset:96
	global_load_ubyte v8, v10, s[8:9] offset:100
	s_waitcnt vmcnt(1)
	v_and_b32_e32 v9, 15, v2
	s_waitcnt vmcnt(0)
	v_lshlrev_b16 v8, 2, v8
.LBB44_9:
	s_or_b32 exec_lo, exec_lo, s5
                                        ; implicit-def: $vgpr10
.LBB44_10:
	s_andn2_saveexec_b32 s4, s4
	s_cbranch_execz .LBB44_12
; %bb.11:
	s_mul_i32 s5, s6, 0x6e
	v_ashrrev_i32_e32 v2, 31, v10
	s_mul_hi_u32 s7, s6, 0x6e
	s_waitcnt lgkmcnt(0)
	s_add_u32 s5, s0, s5
	s_addc_u32 s7, s1, s7
	v_add_co_u32 v8, vcc_lo, s5, v10
	v_add_co_ci_u32_e64 v9, null, s7, v2, vcc_lo
	s_clause 0x1
	global_load_ubyte v2, v[8:9], off offset:96
	global_load_ubyte v8, v[8:9], off offset:104
	s_waitcnt vmcnt(1)
	v_and_b32_e32 v9, 15, v2
	s_waitcnt vmcnt(0)
	v_lshlrev_b16 v8, 4, v8
.LBB44_12:
	s_or_b32 exec_lo, exec_lo, s4
	v_lshlrev_b32_e32 v10, 2, v0
	s_waitcnt lgkmcnt(0)
	v_mad_u64_u32 v[1:2], null, 0x6e, v1, s[0:1]
	v_and_b32_e32 v0, 0x3e0, v0
	s_lshl_b32 s0, s6, 8
	v_and_b32_e32 v10, 12, v10
	s_mov_b32 s1, 0
	v_lshlrev_b32_e32 v4, 8, v4
	s_lshl_b64 s[0:1], s[0:1], 1
	v_add_co_u32 v0, vcc_lo, v1, v0
	v_lshl_or_b32 v7, v7, 4, v10
	v_add_co_ci_u32_e64 v11, null, 0, v2, vcc_lo
	s_add_u32 s0, s2, s0
	s_addc_u32 s1, s3, s1
	v_add_co_u32 v10, vcc_lo, v0, v7
	v_add_co_ci_u32_e64 v11, null, 0, v11, vcc_lo
	v_add_co_u32 v12, vcc_lo, v1, v7
	v_add_co_ci_u32_e64 v13, null, 0, v2, vcc_lo
	s_clause 0x2
	global_load_dword v10, v[10:11], off offset:32
	global_load_dword v11, v[12:13], off
	global_load_ushort v1, v[1:2], off offset:108
	v_lshlrev_b32_e64 v2, v6, 1
	v_and_b32_e32 v0, 48, v8
	v_mov_b32_e32 v6, 32
	v_add_co_u32 v4, s0, s0, v4
	v_lshlrev_b32_e32 v7, 1, v7
	v_or_b32_e32 v8, v0, v9
	v_lshlrev_b32_e32 v0, 5, v5
	v_mov_b32_e32 v5, 1
	v_mov_b32_e32 v9, 0x7fc0
	v_sub_nc_u32_sdwa v6, v8, v6 dst_sel:DWORD dst_unused:UNUSED_PAD src0_sel:BYTE_0 src1_sel:DWORD
	v_cvt_f32_i32_e32 v6, v6
	v_cvt_f16_f32_e32 v6, v6
	s_waitcnt vmcnt(2)
	v_lshrrev_b32_sdwa v12, v3, v10 dst_sel:DWORD dst_unused:UNUSED_PAD src0_sel:DWORD src1_sel:BYTE_0
	s_waitcnt vmcnt(1)
	v_and_b32_sdwa v13, v2, v11 dst_sel:DWORD dst_unused:UNUSED_PAD src0_sel:DWORD src1_sel:BYTE_1
	v_and_b32_sdwa v14, v2, v11 dst_sel:DWORD dst_unused:UNUSED_PAD src0_sel:DWORD src1_sel:BYTE_0
	v_lshrrev_b32_sdwa v8, v3, v10 dst_sel:DWORD dst_unused:UNUSED_PAD src0_sel:DWORD src1_sel:BYTE_1
	v_lshrrev_b32_sdwa v15, v3, v10 dst_sel:DWORD dst_unused:UNUSED_PAD src0_sel:DWORD src1_sel:BYTE_3
	v_lshrrev_b32_sdwa v3, v3, v10 dst_sel:DWORD dst_unused:UNUSED_PAD src0_sel:DWORD src1_sel:BYTE_2
	v_cmp_eq_u32_e32 vcc_lo, 0, v13
	v_and_b32_sdwa v10, v2, v11 dst_sel:DWORD dst_unused:UNUSED_PAD src0_sel:DWORD src1_sel:BYTE_3
	v_and_b32_sdwa v2, v2, v11 dst_sel:DWORD dst_unused:UNUSED_PAD src0_sel:DWORD src1_sel:BYTE_2
	v_and_b32_e32 v11, 3, v12
	v_and_b32_e32 v8, 3, v8
	v_cndmask_b32_e64 v12, 0, -4, vcc_lo
	v_cmp_eq_u32_e32 vcc_lo, 0, v14
	v_and_b32_e32 v14, 3, v15
	v_and_b32_e32 v3, 3, v3
	s_waitcnt vmcnt(0)
	v_mul_f16_e32 v6, v1, v6
	v_or_b32_e32 v8, v12, v8
	v_cndmask_b32_e64 v13, 0, -4, vcc_lo
	v_cmp_eq_u32_e32 vcc_lo, 0, v10
	v_ashrrev_i32_e32 v1, 31, v0
	v_or_b32_e32 v11, v13, v11
	v_cndmask_b32_e64 v10, 0, -4, vcc_lo
	v_cmp_eq_u32_e32 vcc_lo, 0, v2
	v_lshlrev_b64 v[0:1], 1, v[0:1]
	v_or_b32_e32 v10, v10, v14
	v_cndmask_b32_e64 v2, 0, -4, vcc_lo
	v_add_co_u32 v0, vcc_lo, v4, v0
	v_cvt_f32_i32_e32 v10, v10
	v_or_b32_e32 v2, v2, v3
	v_cvt_f32_i32_e32 v3, v8
	v_cvt_f32_i32_e32 v8, v11
	v_cvt_f16_f32_e32 v10, v10
	v_cvt_f32_i32_e32 v2, v2
	v_cvt_f16_f32_e32 v3, v3
	v_cvt_f16_f32_e32 v8, v8
	;; [unrolled: 1-line block ×3, first 2 shown]
	v_pack_b32_f16 v3, v8, v3
	v_add_co_ci_u32_e64 v8, null, s1, 0, s0
	v_pack_b32_f16 v2, v2, v10
	v_pk_mul_f16 v3, v6, v3 op_sel_hi:[0,1]
	v_add_co_ci_u32_e64 v1, null, v8, v1, vcc_lo
	v_pk_mul_f16 v2, v6, v2 op_sel_hi:[0,1]
	v_cvt_f32_f16_sdwa v6, v3 dst_sel:DWORD dst_unused:UNUSED_PAD src0_sel:WORD_1
	v_cvt_f32_f16_e32 v10, v3
	v_cvt_f32_f16_sdwa v4, v2 dst_sel:DWORD dst_unused:UNUSED_PAD src0_sel:WORD_1
	v_cvt_f32_f16_e32 v8, v2
	v_and_b32_sdwa v12, v6, v5 dst_sel:DWORD dst_unused:UNUSED_PAD src0_sel:WORD_1 src1_sel:DWORD
	v_and_b32_sdwa v11, v10, v5 dst_sel:DWORD dst_unused:UNUSED_PAD src0_sel:WORD_1 src1_sel:DWORD
	v_cmp_o_f16_e32 vcc_lo, v2, v2
	v_and_b32_sdwa v13, v4, v5 dst_sel:DWORD dst_unused:UNUSED_PAD src0_sel:WORD_1 src1_sel:DWORD
	v_and_b32_sdwa v5, v8, v5 dst_sel:DWORD dst_unused:UNUSED_PAD src0_sel:WORD_1 src1_sel:DWORD
	v_cmp_o_f16_sdwa s0, v2, v2 src0_sel:WORD_1 src1_sel:WORD_1
	v_add3_u32 v10, v10, v11, 0x7fff
	v_add3_u32 v6, v6, v12, 0x7fff
	;; [unrolled: 1-line block ×4, first 2 shown]
	v_lshrrev_b32_e32 v5, 16, v10
	v_lshrrev_b32_e32 v6, 16, v6
	v_cndmask_b32_sdwa v4, v9, v4, vcc_lo dst_sel:DWORD dst_unused:UNUSED_PAD src0_sel:DWORD src1_sel:WORD_1
	s_mov_b32 vcc_lo, s0
	v_cndmask_b32_sdwa v2, v9, v2, vcc_lo dst_sel:DWORD dst_unused:UNUSED_PAD src0_sel:DWORD src1_sel:WORD_1
	v_cmp_o_f16_e32 vcc_lo, v3, v3
	v_cndmask_b32_e32 v5, 0x7fc0, v5, vcc_lo
	v_cmp_o_f16_sdwa vcc_lo, v3, v3 src0_sel:WORD_1 src1_sel:WORD_1
	v_perm_b32 v3, v2, v4, 0x5040100
	v_cndmask_b32_e32 v6, 0x7fc0, v6, vcc_lo
	v_add_co_u32 v0, vcc_lo, v0, v7
	v_add_co_ci_u32_e64 v1, null, 0, v1, vcc_lo
	v_perm_b32 v2, v6, v5, 0x5040100
	global_store_dwordx2 v[0:1], v[2:3], off
	s_endpgm
	.section	.rodata,"a",@progbits
	.p2align	6, 0x0
	.amdhsa_kernel _ZL21dequantize_block_q3_KIN3c108BFloat16EEvPKvPT_
		.amdhsa_group_segment_fixed_size 0
		.amdhsa_private_segment_fixed_size 0
		.amdhsa_kernarg_size 16
		.amdhsa_user_sgpr_count 6
		.amdhsa_user_sgpr_private_segment_buffer 1
		.amdhsa_user_sgpr_dispatch_ptr 0
		.amdhsa_user_sgpr_queue_ptr 0
		.amdhsa_user_sgpr_kernarg_segment_ptr 1
		.amdhsa_user_sgpr_dispatch_id 0
		.amdhsa_user_sgpr_flat_scratch_init 0
		.amdhsa_user_sgpr_private_segment_size 0
		.amdhsa_wavefront_size32 1
		.amdhsa_uses_dynamic_stack 0
		.amdhsa_system_sgpr_private_segment_wavefront_offset 0
		.amdhsa_system_sgpr_workgroup_id_x 1
		.amdhsa_system_sgpr_workgroup_id_y 0
		.amdhsa_system_sgpr_workgroup_id_z 0
		.amdhsa_system_sgpr_workgroup_info 0
		.amdhsa_system_vgpr_workitem_id 0
		.amdhsa_next_free_vgpr 16
		.amdhsa_next_free_sgpr 10
		.amdhsa_reserve_vcc 1
		.amdhsa_reserve_flat_scratch 0
		.amdhsa_float_round_mode_32 0
		.amdhsa_float_round_mode_16_64 0
		.amdhsa_float_denorm_mode_32 3
		.amdhsa_float_denorm_mode_16_64 3
		.amdhsa_dx10_clamp 1
		.amdhsa_ieee_mode 1
		.amdhsa_fp16_overflow 0
		.amdhsa_workgroup_processor_mode 1
		.amdhsa_memory_ordered 1
		.amdhsa_forward_progress 1
		.amdhsa_shared_vgpr_count 0
		.amdhsa_exception_fp_ieee_invalid_op 0
		.amdhsa_exception_fp_denorm_src 0
		.amdhsa_exception_fp_ieee_div_zero 0
		.amdhsa_exception_fp_ieee_overflow 0
		.amdhsa_exception_fp_ieee_underflow 0
		.amdhsa_exception_fp_ieee_inexact 0
		.amdhsa_exception_int_div_zero 0
	.end_amdhsa_kernel
	.section	.text._ZL21dequantize_block_q3_KIN3c108BFloat16EEvPKvPT_,"axG",@progbits,_ZL21dequantize_block_q3_KIN3c108BFloat16EEvPKvPT_,comdat
.Lfunc_end44:
	.size	_ZL21dequantize_block_q3_KIN3c108BFloat16EEvPKvPT_, .Lfunc_end44-_ZL21dequantize_block_q3_KIN3c108BFloat16EEvPKvPT_
                                        ; -- End function
	.set _ZL21dequantize_block_q3_KIN3c108BFloat16EEvPKvPT_.num_vgpr, 16
	.set _ZL21dequantize_block_q3_KIN3c108BFloat16EEvPKvPT_.num_agpr, 0
	.set _ZL21dequantize_block_q3_KIN3c108BFloat16EEvPKvPT_.numbered_sgpr, 10
	.set _ZL21dequantize_block_q3_KIN3c108BFloat16EEvPKvPT_.num_named_barrier, 0
	.set _ZL21dequantize_block_q3_KIN3c108BFloat16EEvPKvPT_.private_seg_size, 0
	.set _ZL21dequantize_block_q3_KIN3c108BFloat16EEvPKvPT_.uses_vcc, 1
	.set _ZL21dequantize_block_q3_KIN3c108BFloat16EEvPKvPT_.uses_flat_scratch, 0
	.set _ZL21dequantize_block_q3_KIN3c108BFloat16EEvPKvPT_.has_dyn_sized_stack, 0
	.set _ZL21dequantize_block_q3_KIN3c108BFloat16EEvPKvPT_.has_recursion, 0
	.set _ZL21dequantize_block_q3_KIN3c108BFloat16EEvPKvPT_.has_indirect_call, 0
	.section	.AMDGPU.csdata,"",@progbits
; Kernel info:
; codeLenInByte = 1100
; TotalNumSgprs: 12
; NumVgprs: 16
; ScratchSize: 0
; MemoryBound: 0
; FloatMode: 240
; IeeeMode: 1
; LDSByteSize: 0 bytes/workgroup (compile time only)
; SGPRBlocks: 0
; VGPRBlocks: 1
; NumSGPRsForWavesPerEU: 12
; NumVGPRsForWavesPerEU: 16
; Occupancy: 16
; WaveLimiterHint : 0
; COMPUTE_PGM_RSRC2:SCRATCH_EN: 0
; COMPUTE_PGM_RSRC2:USER_SGPR: 6
; COMPUTE_PGM_RSRC2:TRAP_HANDLER: 0
; COMPUTE_PGM_RSRC2:TGID_X_EN: 1
; COMPUTE_PGM_RSRC2:TGID_Y_EN: 0
; COMPUTE_PGM_RSRC2:TGID_Z_EN: 0
; COMPUTE_PGM_RSRC2:TIDIG_COMP_CNT: 0
	.section	.text._ZL21dequantize_block_q4_KIN3c108BFloat16EEvPKvPT_,"axG",@progbits,_ZL21dequantize_block_q4_KIN3c108BFloat16EEvPKvPT_,comdat
	.globl	_ZL21dequantize_block_q4_KIN3c108BFloat16EEvPKvPT_ ; -- Begin function _ZL21dequantize_block_q4_KIN3c108BFloat16EEvPKvPT_
	.p2align	8
	.type	_ZL21dequantize_block_q4_KIN3c108BFloat16EEvPKvPT_,@function
_ZL21dequantize_block_q4_KIN3c108BFloat16EEvPKvPT_: ; @_ZL21dequantize_block_q4_KIN3c108BFloat16EEvPKvPT_
; %bb.0:
	s_load_dwordx2 s[0:1], s[4:5], 0x0
	v_lshrrev_b32_e32 v3, 3, v0
	s_mul_i32 s2, s6, 0x90
	s_mul_hi_u32 s3, s6, 0x90
	v_cmp_lt_u32_e32 vcc_lo, 15, v0
                                        ; implicit-def: $vgpr5
                                        ; implicit-def: $vgpr4
	v_lshlrev_b32_e32 v1, 1, v3
	s_waitcnt lgkmcnt(0)
	s_add_u32 s2, s0, s2
	s_addc_u32 s3, s1, s3
	v_add_co_u32 v1, s0, s2, v1
	v_add_co_ci_u32_e64 v2, null, s3, 0, s0
	s_and_saveexec_b32 s0, vcc_lo
	s_xor_b32 s0, exec_lo, s0
	s_cbranch_execz .LBB45_2
; %bb.1:
	s_clause 0x2
	global_load_ubyte v4, v[1:2], off
	global_load_ubyte v5, v[1:2], off offset:4
	global_load_ubyte v6, v[1:2], off offset:8
	s_waitcnt vmcnt(2)
	v_lshrrev_b16 v4, 2, v4
	s_waitcnt vmcnt(1)
	v_lshrrev_b16 v5, 2, v5
	s_waitcnt vmcnt(0)
	v_and_b32_e32 v7, 15, v6
	v_lshrrev_b16 v6, 4, v6
	v_and_b32_e32 v4, 48, v4
	v_and_b32_e32 v5, 48, v5
	v_or_b32_e32 v4, v4, v7
	v_or_b32_e32 v5, v5, v6
.LBB45_2:
	s_andn2_saveexec_b32 s0, s0
	s_cbranch_execz .LBB45_4
; %bb.3:
	s_clause 0x1
	global_load_ubyte v4, v[1:2], off offset:4
	global_load_ubyte v5, v[1:2], off offset:8
	s_waitcnt vmcnt(1)
	v_and_b32_e32 v4, 63, v4
	s_waitcnt vmcnt(0)
	v_and_b32_e32 v5, 63, v5
.LBB45_4:
	s_or_b32 exec_lo, exec_lo, s0
	s_load_dwordx2 s[0:1], s[4:5], 0x8
	s_load_dword s4, s[2:3], 0x0
                                        ; implicit-def: $vgpr7
                                        ; implicit-def: $vgpr6
	s_and_saveexec_b32 s5, vcc_lo
	s_xor_b32 s5, exec_lo, s5
	s_cbranch_execz .LBB45_6
; %bb.5:
	s_clause 0x2
	global_load_ubyte v6, v[1:2], off offset:1
	global_load_ubyte v7, v[1:2], off offset:5
	;; [unrolled: 1-line block ×3, first 2 shown]
	s_waitcnt vmcnt(2)
	v_lshrrev_b16 v2, 2, v6
	s_waitcnt vmcnt(1)
	v_lshrrev_b16 v6, 2, v7
	s_waitcnt vmcnt(0)
	v_and_b32_e32 v7, 15, v1
	v_lshrrev_b16 v1, 4, v1
	v_and_b32_e32 v2, 48, v2
	v_and_b32_e32 v8, 48, v6
	v_or_b32_e32 v6, v2, v7
	v_or_b32_e32 v7, v8, v1
                                        ; implicit-def: $vgpr1_vgpr2
.LBB45_6:
	s_andn2_saveexec_b32 s5, s5
	s_cbranch_execz .LBB45_8
; %bb.7:
	s_clause 0x1
	global_load_ubyte v6, v[1:2], off offset:5
	global_load_ubyte v1, v[1:2], off offset:9
	s_waitcnt vmcnt(1)
	v_and_b32_e32 v6, 63, v6
	s_waitcnt vmcnt(0)
	v_and_b32_e32 v7, 63, v1
.LBB45_8:
	s_or_b32 exec_lo, exec_lo, s5
	v_lshlrev_b32_e32 v0, 2, v0
	v_lshlrev_b32_e32 v1, 5, v3
	v_mov_b32_e32 v8, 15
	v_cvt_f16_u16_sdwa v4, v4 dst_sel:DWORD dst_unused:UNUSED_PAD src0_sel:BYTE_0
	s_waitcnt lgkmcnt(0)
	s_lshr_b32 s5, s4, 16
	v_and_b32_e32 v2, 28, v0
	v_add_co_u32 v0, s2, s2, v1
	v_add_co_ci_u32_e64 v1, null, s3, 0, s2
	v_mul_f16_e32 v4, s4, v4
	v_add_co_u32 v0, vcc_lo, v0, v2
	v_add_co_ci_u32_e64 v1, null, 0, v1, vcc_lo
	s_mov_b32 s3, 0
	s_lshl_b32 s2, s6, 8
	v_lshlrev_b32_e32 v3, 7, v3
	global_load_dword v0, v[0:1], off offset:16
	v_cvt_f16_u16_sdwa v1, v5 dst_sel:DWORD dst_unused:UNUSED_PAD src0_sel:BYTE_0
	v_cvt_f16_u16_sdwa v5, v6 dst_sel:DWORD dst_unused:UNUSED_PAD src0_sel:BYTE_0
	;; [unrolled: 1-line block ×3, first 2 shown]
	v_mov_b32_e32 v7, 1
	s_lshl_b64 s[2:3], s[2:3], 1
	v_mul_f16_e32 v1, s5, v1
	v_mul_f16_e32 v5, s4, v5
	;; [unrolled: 1-line block ×3, first 2 shown]
	s_add_u32 s0, s0, s2
	s_addc_u32 s1, s1, s3
	v_add_co_u32 v3, s0, s0, v3
	v_add_co_ci_u32_e64 v10, null, s1, 0, s0
	v_mov_b32_e32 v9, 0x7fc0
	v_lshlrev_b32_e32 v2, 1, v2
	s_waitcnt vmcnt(0)
	v_lshrrev_b32_e32 v11, 8, v0
	v_lshrrev_b32_e32 v12, 24, v0
	v_and_b32_e32 v13, 15, v0
	v_lshrrev_b16 v14, 4, v0
	v_and_b32_sdwa v8, v0, v8 dst_sel:DWORD dst_unused:UNUSED_PAD src0_sel:WORD_1 src1_sel:DWORD
	v_lshrrev_b32_e32 v0, 20, v0
	v_and_b32_e32 v16, 15, v12
	v_lshrrev_b16 v12, 4, v12
	v_and_b32_e32 v15, 15, v11
	v_lshrrev_b16 v11, 4, v11
	v_and_b32_e32 v0, 15, v0
	v_cvt_f16_u16_e32 v13, v13
	v_cvt_f16_u16_e32 v12, v12
	;; [unrolled: 1-line block ×3, first 2 shown]
	v_and_b32_e32 v14, 15, v14
	v_cvt_f16_u16_e32 v0, v0
	v_and_b32_e32 v11, 15, v11
	v_cvt_f16_u16_e32 v8, v8
	v_cvt_f16_u16_e32 v16, v16
	v_pack_b32_f16 v13, v13, v15
	v_pack_b32_f16 v0, v0, v12
	v_cvt_f16_u16_e32 v14, v14
	v_cvt_f16_u16_e32 v11, v11
	v_pack_b32_f16 v8, v8, v16
	v_pk_fma_f16 v12, v4, v13, v1 op_sel_hi:[0,1,0] neg_lo:[0,0,1] neg_hi:[0,0,1]
	v_pk_fma_f16 v0, v5, v0, v6 op_sel_hi:[0,1,0] neg_lo:[0,0,1] neg_hi:[0,0,1]
	v_pack_b32_f16 v11, v14, v11
	v_pk_fma_f16 v1, v4, v8, v1 op_sel_hi:[0,1,0] neg_lo:[0,0,1] neg_hi:[0,0,1]
	v_cvt_f32_f16_sdwa v4, v12 dst_sel:DWORD dst_unused:UNUSED_PAD src0_sel:WORD_1
	v_cvt_f32_f16_e32 v14, v0
	v_cvt_f32_f16_e32 v8, v12
	v_cvt_f32_f16_sdwa v13, v0 dst_sel:DWORD dst_unused:UNUSED_PAD src0_sel:WORD_1
	v_cmp_o_f16_e32 vcc_lo, v0, v0
	v_cmp_o_f16_sdwa s0, v0, v0 src0_sel:WORD_1 src1_sel:WORD_1
	v_and_b32_sdwa v21, v14, v7 dst_sel:DWORD dst_unused:UNUSED_PAD src0_sel:WORD_1 src1_sel:DWORD
	v_and_b32_sdwa v0, v4, v7 dst_sel:DWORD dst_unused:UNUSED_PAD src0_sel:WORD_1 src1_sel:DWORD
	;; [unrolled: 1-line block ×4, first 2 shown]
	v_pk_fma_f16 v5, v5, v11, v6 op_sel_hi:[0,1,0] neg_lo:[0,0,1] neg_hi:[0,0,1]
	v_add3_u32 v14, v14, v21, 0x7fff
	v_cvt_f32_f16_e32 v11, v1
	v_add3_u32 v0, v4, v0, 0x7fff
	v_add3_u32 v4, v8, v15, 0x7fff
	;; [unrolled: 1-line block ×3, first 2 shown]
	v_cndmask_b32_sdwa v14, v9, v14, vcc_lo dst_sel:DWORD dst_unused:UNUSED_PAD src0_sel:DWORD src1_sel:WORD_1
	s_mov_b32 vcc_lo, s0
	v_cvt_f32_f16_sdwa v6, v1 dst_sel:DWORD dst_unused:UNUSED_PAD src0_sel:WORD_1
	v_cvt_f32_f16_sdwa v16, v5 dst_sel:DWORD dst_unused:UNUSED_PAD src0_sel:WORD_1
	v_cvt_f32_f16_e32 v17, v5
	v_and_b32_sdwa v19, v11, v7 dst_sel:DWORD dst_unused:UNUSED_PAD src0_sel:WORD_1 src1_sel:DWORD
	v_lshrrev_b32_e32 v4, 16, v4
	v_cndmask_b32_sdwa v9, v9, v13, vcc_lo dst_sel:DWORD dst_unused:UNUSED_PAD src0_sel:DWORD src1_sel:WORD_1
	v_cmp_o_f16_e32 vcc_lo, v12, v12
	v_and_b32_sdwa v18, v6, v7 dst_sel:DWORD dst_unused:UNUSED_PAD src0_sel:WORD_1 src1_sel:DWORD
	v_and_b32_sdwa v8, v16, v7 dst_sel:DWORD dst_unused:UNUSED_PAD src0_sel:WORD_1 src1_sel:DWORD
	;; [unrolled: 1-line block ×3, first 2 shown]
	v_add3_u32 v11, v11, v19, 0x7fff
	v_lshrrev_b32_e32 v0, 16, v0
	v_cndmask_b32_e32 v4, 0x7fc0, v4, vcc_lo
	v_cmp_o_f16_sdwa vcc_lo, v12, v12 src0_sel:WORD_1 src1_sel:WORD_1
	v_add3_u32 v6, v6, v18, 0x7fff
	v_add3_u32 v8, v16, v8, 0x7fff
	;; [unrolled: 1-line block ×3, first 2 shown]
	v_lshrrev_b32_e32 v11, 16, v11
	v_cndmask_b32_e32 v12, 0x7fc0, v0, vcc_lo
	v_cmp_o_f16_e32 vcc_lo, v1, v1
	v_lshrrev_b32_e32 v6, 16, v6
	v_lshrrev_b32_e32 v0, 16, v7
	;; [unrolled: 1-line block ×3, first 2 shown]
	v_cndmask_b32_e32 v8, 0x7fc0, v11, vcc_lo
	v_cmp_o_f16_sdwa vcc_lo, v1, v1 src0_sel:WORD_1 src1_sel:WORD_1
	v_cndmask_b32_e32 v6, 0x7fc0, v6, vcc_lo
	v_cmp_o_f16_e32 vcc_lo, v5, v5
	v_cndmask_b32_e32 v11, 0x7fc0, v0, vcc_lo
	v_cmp_o_f16_sdwa vcc_lo, v5, v5 src0_sel:WORD_1 src1_sel:WORD_1
	v_perm_b32 v5, v9, v14, 0x5040100
	v_cndmask_b32_e32 v7, 0x7fc0, v7, vcc_lo
	v_add_co_u32 v0, vcc_lo, v3, v2
	v_add_co_ci_u32_e64 v1, null, 0, v10, vcc_lo
	v_perm_b32 v3, v6, v8, 0x5040100
	v_perm_b32 v2, v12, v4, 0x5040100
	;; [unrolled: 1-line block ×3, first 2 shown]
	global_store_dwordx2 v[0:1], v[2:3], off
	global_store_dwordx2 v[0:1], v[4:5], off offset:64
	s_endpgm
	.section	.rodata,"a",@progbits
	.p2align	6, 0x0
	.amdhsa_kernel _ZL21dequantize_block_q4_KIN3c108BFloat16EEvPKvPT_
		.amdhsa_group_segment_fixed_size 0
		.amdhsa_private_segment_fixed_size 0
		.amdhsa_kernarg_size 16
		.amdhsa_user_sgpr_count 6
		.amdhsa_user_sgpr_private_segment_buffer 1
		.amdhsa_user_sgpr_dispatch_ptr 0
		.amdhsa_user_sgpr_queue_ptr 0
		.amdhsa_user_sgpr_kernarg_segment_ptr 1
		.amdhsa_user_sgpr_dispatch_id 0
		.amdhsa_user_sgpr_flat_scratch_init 0
		.amdhsa_user_sgpr_private_segment_size 0
		.amdhsa_wavefront_size32 1
		.amdhsa_uses_dynamic_stack 0
		.amdhsa_system_sgpr_private_segment_wavefront_offset 0
		.amdhsa_system_sgpr_workgroup_id_x 1
		.amdhsa_system_sgpr_workgroup_id_y 0
		.amdhsa_system_sgpr_workgroup_id_z 0
		.amdhsa_system_sgpr_workgroup_info 0
		.amdhsa_system_vgpr_workitem_id 0
		.amdhsa_next_free_vgpr 22
		.amdhsa_next_free_sgpr 7
		.amdhsa_reserve_vcc 1
		.amdhsa_reserve_flat_scratch 0
		.amdhsa_float_round_mode_32 0
		.amdhsa_float_round_mode_16_64 0
		.amdhsa_float_denorm_mode_32 3
		.amdhsa_float_denorm_mode_16_64 3
		.amdhsa_dx10_clamp 1
		.amdhsa_ieee_mode 1
		.amdhsa_fp16_overflow 0
		.amdhsa_workgroup_processor_mode 1
		.amdhsa_memory_ordered 1
		.amdhsa_forward_progress 1
		.amdhsa_shared_vgpr_count 0
		.amdhsa_exception_fp_ieee_invalid_op 0
		.amdhsa_exception_fp_denorm_src 0
		.amdhsa_exception_fp_ieee_div_zero 0
		.amdhsa_exception_fp_ieee_overflow 0
		.amdhsa_exception_fp_ieee_underflow 0
		.amdhsa_exception_fp_ieee_inexact 0
		.amdhsa_exception_int_div_zero 0
	.end_amdhsa_kernel
	.section	.text._ZL21dequantize_block_q4_KIN3c108BFloat16EEvPKvPT_,"axG",@progbits,_ZL21dequantize_block_q4_KIN3c108BFloat16EEvPKvPT_,comdat
.Lfunc_end45:
	.size	_ZL21dequantize_block_q4_KIN3c108BFloat16EEvPKvPT_, .Lfunc_end45-_ZL21dequantize_block_q4_KIN3c108BFloat16EEvPKvPT_
                                        ; -- End function
	.set _ZL21dequantize_block_q4_KIN3c108BFloat16EEvPKvPT_.num_vgpr, 22
	.set _ZL21dequantize_block_q4_KIN3c108BFloat16EEvPKvPT_.num_agpr, 0
	.set _ZL21dequantize_block_q4_KIN3c108BFloat16EEvPKvPT_.numbered_sgpr, 7
	.set _ZL21dequantize_block_q4_KIN3c108BFloat16EEvPKvPT_.num_named_barrier, 0
	.set _ZL21dequantize_block_q4_KIN3c108BFloat16EEvPKvPT_.private_seg_size, 0
	.set _ZL21dequantize_block_q4_KIN3c108BFloat16EEvPKvPT_.uses_vcc, 1
	.set _ZL21dequantize_block_q4_KIN3c108BFloat16EEvPKvPT_.uses_flat_scratch, 0
	.set _ZL21dequantize_block_q4_KIN3c108BFloat16EEvPKvPT_.has_dyn_sized_stack, 0
	.set _ZL21dequantize_block_q4_KIN3c108BFloat16EEvPKvPT_.has_recursion, 0
	.set _ZL21dequantize_block_q4_KIN3c108BFloat16EEvPKvPT_.has_indirect_call, 0
	.section	.AMDGPU.csdata,"",@progbits
; Kernel info:
; codeLenInByte = 1136
; TotalNumSgprs: 9
; NumVgprs: 22
; ScratchSize: 0
; MemoryBound: 0
; FloatMode: 240
; IeeeMode: 1
; LDSByteSize: 0 bytes/workgroup (compile time only)
; SGPRBlocks: 0
; VGPRBlocks: 2
; NumSGPRsForWavesPerEU: 9
; NumVGPRsForWavesPerEU: 22
; Occupancy: 16
; WaveLimiterHint : 0
; COMPUTE_PGM_RSRC2:SCRATCH_EN: 0
; COMPUTE_PGM_RSRC2:USER_SGPR: 6
; COMPUTE_PGM_RSRC2:TRAP_HANDLER: 0
; COMPUTE_PGM_RSRC2:TGID_X_EN: 1
; COMPUTE_PGM_RSRC2:TGID_Y_EN: 0
; COMPUTE_PGM_RSRC2:TGID_Z_EN: 0
; COMPUTE_PGM_RSRC2:TIDIG_COMP_CNT: 0
	.section	.text._ZL21dequantize_block_q5_KIN3c108BFloat16EEvPKvPT_,"axG",@progbits,_ZL21dequantize_block_q5_KIN3c108BFloat16EEvPKvPT_,comdat
	.globl	_ZL21dequantize_block_q5_KIN3c108BFloat16EEvPKvPT_ ; -- Begin function _ZL21dequantize_block_q5_KIN3c108BFloat16EEvPKvPT_
	.p2align	8
	.type	_ZL21dequantize_block_q5_KIN3c108BFloat16EEvPKvPT_,@function
_ZL21dequantize_block_q5_KIN3c108BFloat16EEvPKvPT_: ; @_ZL21dequantize_block_q5_KIN3c108BFloat16EEvPKvPT_
; %bb.0:
	s_load_dwordx2 s[0:1], s[4:5], 0x0
	v_lshrrev_b32_e32 v4, 4, v0
	s_mul_i32 s2, s6, 0xb0
	s_mul_hi_u32 s3, s6, 0xb0
	v_cmp_lt_u32_e32 vcc_lo, 31, v0
                                        ; implicit-def: $vgpr6
                                        ; implicit-def: $vgpr5
	v_lshlrev_b32_e32 v3, 1, v4
	s_waitcnt lgkmcnt(0)
	s_add_u32 s2, s0, s2
	s_addc_u32 s3, s1, s3
	v_add_co_u32 v1, s0, s2, v3
	v_add_co_ci_u32_e64 v2, null, s3, 0, s0
	s_and_saveexec_b32 s0, vcc_lo
	s_xor_b32 s0, exec_lo, s0
	s_cbranch_execz .LBB46_2
; %bb.1:
	s_clause 0x2
	global_load_ubyte v5, v[1:2], off
	global_load_ubyte v6, v[1:2], off offset:4
	global_load_ubyte v7, v[1:2], off offset:8
	s_waitcnt vmcnt(2)
	v_lshrrev_b16 v5, 2, v5
	s_waitcnt vmcnt(1)
	v_lshrrev_b16 v6, 2, v6
	s_waitcnt vmcnt(0)
	v_and_b32_e32 v8, 15, v7
	v_lshrrev_b16 v7, 4, v7
	v_and_b32_e32 v5, 48, v5
	v_and_b32_e32 v6, 48, v6
	v_or_b32_e32 v5, v5, v8
	v_or_b32_e32 v6, v6, v7
.LBB46_2:
	s_andn2_saveexec_b32 s0, s0
	s_cbranch_execz .LBB46_4
; %bb.3:
	s_clause 0x1
	global_load_ubyte v5, v[1:2], off offset:4
	global_load_ubyte v6, v[1:2], off offset:8
	s_waitcnt vmcnt(1)
	v_and_b32_e32 v5, 63, v5
	s_waitcnt vmcnt(0)
	v_and_b32_e32 v6, 63, v6
.LBB46_4:
	s_or_b32 exec_lo, exec_lo, s0
	s_load_dwordx2 s[0:1], s[4:5], 0x8
	s_load_dword s4, s[2:3], 0x0
                                        ; implicit-def: $vgpr7
                                        ; implicit-def: $vgpr8
	s_and_saveexec_b32 s5, vcc_lo
	s_xor_b32 s5, exec_lo, s5
	s_cbranch_execz .LBB46_6
; %bb.5:
	s_clause 0x2
	global_load_ubyte v7, v[1:2], off offset:1
	global_load_ubyte v8, v[1:2], off offset:5
	;; [unrolled: 1-line block ×3, first 2 shown]
	s_waitcnt vmcnt(2)
	v_lshrrev_b16 v2, 2, v7
	s_waitcnt vmcnt(1)
	v_lshrrev_b16 v7, 2, v8
	s_waitcnt vmcnt(0)
	v_and_b32_e32 v8, 15, v1
	v_lshrrev_b16 v1, 4, v1
	v_and_b32_e32 v2, 48, v2
	v_and_b32_e32 v7, 48, v7
	v_or_b32_e32 v8, v2, v8
	v_or_b32_e32 v7, v7, v1
                                        ; implicit-def: $vgpr1_vgpr2
.LBB46_6:
	s_andn2_saveexec_b32 s5, s5
	s_cbranch_execz .LBB46_8
; %bb.7:
	s_clause 0x1
	global_load_ubyte v7, v[1:2], off offset:5
	global_load_ubyte v1, v[1:2], off offset:9
	s_waitcnt vmcnt(1)
	v_and_b32_e32 v8, 63, v7
	s_waitcnt vmcnt(0)
	v_and_b32_e32 v7, 63, v1
.LBB46_8:
	s_or_b32 exec_lo, exec_lo, s5
	v_lshlrev_b32_e32 v0, 1, v0
	v_lshlrev_b32_e32 v1, 5, v4
	v_lshlrev_b32_e64 v11, v3, 1
	v_mov_b32_e32 v10, 0xffff
	v_lshlrev_b32_e64 v3, v3, 2
	v_and_b32_e32 v2, 30, v0
	v_add_co_u32 v0, s5, s2, v1
	v_add_co_ci_u32_e64 v1, null, s3, 0, s5
	v_mov_b32_e32 v9, 15
	v_add_co_u32 v0, vcc_lo, v0, v2
	v_add_co_ci_u32_e64 v1, null, 0, v1, vcc_lo
	v_cvt_f16_u16_sdwa v6, v6 dst_sel:DWORD dst_unused:UNUSED_PAD src0_sel:BYTE_0
	v_cvt_f16_u16_sdwa v5, v5 dst_sel:DWORD dst_unused:UNUSED_PAD src0_sel:BYTE_0
	s_clause 0x1
	global_load_ushort v0, v[0:1], off offset:48
	global_load_ushort v1, v2, s[2:3] offset:16
	v_cvt_f16_u16_sdwa v8, v8 dst_sel:DWORD dst_unused:UNUSED_PAD src0_sel:BYTE_0
	v_cvt_f16_u16_sdwa v7, v7 dst_sel:DWORD dst_unused:UNUSED_PAD src0_sel:BYTE_0
	s_waitcnt lgkmcnt(0)
	s_lshr_b32 s5, s4, 16
	v_mul_f16_e32 v5, s4, v5
	v_mul_f16_e32 v6, s5, v6
	;; [unrolled: 1-line block ×4, first 2 shown]
	s_mov_b32 s3, 0
	s_lshl_b32 s2, s6, 8
	v_lshlrev_b32_e32 v4, 7, v4
	s_lshl_b64 s[2:3], s[2:3], 1
	v_lshlrev_b32_e32 v2, 1, v2
	s_add_u32 s0, s0, s2
	s_addc_u32 s1, s1, s3
	v_add_co_u32 v4, s0, s0, v4
	s_waitcnt vmcnt(1)
	v_lshrrev_b16 v14, 4, v0
	s_waitcnt vmcnt(0)
	v_and_b32_sdwa v13, v11, v1 dst_sel:DWORD dst_unused:UNUSED_PAD src0_sel:DWORD src1_sel:BYTE_0
	v_and_b32_sdwa v10, v10, v1 dst_sel:DWORD dst_unused:UNUSED_PAD src0_sel:DWORD src1_sel:BYTE_1
	v_and_b32_sdwa v1, v3, v1 dst_sel:DWORD dst_unused:UNUSED_PAD src0_sel:DWORD src1_sel:BYTE_0
	v_and_b32_sdwa v9, v0, v9 dst_sel:DWORD dst_unused:UNUSED_PAD src0_sel:BYTE_1 src1_sel:DWORD
	v_and_b32_e32 v12, 15, v0
	v_cmp_eq_u32_e32 vcc_lo, 0, v13
	v_and_b32_e32 v11, v11, v10
	v_and_b32_e32 v3, v3, v10
	v_lshrrev_b16 v0, 12, v0
	v_and_b32_e32 v14, 15, v14
	v_cndmask_b32_e64 v13, 16, 0, vcc_lo
	v_cmp_eq_u32_e32 vcc_lo, 0, v1
	v_or_b32_sdwa v12, v13, v12 dst_sel:DWORD dst_unused:UNUSED_PAD src0_sel:DWORD src1_sel:WORD_0
	v_cndmask_b32_e64 v1, 16, 0, vcc_lo
	v_cmp_eq_u32_e32 vcc_lo, 0, v11
	v_mov_b32_e32 v11, 1
	v_or_b32_sdwa v1, v1, v14 dst_sel:DWORD dst_unused:UNUSED_PAD src0_sel:DWORD src1_sel:WORD_0
	v_cndmask_b32_e64 v10, 16, 0, vcc_lo
	v_cmp_eq_u32_e32 vcc_lo, 0, v3
	v_cvt_f32_ubyte0_e32 v1, v1
	v_or_b32_sdwa v9, v10, v9 dst_sel:DWORD dst_unused:UNUSED_PAD src0_sel:DWORD src1_sel:WORD_0
	v_cndmask_b32_e64 v3, 16, 0, vcc_lo
	v_cvt_f16_f32_e32 v1, v1
	v_cvt_f32_ubyte0_e32 v9, v9
	v_or_b32_sdwa v0, v3, v0 dst_sel:DWORD dst_unused:UNUSED_PAD src0_sel:DWORD src1_sel:WORD_0
	v_cvt_f32_ubyte0_e32 v3, v12
	v_cvt_f16_f32_e32 v9, v9
	v_cvt_f32_ubyte0_e32 v0, v0
	v_cvt_f16_f32_e32 v3, v3
	v_cvt_f16_f32_e32 v0, v0
	v_pack_b32_f16 v3, v3, v9
	v_pack_b32_f16 v0, v1, v0
	v_pk_fma_f16 v3, v5, v3, v6 op_sel_hi:[0,1,0] neg_lo:[0,0,1] neg_hi:[0,0,1]
	v_mov_b32_e32 v1, 0x7fc0
	v_add_co_ci_u32_e64 v5, null, s1, 0, s0
	v_pk_fma_f16 v0, v8, v0, v7 op_sel_hi:[0,1,0] neg_lo:[0,0,1] neg_hi:[0,0,1]
	v_cvt_f32_f16_e32 v6, v3
	v_cvt_f32_f16_sdwa v7, v3 dst_sel:DWORD dst_unused:UNUSED_PAD src0_sel:WORD_1
	v_cvt_f32_f16_sdwa v8, v0 dst_sel:DWORD dst_unused:UNUSED_PAD src0_sel:WORD_1
	v_cvt_f32_f16_e32 v9, v0
	v_and_b32_sdwa v10, v6, v11 dst_sel:DWORD dst_unused:UNUSED_PAD src0_sel:WORD_1 src1_sel:DWORD
	v_and_b32_sdwa v12, v7, v11 dst_sel:DWORD dst_unused:UNUSED_PAD src0_sel:WORD_1 src1_sel:DWORD
	v_cmp_o_f16_e32 vcc_lo, v0, v0
	v_and_b32_sdwa v13, v8, v11 dst_sel:DWORD dst_unused:UNUSED_PAD src0_sel:WORD_1 src1_sel:DWORD
	v_and_b32_sdwa v11, v9, v11 dst_sel:DWORD dst_unused:UNUSED_PAD src0_sel:WORD_1 src1_sel:DWORD
	v_cmp_o_f16_sdwa s0, v0, v0 src0_sel:WORD_1 src1_sel:WORD_1
	v_add3_u32 v6, v6, v10, 0x7fff
	v_add3_u32 v7, v7, v12, 0x7fff
	;; [unrolled: 1-line block ×4, first 2 shown]
	v_lshrrev_b32_e32 v6, 16, v6
	v_lshrrev_b32_e32 v7, 16, v7
	v_cndmask_b32_sdwa v8, v1, v8, vcc_lo dst_sel:DWORD dst_unused:UNUSED_PAD src0_sel:DWORD src1_sel:WORD_1
	s_mov_b32 vcc_lo, s0
	v_cndmask_b32_sdwa v9, v1, v0, vcc_lo dst_sel:DWORD dst_unused:UNUSED_PAD src0_sel:DWORD src1_sel:WORD_1
	v_cmp_o_f16_e32 vcc_lo, v3, v3
	v_cndmask_b32_e32 v6, 0x7fc0, v6, vcc_lo
	v_cmp_o_f16_sdwa vcc_lo, v3, v3 src0_sel:WORD_1 src1_sel:WORD_1
	v_cndmask_b32_e32 v3, 0x7fc0, v7, vcc_lo
	v_add_co_u32 v0, vcc_lo, v4, v2
	v_add_co_ci_u32_e64 v1, null, 0, v5, vcc_lo
	v_perm_b32 v2, v3, v6, 0x5040100
	v_perm_b32 v3, v9, v8, 0x5040100
	global_store_dword v[0:1], v2, off
	global_store_dword v[0:1], v3, off offset:64
	s_endpgm
	.section	.rodata,"a",@progbits
	.p2align	6, 0x0
	.amdhsa_kernel _ZL21dequantize_block_q5_KIN3c108BFloat16EEvPKvPT_
		.amdhsa_group_segment_fixed_size 0
		.amdhsa_private_segment_fixed_size 0
		.amdhsa_kernarg_size 16
		.amdhsa_user_sgpr_count 6
		.amdhsa_user_sgpr_private_segment_buffer 1
		.amdhsa_user_sgpr_dispatch_ptr 0
		.amdhsa_user_sgpr_queue_ptr 0
		.amdhsa_user_sgpr_kernarg_segment_ptr 1
		.amdhsa_user_sgpr_dispatch_id 0
		.amdhsa_user_sgpr_flat_scratch_init 0
		.amdhsa_user_sgpr_private_segment_size 0
		.amdhsa_wavefront_size32 1
		.amdhsa_uses_dynamic_stack 0
		.amdhsa_system_sgpr_private_segment_wavefront_offset 0
		.amdhsa_system_sgpr_workgroup_id_x 1
		.amdhsa_system_sgpr_workgroup_id_y 0
		.amdhsa_system_sgpr_workgroup_id_z 0
		.amdhsa_system_sgpr_workgroup_info 0
		.amdhsa_system_vgpr_workitem_id 0
		.amdhsa_next_free_vgpr 15
		.amdhsa_next_free_sgpr 7
		.amdhsa_reserve_vcc 1
		.amdhsa_reserve_flat_scratch 0
		.amdhsa_float_round_mode_32 0
		.amdhsa_float_round_mode_16_64 0
		.amdhsa_float_denorm_mode_32 3
		.amdhsa_float_denorm_mode_16_64 3
		.amdhsa_dx10_clamp 1
		.amdhsa_ieee_mode 1
		.amdhsa_fp16_overflow 0
		.amdhsa_workgroup_processor_mode 1
		.amdhsa_memory_ordered 1
		.amdhsa_forward_progress 1
		.amdhsa_shared_vgpr_count 0
		.amdhsa_exception_fp_ieee_invalid_op 0
		.amdhsa_exception_fp_denorm_src 0
		.amdhsa_exception_fp_ieee_div_zero 0
		.amdhsa_exception_fp_ieee_overflow 0
		.amdhsa_exception_fp_ieee_underflow 0
		.amdhsa_exception_fp_ieee_inexact 0
		.amdhsa_exception_int_div_zero 0
	.end_amdhsa_kernel
	.section	.text._ZL21dequantize_block_q5_KIN3c108BFloat16EEvPKvPT_,"axG",@progbits,_ZL21dequantize_block_q5_KIN3c108BFloat16EEvPKvPT_,comdat
.Lfunc_end46:
	.size	_ZL21dequantize_block_q5_KIN3c108BFloat16EEvPKvPT_, .Lfunc_end46-_ZL21dequantize_block_q5_KIN3c108BFloat16EEvPKvPT_
                                        ; -- End function
	.set _ZL21dequantize_block_q5_KIN3c108BFloat16EEvPKvPT_.num_vgpr, 15
	.set _ZL21dequantize_block_q5_KIN3c108BFloat16EEvPKvPT_.num_agpr, 0
	.set _ZL21dequantize_block_q5_KIN3c108BFloat16EEvPKvPT_.numbered_sgpr, 7
	.set _ZL21dequantize_block_q5_KIN3c108BFloat16EEvPKvPT_.num_named_barrier, 0
	.set _ZL21dequantize_block_q5_KIN3c108BFloat16EEvPKvPT_.private_seg_size, 0
	.set _ZL21dequantize_block_q5_KIN3c108BFloat16EEvPKvPT_.uses_vcc, 1
	.set _ZL21dequantize_block_q5_KIN3c108BFloat16EEvPKvPT_.uses_flat_scratch, 0
	.set _ZL21dequantize_block_q5_KIN3c108BFloat16EEvPKvPT_.has_dyn_sized_stack, 0
	.set _ZL21dequantize_block_q5_KIN3c108BFloat16EEvPKvPT_.has_recursion, 0
	.set _ZL21dequantize_block_q5_KIN3c108BFloat16EEvPKvPT_.has_indirect_call, 0
	.section	.AMDGPU.csdata,"",@progbits
; Kernel info:
; codeLenInByte = 1020
; TotalNumSgprs: 9
; NumVgprs: 15
; ScratchSize: 0
; MemoryBound: 0
; FloatMode: 240
; IeeeMode: 1
; LDSByteSize: 0 bytes/workgroup (compile time only)
; SGPRBlocks: 0
; VGPRBlocks: 1
; NumSGPRsForWavesPerEU: 9
; NumVGPRsForWavesPerEU: 15
; Occupancy: 16
; WaveLimiterHint : 0
; COMPUTE_PGM_RSRC2:SCRATCH_EN: 0
; COMPUTE_PGM_RSRC2:USER_SGPR: 6
; COMPUTE_PGM_RSRC2:TRAP_HANDLER: 0
; COMPUTE_PGM_RSRC2:TGID_X_EN: 1
; COMPUTE_PGM_RSRC2:TGID_Y_EN: 0
; COMPUTE_PGM_RSRC2:TGID_Z_EN: 0
; COMPUTE_PGM_RSRC2:TIDIG_COMP_CNT: 0
	.section	.text._ZL21dequantize_block_q6_KIN3c108BFloat16EEvPKvPT_,"axG",@progbits,_ZL21dequantize_block_q6_KIN3c108BFloat16EEvPKvPT_,comdat
	.globl	_ZL21dequantize_block_q6_KIN3c108BFloat16EEvPKvPT_ ; -- Begin function _ZL21dequantize_block_q6_KIN3c108BFloat16EEvPKvPT_
	.p2align	8
	.type	_ZL21dequantize_block_q6_KIN3c108BFloat16EEvPKvPT_,@function
_ZL21dequantize_block_q6_KIN3c108BFloat16EEvPKvPT_: ; @_ZL21dequantize_block_q6_KIN3c108BFloat16EEvPKvPT_
; %bb.0:
	s_load_dwordx4 s[0:3], s[4:5], 0x0
	v_lshrrev_b32_e32 v3, 5, v0
	s_mov_b32 s5, 0
	s_lshl_b32 s4, s6, 8
	s_mul_hi_u32 s7, s6, 0xd2
	s_lshl_b64 s[4:5], s[4:5], 1
	v_lshlrev_b32_e32 v1, 6, v3
	s_mulk_i32 s6, 0xd2
	v_and_b32_e32 v4, 31, v0
	v_mov_b32_e32 v9, 0
	v_mov_b32_e32 v12, 32
	s_waitcnt lgkmcnt(0)
	s_add_u32 s2, s2, s4
	s_addc_u32 s3, s3, s5
	s_add_u32 s0, s0, s6
	s_addc_u32 s1, s1, s7
	v_add_co_u32 v1, s4, s0, v1
	v_add_co_ci_u32_e64 v2, null, s1, 0, s4
	global_load_ubyte v5, v0, s[0:1] offset:128
	v_add_co_u32 v1, vcc_lo, v1, v4
	v_add_co_ci_u32_e64 v2, null, 0, v2, vcc_lo
	v_bfe_u32 v0, v0, 4, 1
	s_clause 0x1
	global_load_ubyte v6, v[1:2], off
	global_load_ubyte v1, v[1:2], off offset:32
	v_lshl_or_b32 v0, v3, 3, v0
	s_clause 0x4
	global_load_sbyte v2, v0, s[0:1] offset:192
	global_load_sbyte v7, v0, s[0:1] offset:194
	;; [unrolled: 1-line block ×4, first 2 shown]
	global_load_ushort v9, v9, s[0:1] offset:208
	v_lshlrev_b32_e32 v3, 8, v3
	s_waitcnt vmcnt(7)
	v_lshlrev_b16 v10, 4, v5
	v_lshlrev_b16 v11, 2, v5
	v_and_b32_e32 v13, 48, v5
	v_lshrrev_b16 v5, 2, v5
	v_and_b32_e32 v10, 48, v10
	v_and_b32_e32 v11, 48, v11
	s_waitcnt vmcnt(6)
	v_and_b32_e32 v14, 15, v6
	s_waitcnt vmcnt(5)
	v_and_b32_e32 v15, 15, v1
	v_and_b32_e32 v5, 48, v5
	v_lshrrev_b16 v1, 4, v1
	v_lshrrev_b16 v6, 4, v6
	v_or_b32_e32 v10, v14, v10
	v_or_b32_e32 v11, v15, v11
	;; [unrolled: 1-line block ×4, first 2 shown]
	v_sub_nc_u32_sdwa v5, v10, v12 dst_sel:DWORD dst_unused:UNUSED_PAD src0_sel:WORD_0 src1_sel:DWORD
	v_sub_nc_u32_sdwa v10, v11, v12 dst_sel:DWORD dst_unused:UNUSED_PAD src0_sel:WORD_0 src1_sel:DWORD
	;; [unrolled: 1-line block ×4, first 2 shown]
	s_waitcnt vmcnt(4)
	v_mul_i32_i24_e32 v2, v5, v2
	s_waitcnt vmcnt(3)
	v_mul_i32_i24_e32 v5, v10, v7
	;; [unrolled: 2-line block ×3, first 2 shown]
	v_mul_i32_i24_e32 v6, v6, v8
	v_cvt_f32_i32_e32 v1, v2
	v_cvt_f32_i32_e32 v2, v5
	;; [unrolled: 1-line block ×4, first 2 shown]
	v_cvt_f16_f32_e32 v1, v1
	v_cvt_f16_f32_e32 v2, v2
	v_mov_b32_e32 v6, 0x7fc0
	v_cvt_f16_f32_e32 v0, v0
	v_cvt_f16_f32_e32 v5, v5
	s_waitcnt vmcnt(0)
	v_mul_f16_e32 v7, v9, v1
	v_mul_f16_e32 v2, v9, v2
	v_lshlrev_b32_e32 v1, 1, v4
	v_mul_f16_e32 v4, v9, v0
	v_add_co_u32 v0, s0, s2, v3
	v_cvt_f32_f16_e32 v8, v7
	v_mul_f16_e32 v5, v9, v5
	v_cvt_f32_f16_e32 v9, v2
	v_add_co_ci_u32_e64 v3, null, s3, 0, s0
	v_bfe_u32 v12, v8, 16, 1
	v_add_co_u32 v0, vcc_lo, v0, v1
	v_cvt_f32_f16_e32 v10, v5
	v_cvt_f32_f16_e32 v11, v4
	v_bfe_u32 v13, v9, 16, 1
	v_add_co_ci_u32_e64 v1, null, 0, v3, vcc_lo
	v_add3_u32 v3, v8, v12, 0x7fff
	v_bfe_u32 v14, v10, 16, 1
	v_bfe_u32 v8, v11, 16, 1
	v_add3_u32 v9, v9, v13, 0x7fff
	v_cmp_o_f16_e64 s0, v7, v7
	v_lshrrev_b32_e32 v3, 16, v3
	v_add3_u32 v10, v10, v14, 0x7fff
	v_cmp_o_f16_e32 vcc_lo, v4, v4
	v_add3_u32 v4, v11, v8, 0x7fff
	v_lshrrev_b32_e32 v8, 16, v9
	v_cndmask_b32_e64 v3, 0x7fc0, v3, s0
	v_cmp_o_f16_e64 s0, v2, v2
	v_lshrrev_b32_e32 v9, 16, v10
	v_cndmask_b32_sdwa v4, v6, v4, vcc_lo dst_sel:DWORD dst_unused:UNUSED_PAD src0_sel:DWORD src1_sel:WORD_1
	v_cndmask_b32_e64 v2, 0x7fc0, v8, s0
	v_cmp_o_f16_e64 s0, v5, v5
	v_cndmask_b32_e64 v5, 0x7fc0, v9, s0
	global_store_short v[0:1], v3, off
	global_store_short v[0:1], v2, off offset:64
	global_store_short v[0:1], v5, off offset:128
	;; [unrolled: 1-line block ×3, first 2 shown]
	s_endpgm
	.section	.rodata,"a",@progbits
	.p2align	6, 0x0
	.amdhsa_kernel _ZL21dequantize_block_q6_KIN3c108BFloat16EEvPKvPT_
		.amdhsa_group_segment_fixed_size 0
		.amdhsa_private_segment_fixed_size 0
		.amdhsa_kernarg_size 16
		.amdhsa_user_sgpr_count 6
		.amdhsa_user_sgpr_private_segment_buffer 1
		.amdhsa_user_sgpr_dispatch_ptr 0
		.amdhsa_user_sgpr_queue_ptr 0
		.amdhsa_user_sgpr_kernarg_segment_ptr 1
		.amdhsa_user_sgpr_dispatch_id 0
		.amdhsa_user_sgpr_flat_scratch_init 0
		.amdhsa_user_sgpr_private_segment_size 0
		.amdhsa_wavefront_size32 1
		.amdhsa_uses_dynamic_stack 0
		.amdhsa_system_sgpr_private_segment_wavefront_offset 0
		.amdhsa_system_sgpr_workgroup_id_x 1
		.amdhsa_system_sgpr_workgroup_id_y 0
		.amdhsa_system_sgpr_workgroup_id_z 0
		.amdhsa_system_sgpr_workgroup_info 0
		.amdhsa_system_vgpr_workitem_id 0
		.amdhsa_next_free_vgpr 16
		.amdhsa_next_free_sgpr 8
		.amdhsa_reserve_vcc 1
		.amdhsa_reserve_flat_scratch 0
		.amdhsa_float_round_mode_32 0
		.amdhsa_float_round_mode_16_64 0
		.amdhsa_float_denorm_mode_32 3
		.amdhsa_float_denorm_mode_16_64 3
		.amdhsa_dx10_clamp 1
		.amdhsa_ieee_mode 1
		.amdhsa_fp16_overflow 0
		.amdhsa_workgroup_processor_mode 1
		.amdhsa_memory_ordered 1
		.amdhsa_forward_progress 1
		.amdhsa_shared_vgpr_count 0
		.amdhsa_exception_fp_ieee_invalid_op 0
		.amdhsa_exception_fp_denorm_src 0
		.amdhsa_exception_fp_ieee_div_zero 0
		.amdhsa_exception_fp_ieee_overflow 0
		.amdhsa_exception_fp_ieee_underflow 0
		.amdhsa_exception_fp_ieee_inexact 0
		.amdhsa_exception_int_div_zero 0
	.end_amdhsa_kernel
	.section	.text._ZL21dequantize_block_q6_KIN3c108BFloat16EEvPKvPT_,"axG",@progbits,_ZL21dequantize_block_q6_KIN3c108BFloat16EEvPKvPT_,comdat
.Lfunc_end47:
	.size	_ZL21dequantize_block_q6_KIN3c108BFloat16EEvPKvPT_, .Lfunc_end47-_ZL21dequantize_block_q6_KIN3c108BFloat16EEvPKvPT_
                                        ; -- End function
	.set _ZL21dequantize_block_q6_KIN3c108BFloat16EEvPKvPT_.num_vgpr, 16
	.set _ZL21dequantize_block_q6_KIN3c108BFloat16EEvPKvPT_.num_agpr, 0
	.set _ZL21dequantize_block_q6_KIN3c108BFloat16EEvPKvPT_.numbered_sgpr, 8
	.set _ZL21dequantize_block_q6_KIN3c108BFloat16EEvPKvPT_.num_named_barrier, 0
	.set _ZL21dequantize_block_q6_KIN3c108BFloat16EEvPKvPT_.private_seg_size, 0
	.set _ZL21dequantize_block_q6_KIN3c108BFloat16EEvPKvPT_.uses_vcc, 1
	.set _ZL21dequantize_block_q6_KIN3c108BFloat16EEvPKvPT_.uses_flat_scratch, 0
	.set _ZL21dequantize_block_q6_KIN3c108BFloat16EEvPKvPT_.has_dyn_sized_stack, 0
	.set _ZL21dequantize_block_q6_KIN3c108BFloat16EEvPKvPT_.has_recursion, 0
	.set _ZL21dequantize_block_q6_KIN3c108BFloat16EEvPKvPT_.has_indirect_call, 0
	.section	.AMDGPU.csdata,"",@progbits
; Kernel info:
; codeLenInByte = 660
; TotalNumSgprs: 10
; NumVgprs: 16
; ScratchSize: 0
; MemoryBound: 0
; FloatMode: 240
; IeeeMode: 1
; LDSByteSize: 0 bytes/workgroup (compile time only)
; SGPRBlocks: 0
; VGPRBlocks: 1
; NumSGPRsForWavesPerEU: 10
; NumVGPRsForWavesPerEU: 16
; Occupancy: 16
; WaveLimiterHint : 0
; COMPUTE_PGM_RSRC2:SCRATCH_EN: 0
; COMPUTE_PGM_RSRC2:USER_SGPR: 6
; COMPUTE_PGM_RSRC2:TRAP_HANDLER: 0
; COMPUTE_PGM_RSRC2:TGID_X_EN: 1
; COMPUTE_PGM_RSRC2:TGID_Y_EN: 0
; COMPUTE_PGM_RSRC2:TGID_Z_EN: 0
; COMPUTE_PGM_RSRC2:TIDIG_COMP_CNT: 0
	.section	.text._ZL24dequantize_block_iq2_xxsIN3c108BFloat16EEvPKvPT_,"axG",@progbits,_ZL24dequantize_block_iq2_xxsIN3c108BFloat16EEvPKvPT_,comdat
	.globl	_ZL24dequantize_block_iq2_xxsIN3c108BFloat16EEvPKvPT_ ; -- Begin function _ZL24dequantize_block_iq2_xxsIN3c108BFloat16EEvPKvPT_
	.p2align	8
	.type	_ZL24dequantize_block_iq2_xxsIN3c108BFloat16EEvPKvPT_,@function
_ZL24dequantize_block_iq2_xxsIN3c108BFloat16EEvPKvPT_: ; @_ZL24dequantize_block_iq2_xxsIN3c108BFloat16EEvPKvPT_
; %bb.0:
	s_load_dwordx4 s[0:3], s[4:5], 0x0
	v_and_b32_e32 v3, 7, v0
	s_mov_b32 s5, 0
	s_lshl_b32 s4, s6, 8
	s_mul_hi_u32 s7, s6, 0x42
	s_lshl_b64 s[4:5], s[4:5], 1
	v_lshlrev_b32_e32 v5, 3, v3
	s_mulk_i32 s6, 0x42
	v_lshrrev_b32_e32 v4, 3, v0
	v_mov_b32_e32 v6, 0
	v_lshlrev_b32_e32 v3, 6, v3
	v_mov_b32_e32 v10, 0x7fc0
	v_mov_b32_e32 v9, 1
	v_and_b32_e32 v0, 0x3f8, v0
	v_lshlrev_b32_e32 v0, 1, v0
	s_waitcnt lgkmcnt(0)
	s_add_u32 s4, s2, s4
	s_addc_u32 s5, s3, s5
	s_add_u32 s0, s0, s6
	s_addc_u32 s1, s1, s7
	v_add_co_u32 v1, s2, s0, v5
	v_add_co_ci_u32_e64 v2, null, s1, 0, s2
	v_add_co_u32 v1, vcc_lo, v1, v4
	v_add_co_ci_u32_e64 v2, null, 0, v2, vcc_lo
	s_clause 0x2
	global_load_ubyte v1, v[1:2], off offset:2
	global_load_ushort v7, v6, s[0:1]
	global_load_dword v5, v5, s[0:1] offset:6
	v_mul_u32_u24_e32 v2, 7, v4
	s_getpc_b64 s[0:1]
	s_add_u32 s0, s0, _ZL11iq2xxs_grid@rel32@lo+4
	s_addc_u32 s1, s1, _ZL11iq2xxs_grid@rel32@hi+12
	s_getpc_b64 s[2:3]
	s_add_u32 s2, s2, _ZL12ksigns_iq2xs@rel32@lo+4
	s_addc_u32 s3, s3, _ZL12ksigns_iq2xs@rel32@hi+12
	s_waitcnt vmcnt(2)
	v_lshlrev_b32_e32 v1, 3, v1
	s_waitcnt vmcnt(1)
	v_cvt_f32_f16_e32 v7, v7
	s_waitcnt vmcnt(0)
	v_bfe_u32 v4, v5, v2, 7
	v_lshrrev_b32_e32 v5, 28, v5
	global_load_dwordx2 v[1:2], v1, s[0:1]
	global_load_ubyte v8, v4, s[2:3]
	v_add_co_u32 v3, s0, s4, v3
	v_cvt_f32_ubyte0_e32 v5, v5
	v_add_f32_e32 v5, 0.5, v5
	v_mul_f32_e32 v5, v5, v7
	v_add_co_ci_u32_e64 v7, null, s5, 0, s0
	v_mul_f32_e32 v5, 0x3e800000, v5
	s_waitcnt vmcnt(1)
	v_cvt_f32_ubyte3_e32 v11, v1
	s_waitcnt vmcnt(0)
	v_and_b32_e32 v14, 8, v8
	v_cvt_f32_ubyte2_e32 v12, v1
	v_cvt_f32_ubyte1_e32 v13, v1
	v_cvt_f32_ubyte0_e32 v1, v1
	v_and_b32_e32 v15, 4, v8
	v_cvt_f32_ubyte0_e32 v18, v2
	v_cvt_f32_ubyte1_e32 v21, v2
	v_cvt_f32_ubyte2_e32 v22, v2
	v_cvt_f32_ubyte3_e32 v2, v2
	v_mul_f32_e32 v11, v5, v11
	v_cmp_eq_u16_e32 vcc_lo, 0, v14
	v_and_b32_e32 v16, 2, v8
	v_mul_f32_e32 v1, v5, v1
	v_mul_f32_e32 v13, v5, v13
	;; [unrolled: 1-line block ×7, first 2 shown]
	v_cndmask_b32_e64 v5, -v11, v11, vcc_lo
	v_cmp_eq_u16_e32 vcc_lo, 0, v15
	v_and_b32_e32 v17, 1, v8
	v_and_b32_e32 v19, 16, v8
	;; [unrolled: 1-line block ×3, first 2 shown]
	v_cmp_lt_i16_sdwa s0, sext(v8), v6 src0_sel:BYTE_0 src1_sel:DWORD
	v_cndmask_b32_e64 v11, -v12, v12, vcc_lo
	v_cmp_eq_u16_e32 vcc_lo, 0, v16
	v_bfe_u32 v16, v5, 16, 1
	v_cndmask_b32_e64 v2, v2, -v2, s0
	v_bfe_u32 v15, v11, 16, 1
	v_cndmask_b32_e64 v12, -v13, v13, vcc_lo
	v_cmp_eq_u16_e32 vcc_lo, 0, v17
	v_add3_u32 v16, v5, v16, 0x7fff
	v_add3_u32 v15, v11, v15, 0x7fff
	v_bfe_u32 v8, v12, 16, 1
	v_cndmask_b32_e64 v1, -v1, v1, vcc_lo
	v_cmp_eq_u16_e32 vcc_lo, 0, v19
	v_bfe_u32 v19, v2, 16, 1
	v_lshrrev_b32_e32 v15, 16, v15
	v_add3_u32 v8, v12, v8, 0x7fff
	v_bfe_u32 v6, v1, 16, 1
	v_cndmask_b32_e64 v13, -v18, v18, vcc_lo
	v_cmp_eq_u16_e32 vcc_lo, 0, v20
	v_lshrrev_b32_e32 v16, 16, v16
	v_lshrrev_b32_e32 v8, 16, v8
	v_add3_u32 v6, v1, v6, 0x7fff
	v_bfe_u32 v17, v13, 16, 1
	v_cndmask_b32_e64 v14, -v21, v21, vcc_lo
	v_cmp_gt_u32_e32 vcc_lo, 64, v4
	v_lshrrev_b32_e32 v6, 16, v6
	v_add3_u32 v17, v13, v17, 0x7fff
	v_cndmask_b32_e64 v4, -v22, v22, vcc_lo
	v_cmp_o_f32_e32 vcc_lo, v2, v2
	v_add3_u32 v2, v2, v19, 0x7fff
	v_lshrrev_b32_e32 v17, 16, v17
	v_and_b32_sdwa v18, v4, v9 dst_sel:DWORD dst_unused:UNUSED_PAD src0_sel:WORD_1 src1_sel:DWORD
	v_and_b32_sdwa v9, v14, v9 dst_sel:DWORD dst_unused:UNUSED_PAD src0_sel:WORD_1 src1_sel:DWORD
	v_cndmask_b32_sdwa v2, v10, v2, vcc_lo dst_sel:DWORD dst_unused:UNUSED_PAD src0_sel:DWORD src1_sel:WORD_1
	v_cmp_o_f32_e32 vcc_lo, v1, v1
	v_add3_u32 v18, v4, v18, 0x7fff
	v_add3_u32 v9, v14, v9, 0x7fff
	v_cndmask_b32_e32 v6, 0x7fc0, v6, vcc_lo
	v_cmp_o_f32_e32 vcc_lo, v12, v12
	v_lshrrev_b32_e32 v18, 16, v18
	v_lshrrev_b32_e32 v9, 16, v9
	v_cndmask_b32_e32 v8, 0x7fc0, v8, vcc_lo
	v_cmp_o_f32_e32 vcc_lo, v11, v11
	v_cndmask_b32_e32 v1, 0x7fc0, v15, vcc_lo
	v_cmp_o_f32_e32 vcc_lo, v5, v5
	;; [unrolled: 2-line block ×3, first 2 shown]
	v_perm_b32 v1, v10, v1, 0x5040100
	v_cndmask_b32_e32 v11, 0x7fc0, v17, vcc_lo
	v_cmp_o_f32_e32 vcc_lo, v14, v14
	v_cndmask_b32_e32 v9, 0x7fc0, v9, vcc_lo
	v_cmp_o_f32_e32 vcc_lo, v4, v4
	v_cndmask_b32_e32 v12, 0x7fc0, v18, vcc_lo
	v_add_co_u32 v4, vcc_lo, v3, v0
	v_add_co_ci_u32_e64 v5, null, 0, v7, vcc_lo
	v_perm_b32 v0, v8, v6, 0x5040100
	v_perm_b32 v3, v2, v12, 0x5040100
	;; [unrolled: 1-line block ×3, first 2 shown]
	global_store_dwordx4 v[4:5], v[0:3], off
	s_endpgm
	.section	.rodata,"a",@progbits
	.p2align	6, 0x0
	.amdhsa_kernel _ZL24dequantize_block_iq2_xxsIN3c108BFloat16EEvPKvPT_
		.amdhsa_group_segment_fixed_size 0
		.amdhsa_private_segment_fixed_size 0
		.amdhsa_kernarg_size 16
		.amdhsa_user_sgpr_count 6
		.amdhsa_user_sgpr_private_segment_buffer 1
		.amdhsa_user_sgpr_dispatch_ptr 0
		.amdhsa_user_sgpr_queue_ptr 0
		.amdhsa_user_sgpr_kernarg_segment_ptr 1
		.amdhsa_user_sgpr_dispatch_id 0
		.amdhsa_user_sgpr_flat_scratch_init 0
		.amdhsa_user_sgpr_private_segment_size 0
		.amdhsa_wavefront_size32 1
		.amdhsa_uses_dynamic_stack 0
		.amdhsa_system_sgpr_private_segment_wavefront_offset 0
		.amdhsa_system_sgpr_workgroup_id_x 1
		.amdhsa_system_sgpr_workgroup_id_y 0
		.amdhsa_system_sgpr_workgroup_id_z 0
		.amdhsa_system_sgpr_workgroup_info 0
		.amdhsa_system_vgpr_workitem_id 0
		.amdhsa_next_free_vgpr 23
		.amdhsa_next_free_sgpr 8
		.amdhsa_reserve_vcc 1
		.amdhsa_reserve_flat_scratch 0
		.amdhsa_float_round_mode_32 0
		.amdhsa_float_round_mode_16_64 0
		.amdhsa_float_denorm_mode_32 3
		.amdhsa_float_denorm_mode_16_64 3
		.amdhsa_dx10_clamp 1
		.amdhsa_ieee_mode 1
		.amdhsa_fp16_overflow 0
		.amdhsa_workgroup_processor_mode 1
		.amdhsa_memory_ordered 1
		.amdhsa_forward_progress 1
		.amdhsa_shared_vgpr_count 0
		.amdhsa_exception_fp_ieee_invalid_op 0
		.amdhsa_exception_fp_denorm_src 0
		.amdhsa_exception_fp_ieee_div_zero 0
		.amdhsa_exception_fp_ieee_overflow 0
		.amdhsa_exception_fp_ieee_underflow 0
		.amdhsa_exception_fp_ieee_inexact 0
		.amdhsa_exception_int_div_zero 0
	.end_amdhsa_kernel
	.section	.text._ZL24dequantize_block_iq2_xxsIN3c108BFloat16EEvPKvPT_,"axG",@progbits,_ZL24dequantize_block_iq2_xxsIN3c108BFloat16EEvPKvPT_,comdat
.Lfunc_end48:
	.size	_ZL24dequantize_block_iq2_xxsIN3c108BFloat16EEvPKvPT_, .Lfunc_end48-_ZL24dequantize_block_iq2_xxsIN3c108BFloat16EEvPKvPT_
                                        ; -- End function
	.set _ZL24dequantize_block_iq2_xxsIN3c108BFloat16EEvPKvPT_.num_vgpr, 23
	.set _ZL24dequantize_block_iq2_xxsIN3c108BFloat16EEvPKvPT_.num_agpr, 0
	.set _ZL24dequantize_block_iq2_xxsIN3c108BFloat16EEvPKvPT_.numbered_sgpr, 8
	.set _ZL24dequantize_block_iq2_xxsIN3c108BFloat16EEvPKvPT_.num_named_barrier, 0
	.set _ZL24dequantize_block_iq2_xxsIN3c108BFloat16EEvPKvPT_.private_seg_size, 0
	.set _ZL24dequantize_block_iq2_xxsIN3c108BFloat16EEvPKvPT_.uses_vcc, 1
	.set _ZL24dequantize_block_iq2_xxsIN3c108BFloat16EEvPKvPT_.uses_flat_scratch, 0
	.set _ZL24dequantize_block_iq2_xxsIN3c108BFloat16EEvPKvPT_.has_dyn_sized_stack, 0
	.set _ZL24dequantize_block_iq2_xxsIN3c108BFloat16EEvPKvPT_.has_recursion, 0
	.set _ZL24dequantize_block_iq2_xxsIN3c108BFloat16EEvPKvPT_.has_indirect_call, 0
	.section	.AMDGPU.csdata,"",@progbits
; Kernel info:
; codeLenInByte = 840
; TotalNumSgprs: 10
; NumVgprs: 23
; ScratchSize: 0
; MemoryBound: 0
; FloatMode: 240
; IeeeMode: 1
; LDSByteSize: 0 bytes/workgroup (compile time only)
; SGPRBlocks: 0
; VGPRBlocks: 2
; NumSGPRsForWavesPerEU: 10
; NumVGPRsForWavesPerEU: 23
; Occupancy: 16
; WaveLimiterHint : 0
; COMPUTE_PGM_RSRC2:SCRATCH_EN: 0
; COMPUTE_PGM_RSRC2:USER_SGPR: 6
; COMPUTE_PGM_RSRC2:TRAP_HANDLER: 0
; COMPUTE_PGM_RSRC2:TGID_X_EN: 1
; COMPUTE_PGM_RSRC2:TGID_Y_EN: 0
; COMPUTE_PGM_RSRC2:TGID_Z_EN: 0
; COMPUTE_PGM_RSRC2:TIDIG_COMP_CNT: 0
	.section	.text._ZL23dequantize_block_iq2_xsIN3c108BFloat16EEvPKvPT_,"axG",@progbits,_ZL23dequantize_block_iq2_xsIN3c108BFloat16EEvPKvPT_,comdat
	.globl	_ZL23dequantize_block_iq2_xsIN3c108BFloat16EEvPKvPT_ ; -- Begin function _ZL23dequantize_block_iq2_xsIN3c108BFloat16EEvPKvPT_
	.p2align	8
	.type	_ZL23dequantize_block_iq2_xsIN3c108BFloat16EEvPKvPT_,@function
_ZL23dequantize_block_iq2_xsIN3c108BFloat16EEvPKvPT_: ; @_ZL23dequantize_block_iq2_xsIN3c108BFloat16EEvPKvPT_
; %bb.0:
	s_load_dwordx4 s[0:3], s[4:5], 0x0
	v_and_b32_e32 v5, 7, v0
	s_mov_b32 s5, 0
	s_lshl_b32 s4, s6, 8
	v_lshrrev_b32_e32 v6, 2, v0
	s_lshl_b64 s[4:5], s[4:5], 1
	v_lshlrev_b32_e32 v1, 3, v5
	s_mul_hi_u32 s7, s6, 0x4a
	s_mulk_i32 s6, 0x4a
	v_and_b32_e32 v2, 0xfe, v6
	v_mov_b32_e32 v8, 0
	v_and_b32_e32 v0, 0x3f8, v0
	v_lshlrev_b32_e32 v0, 1, v0
	s_waitcnt lgkmcnt(0)
	s_add_u32 s4, s2, s4
	s_addc_u32 s5, s3, s5
	s_add_u32 s0, s0, s6
	s_addc_u32 s1, s1, s7
	v_add_co_u32 v1, s2, s0, v1
	v_add_co_ci_u32_e64 v3, null, s1, 0, s2
	v_add_co_u32 v1, vcc_lo, v1, v2
	v_add_co_ci_u32_e64 v2, null, 0, v3, vcc_lo
	s_clause 0x2
	global_load_ushort v7, v[1:2], off offset:2
	global_load_ushort v9, v8, s[0:1]
	global_load_ubyte v10, v5, s[0:1] offset:66
	v_mov_b32_e32 v1, 3
	s_getpc_b64 s[0:1]
	s_add_u32 s0, s0, _ZL10iq2xs_grid@rel32@lo+4
	s_addc_u32 s1, s1, _ZL10iq2xs_grid@rel32@hi+12
	s_getpc_b64 s[2:3]
	s_add_u32 s2, s2, _ZL12ksigns_iq2xs@rel32@lo+4
	s_addc_u32 s3, s3, _ZL12ksigns_iq2xs@rel32@hi+12
	v_lshlrev_b32_e32 v5, 6, v5
	s_waitcnt vmcnt(2)
	v_and_b32_e32 v2, 0x1ff, v7
	v_lshrrev_b16 v3, 9, v7
	v_lshlrev_b32_sdwa v1, v1, v2 dst_sel:DWORD dst_unused:UNUSED_PAD src0_sel:DWORD src1_sel:WORD_0
	v_and_b32_e32 v3, 0xffff, v3
	global_load_dwordx2 v[1:2], v1, s[0:1]
	v_add_co_u32 v3, s0, s2, v3
	v_add_co_ci_u32_e64 v4, null, s3, 0, s0
	v_add_co_u32 v5, s0, s4, v5
	global_load_ubyte v3, v[3:4], off
	v_and_b32_e32 v4, 0xfc, v6
	s_waitcnt vmcnt(3)
	v_cvt_f32_f16_e32 v6, v9
	v_mov_b32_e32 v9, 1
	s_waitcnt vmcnt(2)
	v_bfe_u32 v4, v10, v4, 4
	v_mov_b32_e32 v10, 0x7fc0
	v_cvt_f32_ubyte0_e32 v4, v4
	v_add_f32_e32 v4, 0.5, v4
	v_mul_f32_e32 v4, v4, v6
	v_add_co_ci_u32_e64 v6, null, s5, 0, s0
	v_mul_f32_e32 v4, 0x3e800000, v4
	s_waitcnt vmcnt(1)
	v_cvt_f32_ubyte3_e32 v11, v1
	v_cvt_f32_ubyte2_e32 v12, v1
	v_cvt_f32_ubyte1_e32 v13, v1
	v_cvt_f32_ubyte0_e32 v1, v1
	v_cvt_f32_ubyte0_e32 v14, v2
	v_cvt_f32_ubyte1_e32 v15, v2
	v_cvt_f32_ubyte2_e32 v16, v2
	v_cvt_f32_ubyte3_e32 v2, v2
	s_waitcnt vmcnt(0)
	v_and_b32_e32 v17, 8, v3
	v_mul_f32_e32 v11, v4, v11
	v_and_b32_e32 v18, 4, v3
	v_mul_f32_e32 v1, v4, v1
	v_mul_f32_e32 v13, v4, v13
	v_cmp_eq_u16_e32 vcc_lo, 0, v17
	v_mul_f32_e32 v12, v4, v12
	v_and_b32_e32 v19, 2, v3
	v_mul_f32_e32 v14, v4, v14
	v_mul_f32_e32 v15, v4, v15
	;; [unrolled: 1-line block ×4, first 2 shown]
	v_cndmask_b32_e64 v4, -v11, v11, vcc_lo
	v_cmp_eq_u16_e32 vcc_lo, 0, v18
	v_and_b32_e32 v20, 1, v3
	v_and_b32_e32 v21, 16, v3
	;; [unrolled: 1-line block ×3, first 2 shown]
	v_cmp_lt_i16_sdwa s0, sext(v3), v8 src0_sel:BYTE_0 src1_sel:DWORD
	v_cndmask_b32_e64 v11, -v12, v12, vcc_lo
	v_cmp_eq_u16_e32 vcc_lo, 0, v19
	v_cndmask_b32_e64 v2, v2, -v2, s0
	v_cndmask_b32_e64 v12, -v13, v13, vcc_lo
	v_cmp_eq_u16_e32 vcc_lo, 0, v20
	v_bfe_u32 v19, v2, 16, 1
	v_bfe_u32 v8, v12, 16, 1
	v_cndmask_b32_e64 v1, -v1, v1, vcc_lo
	v_cmp_eq_u16_e32 vcc_lo, 0, v21
	v_add3_u32 v8, v12, v8, 0x7fff
	v_bfe_u32 v3, v1, 16, 1
	v_cndmask_b32_e64 v13, -v14, v14, vcc_lo
	v_cmp_eq_u16_e32 vcc_lo, 0, v22
	v_lshrrev_b32_e32 v8, 16, v8
	v_add3_u32 v3, v1, v3, 0x7fff
	v_bfe_u32 v17, v13, 16, 1
	v_cndmask_b32_e64 v14, -v15, v15, vcc_lo
	v_cmp_gt_i16_e32 vcc_lo, 0, v7
	v_bfe_u32 v15, v11, 16, 1
	v_lshrrev_b32_e32 v3, 16, v3
	v_add3_u32 v17, v13, v17, 0x7fff
	v_cndmask_b32_e64 v7, v16, -v16, vcc_lo
	v_cmp_o_f32_e32 vcc_lo, v2, v2
	v_add3_u32 v2, v2, v19, 0x7fff
	v_bfe_u32 v16, v4, 16, 1
	v_add3_u32 v15, v11, v15, 0x7fff
	v_and_b32_sdwa v18, v7, v9 dst_sel:DWORD dst_unused:UNUSED_PAD src0_sel:WORD_1 src1_sel:DWORD
	v_and_b32_sdwa v9, v14, v9 dst_sel:DWORD dst_unused:UNUSED_PAD src0_sel:WORD_1 src1_sel:DWORD
	v_cndmask_b32_sdwa v2, v10, v2, vcc_lo dst_sel:DWORD dst_unused:UNUSED_PAD src0_sel:DWORD src1_sel:WORD_1
	v_cmp_o_f32_e32 vcc_lo, v1, v1
	v_add3_u32 v16, v4, v16, 0x7fff
	v_lshrrev_b32_e32 v15, 16, v15
	v_add3_u32 v9, v14, v9, 0x7fff
	v_lshrrev_b32_e32 v17, 16, v17
	v_cndmask_b32_e32 v3, 0x7fc0, v3, vcc_lo
	v_cmp_o_f32_e32 vcc_lo, v12, v12
	v_lshrrev_b32_e32 v16, 16, v16
	v_add3_u32 v18, v7, v18, 0x7fff
	v_lshrrev_b32_e32 v9, 16, v9
	v_cndmask_b32_e32 v8, 0x7fc0, v8, vcc_lo
	v_cmp_o_f32_e32 vcc_lo, v11, v11
	v_lshrrev_b32_e32 v18, 16, v18
	v_cndmask_b32_e32 v1, 0x7fc0, v15, vcc_lo
	v_cmp_o_f32_e32 vcc_lo, v4, v4
	v_cndmask_b32_e32 v10, 0x7fc0, v16, vcc_lo
	v_cmp_o_f32_e32 vcc_lo, v13, v13
	v_perm_b32 v1, v10, v1, 0x5040100
	v_cndmask_b32_e32 v11, 0x7fc0, v17, vcc_lo
	v_cmp_o_f32_e32 vcc_lo, v14, v14
	v_cndmask_b32_e32 v9, 0x7fc0, v9, vcc_lo
	v_cmp_o_f32_e32 vcc_lo, v7, v7
	v_cndmask_b32_e32 v7, 0x7fc0, v18, vcc_lo
	v_add_co_u32 v4, vcc_lo, v5, v0
	v_add_co_ci_u32_e64 v5, null, 0, v6, vcc_lo
	v_perm_b32 v0, v8, v3, 0x5040100
	v_perm_b32 v3, v2, v7, 0x5040100
	;; [unrolled: 1-line block ×3, first 2 shown]
	global_store_dwordx4 v[4:5], v[0:3], off
	s_endpgm
	.section	.rodata,"a",@progbits
	.p2align	6, 0x0
	.amdhsa_kernel _ZL23dequantize_block_iq2_xsIN3c108BFloat16EEvPKvPT_
		.amdhsa_group_segment_fixed_size 0
		.amdhsa_private_segment_fixed_size 0
		.amdhsa_kernarg_size 16
		.amdhsa_user_sgpr_count 6
		.amdhsa_user_sgpr_private_segment_buffer 1
		.amdhsa_user_sgpr_dispatch_ptr 0
		.amdhsa_user_sgpr_queue_ptr 0
		.amdhsa_user_sgpr_kernarg_segment_ptr 1
		.amdhsa_user_sgpr_dispatch_id 0
		.amdhsa_user_sgpr_flat_scratch_init 0
		.amdhsa_user_sgpr_private_segment_size 0
		.amdhsa_wavefront_size32 1
		.amdhsa_uses_dynamic_stack 0
		.amdhsa_system_sgpr_private_segment_wavefront_offset 0
		.amdhsa_system_sgpr_workgroup_id_x 1
		.amdhsa_system_sgpr_workgroup_id_y 0
		.amdhsa_system_sgpr_workgroup_id_z 0
		.amdhsa_system_sgpr_workgroup_info 0
		.amdhsa_system_vgpr_workitem_id 0
		.amdhsa_next_free_vgpr 23
		.amdhsa_next_free_sgpr 8
		.amdhsa_reserve_vcc 1
		.amdhsa_reserve_flat_scratch 0
		.amdhsa_float_round_mode_32 0
		.amdhsa_float_round_mode_16_64 0
		.amdhsa_float_denorm_mode_32 3
		.amdhsa_float_denorm_mode_16_64 3
		.amdhsa_dx10_clamp 1
		.amdhsa_ieee_mode 1
		.amdhsa_fp16_overflow 0
		.amdhsa_workgroup_processor_mode 1
		.amdhsa_memory_ordered 1
		.amdhsa_forward_progress 1
		.amdhsa_shared_vgpr_count 0
		.amdhsa_exception_fp_ieee_invalid_op 0
		.amdhsa_exception_fp_denorm_src 0
		.amdhsa_exception_fp_ieee_div_zero 0
		.amdhsa_exception_fp_ieee_overflow 0
		.amdhsa_exception_fp_ieee_underflow 0
		.amdhsa_exception_fp_ieee_inexact 0
		.amdhsa_exception_int_div_zero 0
	.end_amdhsa_kernel
	.section	.text._ZL23dequantize_block_iq2_xsIN3c108BFloat16EEvPKvPT_,"axG",@progbits,_ZL23dequantize_block_iq2_xsIN3c108BFloat16EEvPKvPT_,comdat
.Lfunc_end49:
	.size	_ZL23dequantize_block_iq2_xsIN3c108BFloat16EEvPKvPT_, .Lfunc_end49-_ZL23dequantize_block_iq2_xsIN3c108BFloat16EEvPKvPT_
                                        ; -- End function
	.set _ZL23dequantize_block_iq2_xsIN3c108BFloat16EEvPKvPT_.num_vgpr, 23
	.set _ZL23dequantize_block_iq2_xsIN3c108BFloat16EEvPKvPT_.num_agpr, 0
	.set _ZL23dequantize_block_iq2_xsIN3c108BFloat16EEvPKvPT_.numbered_sgpr, 8
	.set _ZL23dequantize_block_iq2_xsIN3c108BFloat16EEvPKvPT_.num_named_barrier, 0
	.set _ZL23dequantize_block_iq2_xsIN3c108BFloat16EEvPKvPT_.private_seg_size, 0
	.set _ZL23dequantize_block_iq2_xsIN3c108BFloat16EEvPKvPT_.uses_vcc, 1
	.set _ZL23dequantize_block_iq2_xsIN3c108BFloat16EEvPKvPT_.uses_flat_scratch, 0
	.set _ZL23dequantize_block_iq2_xsIN3c108BFloat16EEvPKvPT_.has_dyn_sized_stack, 0
	.set _ZL23dequantize_block_iq2_xsIN3c108BFloat16EEvPKvPT_.has_recursion, 0
	.set _ZL23dequantize_block_iq2_xsIN3c108BFloat16EEvPKvPT_.has_indirect_call, 0
	.section	.AMDGPU.csdata,"",@progbits
; Kernel info:
; codeLenInByte = 896
; TotalNumSgprs: 10
; NumVgprs: 23
; ScratchSize: 0
; MemoryBound: 0
; FloatMode: 240
; IeeeMode: 1
; LDSByteSize: 0 bytes/workgroup (compile time only)
; SGPRBlocks: 0
; VGPRBlocks: 2
; NumSGPRsForWavesPerEU: 10
; NumVGPRsForWavesPerEU: 23
; Occupancy: 16
; WaveLimiterHint : 0
; COMPUTE_PGM_RSRC2:SCRATCH_EN: 0
; COMPUTE_PGM_RSRC2:USER_SGPR: 6
; COMPUTE_PGM_RSRC2:TRAP_HANDLER: 0
; COMPUTE_PGM_RSRC2:TGID_X_EN: 1
; COMPUTE_PGM_RSRC2:TGID_Y_EN: 0
; COMPUTE_PGM_RSRC2:TGID_Z_EN: 0
; COMPUTE_PGM_RSRC2:TIDIG_COMP_CNT: 0
	.section	.text._ZL24dequantize_block_iq3_xxsIN3c108BFloat16EEvPKvPT_,"axG",@progbits,_ZL24dequantize_block_iq3_xxsIN3c108BFloat16EEvPKvPT_,comdat
	.globl	_ZL24dequantize_block_iq3_xxsIN3c108BFloat16EEvPKvPT_ ; -- Begin function _ZL24dequantize_block_iq3_xxsIN3c108BFloat16EEvPKvPT_
	.p2align	8
	.type	_ZL24dequantize_block_iq3_xxsIN3c108BFloat16EEvPKvPT_,@function
_ZL24dequantize_block_iq3_xxsIN3c108BFloat16EEvPKvPT_: ; @_ZL24dequantize_block_iq3_xxsIN3c108BFloat16EEvPKvPT_
; %bb.0:
	s_load_dwordx4 s[0:3], s[4:5], 0x0
	v_and_b32_e32 v4, 7, v0
	s_mov_b32 s5, 0
	s_lshl_b32 s4, s6, 8
	v_lshrrev_b32_e32 v5, 3, v0
	s_lshl_b64 s[4:5], s[4:5], 1
	v_lshlrev_b32_e32 v1, 3, v4
	s_mul_hi_u32 s7, s6, 0x62
	s_mulk_i32 s6, 0x62
	v_lshlrev_b32_e32 v2, 1, v5
	v_mov_b32_e32 v3, 0
	v_lshlrev_b32_e32 v7, 2, v4
	v_mov_b32_e32 v8, 2
	;; [unrolled: 2-line block ×3, first 2 shown]
	v_and_b32_e32 v0, 0x3f8, v0
	v_lshlrev_b32_e32 v0, 1, v0
	s_waitcnt lgkmcnt(0)
	s_add_u32 s4, s2, s4
	s_addc_u32 s5, s3, s5
	s_add_u32 s0, s0, s6
	s_addc_u32 s1, s1, s7
	v_add_co_u32 v1, s2, s0, v1
	v_add_co_ci_u32_e64 v6, null, s1, 0, s2
	v_add_co_u32 v1, vcc_lo, v1, v2
	v_add_co_ci_u32_e64 v2, null, 0, v6, vcc_lo
	s_clause 0x2
	global_load_ushort v6, v3, s[0:1]
	global_load_dword v7, v7, s[0:1] offset:66
	global_load_ushort v1, v[1:2], off offset:2
	v_mul_u32_u24_e32 v2, 7, v5
	v_mov_b32_e32 v5, 0xffff
	s_getpc_b64 s[0:1]
	s_add_u32 s0, s0, _ZL12ksigns_iq2xs@rel32@lo+4
	s_addc_u32 s1, s1, _ZL12ksigns_iq2xs@rel32@hi+12
	s_getpc_b64 s[2:3]
	s_add_u32 s2, s2, _ZL11iq3xxs_grid@rel32@lo+4
	s_addc_u32 s3, s3, _ZL11iq3xxs_grid@rel32@hi+12
	s_waitcnt vmcnt(2)
	v_cvt_f32_f16_e32 v6, v6
	s_waitcnt vmcnt(1)
	v_bfe_u32 v2, v7, v2, 7
	s_waitcnt vmcnt(0)
	v_and_b32_sdwa v5, v5, v1 dst_sel:DWORD dst_unused:UNUSED_PAD src0_sel:DWORD src1_sel:BYTE_1
	v_lshlrev_b32_sdwa v1, v8, v1 dst_sel:DWORD dst_unused:UNUSED_PAD src0_sel:DWORD src1_sel:BYTE_0
	v_lshrrev_b32_e32 v7, 28, v7
	v_mov_b32_e32 v8, 1
	global_load_ubyte v9, v2, s[0:1]
	v_lshlrev_b32_e32 v5, 2, v5
	v_add_co_u32 v4, s0, s4, v4
	v_cvt_f32_ubyte0_e32 v7, v7
	s_clause 0x1
	global_load_dword v5, v5, s[2:3]
	global_load_dword v1, v1, s[2:3]
	v_add_f32_e32 v7, 0.5, v7
	v_mul_f32_e32 v6, v7, v6
	v_add_co_ci_u32_e64 v7, null, s5, 0, s0
	v_mul_f32_e32 v6, 0.5, v6
	s_waitcnt vmcnt(2)
	v_and_b32_e32 v11, 16, v9
	v_and_b32_e32 v12, 32, v9
	;; [unrolled: 1-line block ×5, first 2 shown]
	s_waitcnt vmcnt(1)
	v_cvt_f32_ubyte0_e32 v17, v5
	v_cvt_f32_ubyte1_e32 v18, v5
	v_cvt_f32_ubyte2_e32 v19, v5
	s_waitcnt vmcnt(0)
	v_cvt_f32_ubyte3_e32 v20, v1
	v_cvt_f32_ubyte2_e32 v21, v1
	v_cvt_f32_ubyte1_e32 v22, v1
	v_cvt_f32_ubyte0_e32 v1, v1
	v_cvt_f32_ubyte3_e32 v5, v5
	v_mul_f32_e32 v17, v6, v17
	v_cmp_eq_u16_e32 vcc_lo, 0, v11
	v_mul_f32_e32 v19, v6, v19
	v_mul_f32_e32 v18, v6, v18
	;; [unrolled: 1-line block ×7, first 2 shown]
	v_cndmask_b32_e64 v6, -v17, v17, vcc_lo
	v_cmp_eq_u16_e32 vcc_lo, 0, v12
	v_cmp_lt_i16_sdwa s0, sext(v9), v3 src0_sel:BYTE_0 src1_sel:DWORD
	v_and_b32_e32 v16, 1, v9
	v_cndmask_b32_e64 v11, -v18, v18, vcc_lo
	v_cmp_gt_u32_e32 vcc_lo, 64, v2
	v_cndmask_b32_e64 v3, v5, -v5, s0
	v_bfe_u32 v5, v6, 16, 1
	v_cndmask_b32_e64 v2, -v19, v19, vcc_lo
	v_cmp_eq_u16_e32 vcc_lo, 0, v13
	v_bfe_u32 v19, v3, 16, 1
	v_add3_u32 v5, v6, v5, 0x7fff
	v_and_b32_sdwa v9, v2, v8 dst_sel:DWORD dst_unused:UNUSED_PAD src0_sel:WORD_1 src1_sel:DWORD
	v_cndmask_b32_e64 v12, -v20, v20, vcc_lo
	v_cmp_eq_u16_e32 vcc_lo, 0, v14
	v_and_b32_sdwa v8, v11, v8 dst_sel:DWORD dst_unused:UNUSED_PAD src0_sel:WORD_1 src1_sel:DWORD
	v_lshrrev_b32_e32 v5, 16, v5
	v_add3_u32 v9, v2, v9, 0x7fff
	v_bfe_u32 v18, v12, 16, 1
	v_cndmask_b32_e64 v13, -v21, v21, vcc_lo
	v_cmp_eq_u16_e32 vcc_lo, 0, v15
	v_add3_u32 v8, v11, v8, 0x7fff
	v_lshrrev_b32_e32 v9, 16, v9
	v_add3_u32 v18, v12, v18, 0x7fff
	v_bfe_u32 v17, v13, 16, 1
	v_cndmask_b32_e64 v14, -v22, v22, vcc_lo
	v_cmp_eq_u16_e32 vcc_lo, 0, v16
	v_lshrrev_b32_e32 v8, 16, v8
	v_lshrrev_b32_e32 v18, 16, v18
	v_add3_u32 v17, v13, v17, 0x7fff
	v_bfe_u32 v16, v14, 16, 1
	v_cndmask_b32_e64 v1, -v1, v1, vcc_lo
	v_cmp_o_f32_e32 vcc_lo, v3, v3
	v_add3_u32 v3, v3, v19, 0x7fff
	v_lshrrev_b32_e32 v17, 16, v17
	v_add3_u32 v16, v14, v16, 0x7fff
	v_bfe_u32 v15, v1, 16, 1
	v_cndmask_b32_sdwa v3, v10, v3, vcc_lo dst_sel:DWORD dst_unused:UNUSED_PAD src0_sel:DWORD src1_sel:WORD_1
	v_cmp_o_f32_e32 vcc_lo, v6, v6
	v_lshrrev_b32_e32 v16, 16, v16
	v_add3_u32 v15, v1, v15, 0x7fff
	v_cndmask_b32_e32 v6, 0x7fc0, v5, vcc_lo
	v_cmp_o_f32_e32 vcc_lo, v11, v11
	v_lshrrev_b32_e32 v15, 16, v15
	v_cndmask_b32_e32 v8, 0x7fc0, v8, vcc_lo
	v_cmp_o_f32_e32 vcc_lo, v2, v2
	v_cndmask_b32_e32 v2, 0x7fc0, v9, vcc_lo
	v_cmp_o_f32_e32 vcc_lo, v1, v1
	v_perm_b32 v3, v3, v2, 0x5040100
	v_cndmask_b32_e32 v9, 0x7fc0, v15, vcc_lo
	v_cmp_o_f32_e32 vcc_lo, v14, v14
	v_perm_b32 v2, v8, v6, 0x5040100
	v_cndmask_b32_e32 v10, 0x7fc0, v16, vcc_lo
	v_cmp_o_f32_e32 vcc_lo, v13, v13
	v_cndmask_b32_e32 v1, 0x7fc0, v17, vcc_lo
	v_cmp_o_f32_e32 vcc_lo, v12, v12
	v_cndmask_b32_e32 v11, 0x7fc0, v18, vcc_lo
	v_add_co_u32 v4, vcc_lo, v4, v0
	v_add_co_ci_u32_e64 v5, null, 0, v7, vcc_lo
	v_perm_b32 v1, v11, v1, 0x5040100
	v_perm_b32 v0, v10, v9, 0x5040100
	global_store_dwordx4 v[4:5], v[0:3], off
	s_endpgm
	.section	.rodata,"a",@progbits
	.p2align	6, 0x0
	.amdhsa_kernel _ZL24dequantize_block_iq3_xxsIN3c108BFloat16EEvPKvPT_
		.amdhsa_group_segment_fixed_size 0
		.amdhsa_private_segment_fixed_size 0
		.amdhsa_kernarg_size 16
		.amdhsa_user_sgpr_count 6
		.amdhsa_user_sgpr_private_segment_buffer 1
		.amdhsa_user_sgpr_dispatch_ptr 0
		.amdhsa_user_sgpr_queue_ptr 0
		.amdhsa_user_sgpr_kernarg_segment_ptr 1
		.amdhsa_user_sgpr_dispatch_id 0
		.amdhsa_user_sgpr_flat_scratch_init 0
		.amdhsa_user_sgpr_private_segment_size 0
		.amdhsa_wavefront_size32 1
		.amdhsa_uses_dynamic_stack 0
		.amdhsa_system_sgpr_private_segment_wavefront_offset 0
		.amdhsa_system_sgpr_workgroup_id_x 1
		.amdhsa_system_sgpr_workgroup_id_y 0
		.amdhsa_system_sgpr_workgroup_id_z 0
		.amdhsa_system_sgpr_workgroup_info 0
		.amdhsa_system_vgpr_workitem_id 0
		.amdhsa_next_free_vgpr 23
		.amdhsa_next_free_sgpr 8
		.amdhsa_reserve_vcc 1
		.amdhsa_reserve_flat_scratch 0
		.amdhsa_float_round_mode_32 0
		.amdhsa_float_round_mode_16_64 0
		.amdhsa_float_denorm_mode_32 3
		.amdhsa_float_denorm_mode_16_64 3
		.amdhsa_dx10_clamp 1
		.amdhsa_ieee_mode 1
		.amdhsa_fp16_overflow 0
		.amdhsa_workgroup_processor_mode 1
		.amdhsa_memory_ordered 1
		.amdhsa_forward_progress 1
		.amdhsa_shared_vgpr_count 0
		.amdhsa_exception_fp_ieee_invalid_op 0
		.amdhsa_exception_fp_denorm_src 0
		.amdhsa_exception_fp_ieee_div_zero 0
		.amdhsa_exception_fp_ieee_overflow 0
		.amdhsa_exception_fp_ieee_underflow 0
		.amdhsa_exception_fp_ieee_inexact 0
		.amdhsa_exception_int_div_zero 0
	.end_amdhsa_kernel
	.section	.text._ZL24dequantize_block_iq3_xxsIN3c108BFloat16EEvPKvPT_,"axG",@progbits,_ZL24dequantize_block_iq3_xxsIN3c108BFloat16EEvPKvPT_,comdat
.Lfunc_end50:
	.size	_ZL24dequantize_block_iq3_xxsIN3c108BFloat16EEvPKvPT_, .Lfunc_end50-_ZL24dequantize_block_iq3_xxsIN3c108BFloat16EEvPKvPT_
                                        ; -- End function
	.set _ZL24dequantize_block_iq3_xxsIN3c108BFloat16EEvPKvPT_.num_vgpr, 23
	.set _ZL24dequantize_block_iq3_xxsIN3c108BFloat16EEvPKvPT_.num_agpr, 0
	.set _ZL24dequantize_block_iq3_xxsIN3c108BFloat16EEvPKvPT_.numbered_sgpr, 8
	.set _ZL24dequantize_block_iq3_xxsIN3c108BFloat16EEvPKvPT_.num_named_barrier, 0
	.set _ZL24dequantize_block_iq3_xxsIN3c108BFloat16EEvPKvPT_.private_seg_size, 0
	.set _ZL24dequantize_block_iq3_xxsIN3c108BFloat16EEvPKvPT_.uses_vcc, 1
	.set _ZL24dequantize_block_iq3_xxsIN3c108BFloat16EEvPKvPT_.uses_flat_scratch, 0
	.set _ZL24dequantize_block_iq3_xxsIN3c108BFloat16EEvPKvPT_.has_dyn_sized_stack, 0
	.set _ZL24dequantize_block_iq3_xxsIN3c108BFloat16EEvPKvPT_.has_recursion, 0
	.set _ZL24dequantize_block_iq3_xxsIN3c108BFloat16EEvPKvPT_.has_indirect_call, 0
	.section	.AMDGPU.csdata,"",@progbits
; Kernel info:
; codeLenInByte = 888
; TotalNumSgprs: 10
; NumVgprs: 23
; ScratchSize: 0
; MemoryBound: 0
; FloatMode: 240
; IeeeMode: 1
; LDSByteSize: 0 bytes/workgroup (compile time only)
; SGPRBlocks: 0
; VGPRBlocks: 2
; NumSGPRsForWavesPerEU: 10
; NumVGPRsForWavesPerEU: 23
; Occupancy: 16
; WaveLimiterHint : 0
; COMPUTE_PGM_RSRC2:SCRATCH_EN: 0
; COMPUTE_PGM_RSRC2:USER_SGPR: 6
; COMPUTE_PGM_RSRC2:TRAP_HANDLER: 0
; COMPUTE_PGM_RSRC2:TGID_X_EN: 1
; COMPUTE_PGM_RSRC2:TGID_Y_EN: 0
; COMPUTE_PGM_RSRC2:TGID_Z_EN: 0
; COMPUTE_PGM_RSRC2:TIDIG_COMP_CNT: 0
	.section	.text._ZL22dequantize_block_iq1_sIN3c108BFloat16EEvPKvPT_,"axG",@progbits,_ZL22dequantize_block_iq1_sIN3c108BFloat16EEvPKvPT_,comdat
	.globl	_ZL22dequantize_block_iq1_sIN3c108BFloat16EEvPKvPT_ ; -- Begin function _ZL22dequantize_block_iq1_sIN3c108BFloat16EEvPKvPT_
	.p2align	8
	.type	_ZL22dequantize_block_iq1_sIN3c108BFloat16EEvPKvPT_,@function
_ZL22dequantize_block_iq1_sIN3c108BFloat16EEvPKvPT_: ; @_ZL22dequantize_block_iq1_sIN3c108BFloat16EEvPKvPT_
; %bb.0:
	s_load_dwordx4 s[0:3], s[4:5], 0x0
	v_and_b32_e32 v3, 7, v0
	s_mov_b32 s7, 0
	v_lshrrev_b32_e32 v4, 3, v0
	s_lshl_b64 s[4:5], s[6:7], 9
	s_mul_hi_u32 s7, s6, 50
	v_lshlrev_b32_e32 v1, 1, v3
	s_mul_i32 s6, s6, 50
	v_mov_b32_e32 v7, 1
	v_lshlrev_b32_e32 v3, 6, v3
	v_mov_b32_e32 v8, 0x7fc0
	v_and_b32_e32 v0, 0x3f8, v0
	v_lshlrev_b32_e32 v0, 1, v0
	s_waitcnt lgkmcnt(0)
	s_add_u32 s2, s2, s4
	s_addc_u32 s3, s3, s5
	s_add_u32 s0, s0, s6
	s_addc_u32 s1, s1, s7
	v_add_co_u32 v2, s4, s0, v1
	v_add_co_ci_u32_e64 v5, null, s1, 0, s4
	global_load_ushort v6, v1, s[0:1] offset:34
	v_add_co_u32 v1, vcc_lo, v2, v1
	v_add_co_ci_u32_e64 v2, null, 0, v5, vcc_lo
	v_mov_b32_e32 v5, 0xbf600000
	v_add_co_u32 v1, vcc_lo, v1, v4
	v_add_co_ci_u32_e64 v2, null, 0, v2, vcc_lo
	global_load_ubyte v1, v[1:2], off offset:2
	v_mul_u32_u24_e32 v2, 3, v4
	v_mov_b32_e32 v4, 0
	s_waitcnt vmcnt(1)
	v_lshrrev_b32_sdwa v2, v2, v6 dst_sel:DWORD dst_unused:UNUSED_PAD src0_sel:DWORD src1_sel:WORD_0
	v_cmp_lt_i16_e32 vcc_lo, -1, v6
	v_lshlrev_b32_e32 v2, 8, v2
	v_cndmask_b32_e32 v5, 0xbf900000, v5, vcc_lo
	s_waitcnt vmcnt(0)
	v_and_or_b32 v1, 0x700, v2, v1
	global_load_ushort v2, v4, s[0:1]
	s_getpc_b64 s[0:1]
	s_add_u32 s0, s0, _ZL13iq1s_grid_gpu@rel32@lo+4
	s_addc_u32 s1, s1, _ZL13iq1s_grid_gpu@rel32@hi+12
	v_lshrrev_b16 v4, 11, v6
	v_lshlrev_b32_e32 v1, 3, v1
	v_and_b32_e32 v4, 14, v4
	global_load_dword v1, v1, s[0:1]
	v_add_co_u32 v3, s0, s2, v3
	v_or_b32_e32 v4, 1, v4
	v_add_co_ci_u32_e64 v9, null, s3, 0, s0
	v_cvt_f32_ubyte0_e32 v4, v4
	s_waitcnt vmcnt(1)
	v_cvt_f32_f16_e32 v2, v2
	v_mul_f32_e32 v2, v2, v4
	s_waitcnt vmcnt(0)
	v_and_b32_e32 v4, 0xf0f0f0f, v1
	v_and_b32_e32 v6, 15, v1
	v_bfe_u32 v10, v1, 8, 4
	v_bfe_u32 v11, v1, 16, 4
	;; [unrolled: 1-line block ×4, first 2 shown]
	v_lshrrev_b32_e32 v14, 28, v1
	v_bfe_u32 v1, v1, 20, 4
	v_cvt_f32_ubyte0_e32 v6, v6
	v_cvt_f32_ubyte0_e32 v10, v10
	;; [unrolled: 1-line block ×3, first 2 shown]
	v_cvt_f32_ubyte3_e32 v4, v4
	v_cvt_f32_ubyte0_e32 v12, v12
	v_cvt_f32_ubyte0_e32 v13, v13
	;; [unrolled: 1-line block ×4, first 2 shown]
	v_add_f32_e32 v10, v5, v10
	v_add_f32_e32 v6, v5, v6
	;; [unrolled: 1-line block ×8, first 2 shown]
	v_mul_f32_e32 v5, v2, v6
	v_mul_f32_e32 v6, v2, v10
	;; [unrolled: 1-line block ×8, first 2 shown]
	v_and_b32_sdwa v13, v6, v7 dst_sel:DWORD dst_unused:UNUSED_PAD src0_sel:WORD_1 src1_sel:DWORD
	v_and_b32_sdwa v14, v5, v7 dst_sel:DWORD dst_unused:UNUSED_PAD src0_sel:WORD_1 src1_sel:DWORD
	v_and_b32_sdwa v15, v4, v7 dst_sel:DWORD dst_unused:UNUSED_PAD src0_sel:WORD_1 src1_sel:DWORD
	v_and_b32_sdwa v16, v10, v7 dst_sel:DWORD dst_unused:UNUSED_PAD src0_sel:WORD_1 src1_sel:DWORD
	v_and_b32_sdwa v17, v12, v7 dst_sel:DWORD dst_unused:UNUSED_PAD src0_sel:WORD_1 src1_sel:DWORD
	v_and_b32_sdwa v18, v11, v7 dst_sel:DWORD dst_unused:UNUSED_PAD src0_sel:WORD_1 src1_sel:DWORD
	v_and_b32_sdwa v19, v2, v7 dst_sel:DWORD dst_unused:UNUSED_PAD src0_sel:WORD_1 src1_sel:DWORD
	v_and_b32_sdwa v7, v1, v7 dst_sel:DWORD dst_unused:UNUSED_PAD src0_sel:WORD_1 src1_sel:DWORD
	v_cmp_o_f32_e32 vcc_lo, v1, v1
	v_cmp_o_f32_e64 s0, v2, v2
	v_add3_u32 v14, v5, v14, 0x7fff
	v_add3_u32 v2, v2, v19, 0x7fff
	v_add3_u32 v1, v1, v7, 0x7fff
	v_add3_u32 v13, v6, v13, 0x7fff
	v_add3_u32 v16, v10, v16, 0x7fff
	v_lshrrev_b32_e32 v7, 16, v14
	v_add3_u32 v15, v4, v15, 0x7fff
	v_cndmask_b32_sdwa v1, v8, v1, vcc_lo dst_sel:DWORD dst_unused:UNUSED_PAD src0_sel:DWORD src1_sel:WORD_1
	s_mov_b32 vcc_lo, s0
	v_lshrrev_b32_e32 v13, 16, v13
	v_cndmask_b32_sdwa v2, v8, v2, vcc_lo dst_sel:DWORD dst_unused:UNUSED_PAD src0_sel:DWORD src1_sel:WORD_1
	v_cmp_o_f32_e32 vcc_lo, v5, v5
	v_lshrrev_b32_e32 v14, 16, v16
	v_add3_u32 v18, v11, v18, 0x7fff
	v_lshrrev_b32_e32 v15, 16, v15
	v_add3_u32 v17, v12, v17, 0x7fff
	v_cndmask_b32_e32 v7, 0x7fc0, v7, vcc_lo
	v_cmp_o_f32_e32 vcc_lo, v6, v6
	v_lshrrev_b32_e32 v16, 16, v18
	v_lshrrev_b32_e32 v17, 16, v17
	v_cndmask_b32_e32 v6, 0x7fc0, v13, vcc_lo
	v_cmp_o_f32_e32 vcc_lo, v10, v10
	v_cndmask_b32_e32 v8, 0x7fc0, v14, vcc_lo
	v_cmp_o_f32_e32 vcc_lo, v4, v4
	;; [unrolled: 2-line block ×4, first 2 shown]
	v_cndmask_b32_e32 v12, 0x7fc0, v17, vcc_lo
	v_add_co_u32 v4, vcc_lo, v3, v0
	v_add_co_ci_u32_e64 v5, null, 0, v9, vcc_lo
	v_perm_b32 v3, v2, v1, 0x5040100
	v_perm_b32 v2, v12, v11, 0x5040100
	;; [unrolled: 1-line block ×4, first 2 shown]
	global_store_dwordx4 v[4:5], v[0:3], off
	s_endpgm
	.section	.rodata,"a",@progbits
	.p2align	6, 0x0
	.amdhsa_kernel _ZL22dequantize_block_iq1_sIN3c108BFloat16EEvPKvPT_
		.amdhsa_group_segment_fixed_size 0
		.amdhsa_private_segment_fixed_size 0
		.amdhsa_kernarg_size 16
		.amdhsa_user_sgpr_count 6
		.amdhsa_user_sgpr_private_segment_buffer 1
		.amdhsa_user_sgpr_dispatch_ptr 0
		.amdhsa_user_sgpr_queue_ptr 0
		.amdhsa_user_sgpr_kernarg_segment_ptr 1
		.amdhsa_user_sgpr_dispatch_id 0
		.amdhsa_user_sgpr_flat_scratch_init 0
		.amdhsa_user_sgpr_private_segment_size 0
		.amdhsa_wavefront_size32 1
		.amdhsa_uses_dynamic_stack 0
		.amdhsa_system_sgpr_private_segment_wavefront_offset 0
		.amdhsa_system_sgpr_workgroup_id_x 1
		.amdhsa_system_sgpr_workgroup_id_y 0
		.amdhsa_system_sgpr_workgroup_id_z 0
		.amdhsa_system_sgpr_workgroup_info 0
		.amdhsa_system_vgpr_workitem_id 0
		.amdhsa_next_free_vgpr 20
		.amdhsa_next_free_sgpr 8
		.amdhsa_reserve_vcc 1
		.amdhsa_reserve_flat_scratch 0
		.amdhsa_float_round_mode_32 0
		.amdhsa_float_round_mode_16_64 0
		.amdhsa_float_denorm_mode_32 3
		.amdhsa_float_denorm_mode_16_64 3
		.amdhsa_dx10_clamp 1
		.amdhsa_ieee_mode 1
		.amdhsa_fp16_overflow 0
		.amdhsa_workgroup_processor_mode 1
		.amdhsa_memory_ordered 1
		.amdhsa_forward_progress 1
		.amdhsa_shared_vgpr_count 0
		.amdhsa_exception_fp_ieee_invalid_op 0
		.amdhsa_exception_fp_denorm_src 0
		.amdhsa_exception_fp_ieee_div_zero 0
		.amdhsa_exception_fp_ieee_overflow 0
		.amdhsa_exception_fp_ieee_underflow 0
		.amdhsa_exception_fp_ieee_inexact 0
		.amdhsa_exception_int_div_zero 0
	.end_amdhsa_kernel
	.section	.text._ZL22dequantize_block_iq1_sIN3c108BFloat16EEvPKvPT_,"axG",@progbits,_ZL22dequantize_block_iq1_sIN3c108BFloat16EEvPKvPT_,comdat
.Lfunc_end51:
	.size	_ZL22dequantize_block_iq1_sIN3c108BFloat16EEvPKvPT_, .Lfunc_end51-_ZL22dequantize_block_iq1_sIN3c108BFloat16EEvPKvPT_
                                        ; -- End function
	.set _ZL22dequantize_block_iq1_sIN3c108BFloat16EEvPKvPT_.num_vgpr, 20
	.set _ZL22dequantize_block_iq1_sIN3c108BFloat16EEvPKvPT_.num_agpr, 0
	.set _ZL22dequantize_block_iq1_sIN3c108BFloat16EEvPKvPT_.numbered_sgpr, 8
	.set _ZL22dequantize_block_iq1_sIN3c108BFloat16EEvPKvPT_.num_named_barrier, 0
	.set _ZL22dequantize_block_iq1_sIN3c108BFloat16EEvPKvPT_.private_seg_size, 0
	.set _ZL22dequantize_block_iq1_sIN3c108BFloat16EEvPKvPT_.uses_vcc, 1
	.set _ZL22dequantize_block_iq1_sIN3c108BFloat16EEvPKvPT_.uses_flat_scratch, 0
	.set _ZL22dequantize_block_iq1_sIN3c108BFloat16EEvPKvPT_.has_dyn_sized_stack, 0
	.set _ZL22dequantize_block_iq1_sIN3c108BFloat16EEvPKvPT_.has_recursion, 0
	.set _ZL22dequantize_block_iq1_sIN3c108BFloat16EEvPKvPT_.has_indirect_call, 0
	.section	.AMDGPU.csdata,"",@progbits
; Kernel info:
; codeLenInByte = 816
; TotalNumSgprs: 10
; NumVgprs: 20
; ScratchSize: 0
; MemoryBound: 0
; FloatMode: 240
; IeeeMode: 1
; LDSByteSize: 0 bytes/workgroup (compile time only)
; SGPRBlocks: 0
; VGPRBlocks: 2
; NumSGPRsForWavesPerEU: 10
; NumVGPRsForWavesPerEU: 20
; Occupancy: 16
; WaveLimiterHint : 0
; COMPUTE_PGM_RSRC2:SCRATCH_EN: 0
; COMPUTE_PGM_RSRC2:USER_SGPR: 6
; COMPUTE_PGM_RSRC2:TRAP_HANDLER: 0
; COMPUTE_PGM_RSRC2:TGID_X_EN: 1
; COMPUTE_PGM_RSRC2:TGID_Y_EN: 0
; COMPUTE_PGM_RSRC2:TGID_Z_EN: 0
; COMPUTE_PGM_RSRC2:TIDIG_COMP_CNT: 0
	.section	.text._ZL23dequantize_block_iq4_nlIN3c108BFloat16EEvPKvPT_,"axG",@progbits,_ZL23dequantize_block_iq4_nlIN3c108BFloat16EEvPKvPT_,comdat
	.globl	_ZL23dequantize_block_iq4_nlIN3c108BFloat16EEvPKvPT_ ; -- Begin function _ZL23dequantize_block_iq4_nlIN3c108BFloat16EEvPKvPT_
	.p2align	8
	.type	_ZL23dequantize_block_iq4_nlIN3c108BFloat16EEvPKvPT_,@function
_ZL23dequantize_block_iq4_nlIN3c108BFloat16EEvPKvPT_: ; @_ZL23dequantize_block_iq4_nlIN3c108BFloat16EEvPKvPT_
; %bb.0:
	s_load_dwordx4 s[0:3], s[4:5], 0x0
	s_lshl_b32 s4, s6, 3
	s_mul_i32 s5, s6, 0x90
	v_and_b32_e32 v4, 7, v0
	s_mul_hi_u32 s4, s4, 18
	v_lshrrev_b32_e32 v2, 1, v0
	v_mov_b32_e32 v13, 0x7fc0
	v_and_b32_e32 v5, 0x1fc, v2
	s_waitcnt lgkmcnt(0)
	s_add_u32 s0, s0, s5
	s_addc_u32 s1, s1, s4
	v_mad_u64_u32 v[0:1], null, v4, 18, s[0:1]
	s_mov_b32 s1, 0
	s_lshl_b32 s0, s6, 8
	v_lshlrev_b32_e32 v4, 6, v4
	s_lshl_b64 s[0:1], s[0:1], 1
	s_add_u32 s2, s2, s0
	v_add_co_u32 v2, vcc_lo, v0, v5
	v_add_co_ci_u32_e64 v3, null, 0, v1, vcc_lo
	s_addc_u32 s3, s3, s1
	s_getpc_b64 s[0:1]
	s_add_u32 s0, s0, _ZL13kvalues_iq4nl@rel32@lo+4
	s_addc_u32 s1, s1, _ZL13kvalues_iq4nl@rel32@hi+12
	v_lshlrev_b32_e32 v5, 1, v5
	s_clause 0x1
	global_load_dword v2, v[2:3], off offset:2
	global_load_ushort v6, v[0:1], off
	s_waitcnt vmcnt(1)
	v_lshrrev_b16 v0, 4, v2
	v_lshrrev_b32_e32 v1, 8, v2
	v_and_b32_e32 v3, 15, v2
	v_lshrrev_b32_e32 v7, 24, v2
	v_bfe_u32 v8, v2, 8, 4
	v_and_b32_e32 v0, 15, v0
	v_lshrrev_b16 v1, 4, v1
	global_load_sbyte v9, v3, s[0:1]
	v_lshrrev_b16 v3, 4, v7
	v_bfe_u32 v10, v2, 16, 4
	v_and_b32_e32 v0, 0xffff, v0
	v_and_b32_e32 v7, 15, v1
	v_bfe_u32 v11, v2, 20, 4
	v_bfe_u32 v12, v2, 24, 4
	v_and_b32_e32 v3, 0xffff, v3
	v_add_co_u32 v0, s4, s0, v0
	v_add_co_ci_u32_e64 v1, null, s1, 0, s4
	v_and_b32_e32 v2, 0xffff, v7
	s_clause 0x1
	global_load_sbyte v7, v[0:1], off
	global_load_sbyte v8, v8, s[0:1]
	v_add_co_u32 v0, s4, s0, v2
	v_add_co_ci_u32_e64 v1, null, s1, 0, s4
	v_add_co_u32 v2, s4, s0, v3
	v_add_co_ci_u32_e64 v3, null, s1, 0, s4
	s_clause 0x4
	global_load_sbyte v0, v[0:1], off
	global_load_sbyte v1, v12, s[0:1]
	global_load_sbyte v10, v10, s[0:1]
	;; [unrolled: 1-line block ×3, first 2 shown]
	global_load_sbyte v2, v[2:3], off
	s_waitcnt vmcnt(8)
	v_cvt_f32_f16_e32 v3, v6
	v_add_co_u32 v4, s0, s2, v4
	v_add_co_ci_u32_e64 v14, null, s3, 0, s0
	s_waitcnt vmcnt(7)
	v_cvt_f32_i32_e32 v6, v9
	v_mov_b32_e32 v9, 1
	v_mul_f32_e32 v6, v3, v6
	v_and_b32_sdwa v12, v6, v9 dst_sel:DWORD dst_unused:UNUSED_PAD src0_sel:WORD_1 src1_sel:DWORD
	v_cmp_o_f32_e32 vcc_lo, v6, v6
	s_waitcnt vmcnt(6)
	v_cvt_f32_i32_e32 v7, v7
	s_waitcnt vmcnt(5)
	v_cvt_f32_i32_e32 v8, v8
	v_add3_u32 v12, v6, v12, 0x7fff
	v_mul_f32_e32 v7, v3, v7
	v_mul_f32_e32 v8, v3, v8
	s_waitcnt vmcnt(4)
	v_cvt_f32_i32_e32 v0, v0
	s_waitcnt vmcnt(3)
	v_cvt_f32_i32_e32 v1, v1
	s_waitcnt vmcnt(2)
	v_cvt_f32_i32_e32 v10, v10
	s_waitcnt vmcnt(1)
	v_cvt_f32_i32_e32 v11, v11
	s_waitcnt vmcnt(0)
	v_cvt_f32_i32_e32 v2, v2
	v_lshrrev_b32_e32 v12, 16, v12
	v_and_b32_sdwa v15, v8, v9 dst_sel:DWORD dst_unused:UNUSED_PAD src0_sel:WORD_1 src1_sel:DWORD
	v_mul_f32_e32 v0, v3, v0
	v_mul_f32_e32 v10, v3, v10
	;; [unrolled: 1-line block ×5, first 2 shown]
	v_cndmask_b32_e32 v6, 0x7fc0, v12, vcc_lo
	v_and_b32_sdwa v12, v7, v9 dst_sel:DWORD dst_unused:UNUSED_PAD src0_sel:WORD_1 src1_sel:DWORD
	v_add3_u32 v11, v8, v15, 0x7fff
	v_and_b32_sdwa v15, v0, v9 dst_sel:DWORD dst_unused:UNUSED_PAD src0_sel:WORD_1 src1_sel:DWORD
	v_and_b32_sdwa v16, v1, v9 dst_sel:DWORD dst_unused:UNUSED_PAD src0_sel:WORD_1 src1_sel:DWORD
	;; [unrolled: 1-line block ×5, first 2 shown]
	v_cmp_o_f32_e32 vcc_lo, v3, v3
	v_cmp_o_f32_e64 s0, v2, v2
	v_add3_u32 v15, v0, v15, 0x7fff
	v_add3_u32 v2, v2, v18, 0x7fff
	;; [unrolled: 1-line block ×4, first 2 shown]
	v_lshrrev_b32_e32 v11, 16, v11
	v_add3_u32 v17, v10, v17, 0x7fff
	v_cmp_o_f32_e64 s1, v8, v8
	v_cndmask_b32_sdwa v3, v13, v3, vcc_lo dst_sel:DWORD dst_unused:UNUSED_PAD src0_sel:DWORD src1_sel:WORD_1
	s_mov_b32 vcc_lo, s0
	v_lshrrev_b32_e32 v9, 16, v15
	v_cndmask_b32_sdwa v13, v13, v2, vcc_lo dst_sel:DWORD dst_unused:UNUSED_PAD src0_sel:DWORD src1_sel:WORD_1
	v_cmp_o_f32_e32 vcc_lo, v0, v0
	v_lshrrev_b32_e32 v12, 16, v12
	v_add3_u32 v16, v1, v16, 0x7fff
	v_cndmask_b32_e64 v8, 0x7fc0, v11, s1
	v_cmp_o_f32_e64 s1, v7, v7
	v_lshrrev_b32_e32 v11, 16, v17
	v_cndmask_b32_e32 v9, 0x7fc0, v9, vcc_lo
	v_cmp_o_f32_e32 vcc_lo, v10, v10
	v_perm_b32 v2, v8, v6, 0x5040100
	v_cndmask_b32_e64 v7, 0x7fc0, v12, s1
	v_lshrrev_b32_e32 v12, 16, v16
	v_cndmask_b32_e32 v10, 0x7fc0, v11, vcc_lo
	v_cmp_o_f32_e32 vcc_lo, v1, v1
	v_cndmask_b32_e32 v11, 0x7fc0, v12, vcc_lo
	v_add_co_u32 v0, vcc_lo, v4, v5
	v_add_co_ci_u32_e64 v1, null, 0, v14, vcc_lo
	v_perm_b32 v5, v13, v3, 0x5040100
	v_perm_b32 v3, v11, v10, 0x5040100
	;; [unrolled: 1-line block ×3, first 2 shown]
	global_store_dwordx2 v[0:1], v[2:3], off
	global_store_dwordx2 v[0:1], v[4:5], off offset:32
	s_endpgm
	.section	.rodata,"a",@progbits
	.p2align	6, 0x0
	.amdhsa_kernel _ZL23dequantize_block_iq4_nlIN3c108BFloat16EEvPKvPT_
		.amdhsa_group_segment_fixed_size 0
		.amdhsa_private_segment_fixed_size 0
		.amdhsa_kernarg_size 16
		.amdhsa_user_sgpr_count 6
		.amdhsa_user_sgpr_private_segment_buffer 1
		.amdhsa_user_sgpr_dispatch_ptr 0
		.amdhsa_user_sgpr_queue_ptr 0
		.amdhsa_user_sgpr_kernarg_segment_ptr 1
		.amdhsa_user_sgpr_dispatch_id 0
		.amdhsa_user_sgpr_flat_scratch_init 0
		.amdhsa_user_sgpr_private_segment_size 0
		.amdhsa_wavefront_size32 1
		.amdhsa_uses_dynamic_stack 0
		.amdhsa_system_sgpr_private_segment_wavefront_offset 0
		.amdhsa_system_sgpr_workgroup_id_x 1
		.amdhsa_system_sgpr_workgroup_id_y 0
		.amdhsa_system_sgpr_workgroup_id_z 0
		.amdhsa_system_sgpr_workgroup_info 0
		.amdhsa_system_vgpr_workitem_id 0
		.amdhsa_next_free_vgpr 19
		.amdhsa_next_free_sgpr 7
		.amdhsa_reserve_vcc 1
		.amdhsa_reserve_flat_scratch 0
		.amdhsa_float_round_mode_32 0
		.amdhsa_float_round_mode_16_64 0
		.amdhsa_float_denorm_mode_32 3
		.amdhsa_float_denorm_mode_16_64 3
		.amdhsa_dx10_clamp 1
		.amdhsa_ieee_mode 1
		.amdhsa_fp16_overflow 0
		.amdhsa_workgroup_processor_mode 1
		.amdhsa_memory_ordered 1
		.amdhsa_forward_progress 1
		.amdhsa_shared_vgpr_count 0
		.amdhsa_exception_fp_ieee_invalid_op 0
		.amdhsa_exception_fp_denorm_src 0
		.amdhsa_exception_fp_ieee_div_zero 0
		.amdhsa_exception_fp_ieee_overflow 0
		.amdhsa_exception_fp_ieee_underflow 0
		.amdhsa_exception_fp_ieee_inexact 0
		.amdhsa_exception_int_div_zero 0
	.end_amdhsa_kernel
	.section	.text._ZL23dequantize_block_iq4_nlIN3c108BFloat16EEvPKvPT_,"axG",@progbits,_ZL23dequantize_block_iq4_nlIN3c108BFloat16EEvPKvPT_,comdat
.Lfunc_end52:
	.size	_ZL23dequantize_block_iq4_nlIN3c108BFloat16EEvPKvPT_, .Lfunc_end52-_ZL23dequantize_block_iq4_nlIN3c108BFloat16EEvPKvPT_
                                        ; -- End function
	.set _ZL23dequantize_block_iq4_nlIN3c108BFloat16EEvPKvPT_.num_vgpr, 19
	.set _ZL23dequantize_block_iq4_nlIN3c108BFloat16EEvPKvPT_.num_agpr, 0
	.set _ZL23dequantize_block_iq4_nlIN3c108BFloat16EEvPKvPT_.numbered_sgpr, 7
	.set _ZL23dequantize_block_iq4_nlIN3c108BFloat16EEvPKvPT_.num_named_barrier, 0
	.set _ZL23dequantize_block_iq4_nlIN3c108BFloat16EEvPKvPT_.private_seg_size, 0
	.set _ZL23dequantize_block_iq4_nlIN3c108BFloat16EEvPKvPT_.uses_vcc, 1
	.set _ZL23dequantize_block_iq4_nlIN3c108BFloat16EEvPKvPT_.uses_flat_scratch, 0
	.set _ZL23dequantize_block_iq4_nlIN3c108BFloat16EEvPKvPT_.has_dyn_sized_stack, 0
	.set _ZL23dequantize_block_iq4_nlIN3c108BFloat16EEvPKvPT_.has_recursion, 0
	.set _ZL23dequantize_block_iq4_nlIN3c108BFloat16EEvPKvPT_.has_indirect_call, 0
	.section	.AMDGPU.csdata,"",@progbits
; Kernel info:
; codeLenInByte = 888
; TotalNumSgprs: 9
; NumVgprs: 19
; ScratchSize: 0
; MemoryBound: 0
; FloatMode: 240
; IeeeMode: 1
; LDSByteSize: 0 bytes/workgroup (compile time only)
; SGPRBlocks: 0
; VGPRBlocks: 2
; NumSGPRsForWavesPerEU: 9
; NumVGPRsForWavesPerEU: 19
; Occupancy: 16
; WaveLimiterHint : 0
; COMPUTE_PGM_RSRC2:SCRATCH_EN: 0
; COMPUTE_PGM_RSRC2:USER_SGPR: 6
; COMPUTE_PGM_RSRC2:TRAP_HANDLER: 0
; COMPUTE_PGM_RSRC2:TGID_X_EN: 1
; COMPUTE_PGM_RSRC2:TGID_Y_EN: 0
; COMPUTE_PGM_RSRC2:TGID_Z_EN: 0
; COMPUTE_PGM_RSRC2:TIDIG_COMP_CNT: 0
	.section	.text._ZL22dequantize_block_iq3_sIN3c108BFloat16EEvPKvPT_,"axG",@progbits,_ZL22dequantize_block_iq3_sIN3c108BFloat16EEvPKvPT_,comdat
	.globl	_ZL22dequantize_block_iq3_sIN3c108BFloat16EEvPKvPT_ ; -- Begin function _ZL22dequantize_block_iq3_sIN3c108BFloat16EEvPKvPT_
	.p2align	8
	.type	_ZL22dequantize_block_iq3_sIN3c108BFloat16EEvPKvPT_,@function
_ZL22dequantize_block_iq3_sIN3c108BFloat16EEvPKvPT_: ; @_ZL22dequantize_block_iq3_sIN3c108BFloat16EEvPKvPT_
; %bb.0:
	s_load_dwordx4 s[0:3], s[4:5], 0x0
	v_and_b32_e32 v3, 7, v0
	s_mov_b32 s5, 0
	s_lshl_b32 s4, s6, 8
	v_lshrrev_b32_e32 v4, 3, v0
	s_lshl_b64 s[4:5], s[4:5], 1
	v_lshlrev_b32_e32 v1, 3, v3
	s_mul_hi_u32 s7, s6, 0x6e
	s_mulk_i32 s6, 0x6e
	v_lshlrev_b32_e32 v5, 1, v4
	v_bfe_u32 v6, v0, 1, 2
	v_lshl_add_u32 v4, v3, 2, v4
	v_mov_b32_e32 v8, 0xffff
	v_mov_b32_e32 v7, 0
	v_sub_nc_u32_e32 v9, 7, v5
	s_waitcnt lgkmcnt(0)
	s_add_u32 s2, s2, s4
	s_addc_u32 s3, s3, s5
	s_add_u32 s0, s0, s6
	s_addc_u32 s1, s1, s7
	v_add_co_u32 v1, s4, s0, v1
	v_add_co_ci_u32_e64 v2, null, s1, 0, s4
	v_add_co_u32 v1, vcc_lo, v1, v5
	v_add_co_ci_u32_e64 v2, null, 0, v2, vcc_lo
	v_sub_nc_u32_e32 v5, 8, v5
	s_clause 0x4
	global_load_ushort v1, v[1:2], off offset:2
	global_load_ubyte v2, v6, s[0:1] offset:106
	global_load_ubyte v4, v4, s[0:1] offset:74
	global_load_ubyte v6, v3, s[0:1] offset:66
	global_load_ushort v10, v7, s[0:1]
	s_getpc_b64 s[0:1]
	s_add_u32 s0, s0, _ZL10iq3xs_grid@rel32@lo+4
	s_addc_u32 s1, s1, _ZL10iq3xs_grid@rel32@hi+12
	v_lshlrev_b32_e32 v3, 6, v3
	s_waitcnt vmcnt(4)
	v_and_b32_sdwa v8, v8, v1 dst_sel:DWORD dst_unused:UNUSED_PAD src0_sel:DWORD src1_sel:BYTE_1
	v_and_b32_e32 v1, 0xff, v1
	s_waitcnt vmcnt(2)
	v_and_b32_e32 v11, 16, v4
	s_waitcnt vmcnt(1)
	v_lshlrev_b32_e32 v9, v9, v6
	v_lshlrev_b32_e32 v5, v5, v6
	v_and_b32_e32 v12, 32, v4
	v_and_b32_e32 v14, 4, v4
	v_cmp_eq_u16_e32 vcc_lo, 0, v11
	v_and_or_b32 v6, 0x100, v9, v8
	v_and_or_b32 v1, 0x100, v5, v1
	s_waitcnt vmcnt(0)
	v_cvt_f32_f16_e32 v9, v10
	v_and_b32_e32 v15, 2, v4
	v_and_b32_e32 v16, 1, v4
	v_lshlrev_b32_e32 v5, 2, v6
	v_lshlrev_b32_e32 v1, 2, v1
	;; [unrolled: 1-line block ×3, first 2 shown]
	v_and_b32_e32 v13, 64, v4
	v_mov_b32_e32 v8, 0x7fc0
	s_clause 0x1
	global_load_dword v5, v5, s[0:1]
	global_load_dword v1, v1, s[0:1]
	v_add_co_u32 v3, s0, s2, v3
	v_and_b32_e32 v6, 4, v6
	v_add_co_ci_u32_e64 v10, null, s3, 0, s0
	v_cmp_lt_i16_sdwa s0, sext(v4), v7 src0_sel:BYTE_0 src1_sel:DWORD
	v_and_b32_e32 v0, 0x3f8, v0
	v_bfe_u32 v2, v2, v6, 4
	v_mov_b32_e32 v6, 1
	v_lshlrev_b32_e32 v0, 1, v0
	v_cvt_f32_ubyte0_e32 v2, v2
	v_add_f32_e32 v2, 0.5, v2
	v_mul_f32_e32 v2, v2, v9
	v_and_b32_e32 v9, 8, v4
	v_mul_f32_e32 v2, 0.5, v2
	s_waitcnt vmcnt(1)
	v_cvt_f32_ubyte0_e32 v17, v5
	v_cvt_f32_ubyte1_e32 v18, v5
	v_cvt_f32_ubyte2_e32 v19, v5
	s_waitcnt vmcnt(0)
	v_cvt_f32_ubyte3_e32 v20, v1
	v_cvt_f32_ubyte2_e32 v21, v1
	v_cvt_f32_ubyte1_e32 v22, v1
	v_cvt_f32_ubyte0_e32 v1, v1
	v_cvt_f32_ubyte3_e32 v5, v5
	v_mul_f32_e32 v17, v2, v17
	v_mul_f32_e32 v18, v2, v18
	;; [unrolled: 1-line block ×8, first 2 shown]
	v_cndmask_b32_e64 v5, -v17, v17, vcc_lo
	v_cmp_eq_u16_e32 vcc_lo, 0, v12
	v_cndmask_b32_e64 v2, v2, -v2, s0
	v_bfe_u32 v4, v5, 16, 1
	v_cndmask_b32_e64 v11, -v18, v18, vcc_lo
	v_cmp_eq_u16_e32 vcc_lo, 0, v9
	v_cmp_o_f32_e64 s0, v2, v2
	v_add3_u32 v4, v5, v4, 0x7fff
	v_bfe_u32 v7, v11, 16, 1
	v_cndmask_b32_e64 v9, -v20, v20, vcc_lo
	v_cmp_eq_u16_e32 vcc_lo, 0, v14
	v_lshrrev_b32_e32 v4, 16, v4
	v_add3_u32 v7, v11, v7, 0x7fff
	v_bfe_u32 v18, v9, 16, 1
	v_cndmask_b32_e64 v12, -v21, v21, vcc_lo
	v_cmp_eq_u16_e32 vcc_lo, 0, v15
	v_lshrrev_b32_e32 v7, 16, v7
	v_add3_u32 v18, v9, v18, 0x7fff
	v_bfe_u32 v17, v12, 16, 1
	v_cndmask_b32_e64 v14, -v22, v22, vcc_lo
	v_cmp_eq_u16_e32 vcc_lo, 0, v16
	v_add3_u32 v17, v12, v17, 0x7fff
	v_bfe_u32 v16, v14, 16, 1
	v_cndmask_b32_e64 v1, -v1, v1, vcc_lo
	v_cmp_eq_u16_e32 vcc_lo, 0, v13
	v_add3_u32 v16, v14, v16, 0x7fff
	v_bfe_u32 v15, v1, 16, 1
	v_cndmask_b32_e64 v13, -v19, v19, vcc_lo
	v_and_b32_sdwa v19, v2, v6 dst_sel:DWORD dst_unused:UNUSED_PAD src0_sel:WORD_1 src1_sel:DWORD
	v_add3_u32 v15, v1, v15, 0x7fff
	v_and_b32_sdwa v6, v13, v6 dst_sel:DWORD dst_unused:UNUSED_PAD src0_sel:WORD_1 src1_sel:DWORD
	v_cmp_o_f32_e32 vcc_lo, v13, v13
	v_add3_u32 v2, v2, v19, 0x7fff
	v_add3_u32 v6, v13, v6, 0x7fff
	v_lshrrev_b32_e32 v13, 16, v15
	v_lshrrev_b32_e32 v15, 16, v16
	;; [unrolled: 1-line block ×4, first 2 shown]
	v_cndmask_b32_sdwa v6, v8, v6, vcc_lo dst_sel:DWORD dst_unused:UNUSED_PAD src0_sel:DWORD src1_sel:WORD_1
	s_mov_b32 vcc_lo, s0
	v_cndmask_b32_sdwa v2, v8, v2, vcc_lo dst_sel:DWORD dst_unused:UNUSED_PAD src0_sel:DWORD src1_sel:WORD_1
	v_cmp_o_f32_e32 vcc_lo, v5, v5
	v_cndmask_b32_e32 v8, 0x7fc0, v4, vcc_lo
	v_cmp_o_f32_e32 vcc_lo, v11, v11
	v_cndmask_b32_e32 v7, 0x7fc0, v7, vcc_lo
	v_cmp_o_f32_e32 vcc_lo, v1, v1
	v_cndmask_b32_e32 v11, 0x7fc0, v13, vcc_lo
	v_cmp_o_f32_e32 vcc_lo, v14, v14
	v_cndmask_b32_e32 v13, 0x7fc0, v15, vcc_lo
	v_cmp_o_f32_e32 vcc_lo, v12, v12
	v_cndmask_b32_e32 v1, 0x7fc0, v16, vcc_lo
	v_cmp_o_f32_e32 vcc_lo, v9, v9
	v_cndmask_b32_e32 v9, 0x7fc0, v17, vcc_lo
	v_add_co_u32 v4, vcc_lo, v3, v0
	v_add_co_ci_u32_e64 v5, null, 0, v10, vcc_lo
	v_perm_b32 v3, v2, v6, 0x5040100
	v_perm_b32 v2, v7, v8, 0x5040100
	;; [unrolled: 1-line block ×4, first 2 shown]
	global_store_dwordx4 v[4:5], v[0:3], off
	s_endpgm
	.section	.rodata,"a",@progbits
	.p2align	6, 0x0
	.amdhsa_kernel _ZL22dequantize_block_iq3_sIN3c108BFloat16EEvPKvPT_
		.amdhsa_group_segment_fixed_size 0
		.amdhsa_private_segment_fixed_size 0
		.amdhsa_kernarg_size 16
		.amdhsa_user_sgpr_count 6
		.amdhsa_user_sgpr_private_segment_buffer 1
		.amdhsa_user_sgpr_dispatch_ptr 0
		.amdhsa_user_sgpr_queue_ptr 0
		.amdhsa_user_sgpr_kernarg_segment_ptr 1
		.amdhsa_user_sgpr_dispatch_id 0
		.amdhsa_user_sgpr_flat_scratch_init 0
		.amdhsa_user_sgpr_private_segment_size 0
		.amdhsa_wavefront_size32 1
		.amdhsa_uses_dynamic_stack 0
		.amdhsa_system_sgpr_private_segment_wavefront_offset 0
		.amdhsa_system_sgpr_workgroup_id_x 1
		.amdhsa_system_sgpr_workgroup_id_y 0
		.amdhsa_system_sgpr_workgroup_id_z 0
		.amdhsa_system_sgpr_workgroup_info 0
		.amdhsa_system_vgpr_workitem_id 0
		.amdhsa_next_free_vgpr 23
		.amdhsa_next_free_sgpr 8
		.amdhsa_reserve_vcc 1
		.amdhsa_reserve_flat_scratch 0
		.amdhsa_float_round_mode_32 0
		.amdhsa_float_round_mode_16_64 0
		.amdhsa_float_denorm_mode_32 3
		.amdhsa_float_denorm_mode_16_64 3
		.amdhsa_dx10_clamp 1
		.amdhsa_ieee_mode 1
		.amdhsa_fp16_overflow 0
		.amdhsa_workgroup_processor_mode 1
		.amdhsa_memory_ordered 1
		.amdhsa_forward_progress 1
		.amdhsa_shared_vgpr_count 0
		.amdhsa_exception_fp_ieee_invalid_op 0
		.amdhsa_exception_fp_denorm_src 0
		.amdhsa_exception_fp_ieee_div_zero 0
		.amdhsa_exception_fp_ieee_overflow 0
		.amdhsa_exception_fp_ieee_underflow 0
		.amdhsa_exception_fp_ieee_inexact 0
		.amdhsa_exception_int_div_zero 0
	.end_amdhsa_kernel
	.section	.text._ZL22dequantize_block_iq3_sIN3c108BFloat16EEvPKvPT_,"axG",@progbits,_ZL22dequantize_block_iq3_sIN3c108BFloat16EEvPKvPT_,comdat
.Lfunc_end53:
	.size	_ZL22dequantize_block_iq3_sIN3c108BFloat16EEvPKvPT_, .Lfunc_end53-_ZL22dequantize_block_iq3_sIN3c108BFloat16EEvPKvPT_
                                        ; -- End function
	.set _ZL22dequantize_block_iq3_sIN3c108BFloat16EEvPKvPT_.num_vgpr, 23
	.set _ZL22dequantize_block_iq3_sIN3c108BFloat16EEvPKvPT_.num_agpr, 0
	.set _ZL22dequantize_block_iq3_sIN3c108BFloat16EEvPKvPT_.numbered_sgpr, 8
	.set _ZL22dequantize_block_iq3_sIN3c108BFloat16EEvPKvPT_.num_named_barrier, 0
	.set _ZL22dequantize_block_iq3_sIN3c108BFloat16EEvPKvPT_.private_seg_size, 0
	.set _ZL22dequantize_block_iq3_sIN3c108BFloat16EEvPKvPT_.uses_vcc, 1
	.set _ZL22dequantize_block_iq3_sIN3c108BFloat16EEvPKvPT_.uses_flat_scratch, 0
	.set _ZL22dequantize_block_iq3_sIN3c108BFloat16EEvPKvPT_.has_dyn_sized_stack, 0
	.set _ZL22dequantize_block_iq3_sIN3c108BFloat16EEvPKvPT_.has_recursion, 0
	.set _ZL22dequantize_block_iq3_sIN3c108BFloat16EEvPKvPT_.has_indirect_call, 0
	.section	.AMDGPU.csdata,"",@progbits
; Kernel info:
; codeLenInByte = 936
; TotalNumSgprs: 10
; NumVgprs: 23
; ScratchSize: 0
; MemoryBound: 0
; FloatMode: 240
; IeeeMode: 1
; LDSByteSize: 0 bytes/workgroup (compile time only)
; SGPRBlocks: 0
; VGPRBlocks: 2
; NumSGPRsForWavesPerEU: 10
; NumVGPRsForWavesPerEU: 23
; Occupancy: 16
; WaveLimiterHint : 0
; COMPUTE_PGM_RSRC2:SCRATCH_EN: 0
; COMPUTE_PGM_RSRC2:USER_SGPR: 6
; COMPUTE_PGM_RSRC2:TRAP_HANDLER: 0
; COMPUTE_PGM_RSRC2:TGID_X_EN: 1
; COMPUTE_PGM_RSRC2:TGID_Y_EN: 0
; COMPUTE_PGM_RSRC2:TGID_Z_EN: 0
; COMPUTE_PGM_RSRC2:TIDIG_COMP_CNT: 0
	.section	.text._ZL22dequantize_block_iq2_sIN3c108BFloat16EEvPKvPT_,"axG",@progbits,_ZL22dequantize_block_iq2_sIN3c108BFloat16EEvPKvPT_,comdat
	.globl	_ZL22dequantize_block_iq2_sIN3c108BFloat16EEvPKvPT_ ; -- Begin function _ZL22dequantize_block_iq2_sIN3c108BFloat16EEvPKvPT_
	.p2align	8
	.type	_ZL22dequantize_block_iq2_sIN3c108BFloat16EEvPKvPT_,@function
_ZL22dequantize_block_iq2_sIN3c108BFloat16EEvPKvPT_: ; @_ZL22dequantize_block_iq2_sIN3c108BFloat16EEvPKvPT_
; %bb.0:
	s_load_dwordx4 s[0:3], s[4:5], 0x0
	s_mov_b32 s5, 0
	s_lshl_b32 s4, s6, 8
	v_lshrrev_b32_e32 v1, 3, v0
	v_and_b32_e32 v3, 7, v0
	s_lshl_b64 s[4:5], s[4:5], 1
	s_mul_hi_u32 s7, s6, 0x52
	s_mulk_i32 s6, 0x52
	v_mov_b32_e32 v8, 0
	v_lshl_add_u32 v2, v3, 2, v1
	v_lshlrev_b32_e32 v1, 1, v1
	v_sub_nc_u32_e32 v1, 8, v1
	s_waitcnt lgkmcnt(0)
	s_add_u32 s2, s2, s4
	s_addc_u32 s3, s3, s5
	s_add_u32 s0, s0, s6
	s_addc_u32 s1, s1, s7
	s_clause 0x4
	global_load_ubyte v4, v3, s[0:1] offset:66
	global_load_ubyte v5, v2, s[0:1] offset:2
	;; [unrolled: 1-line block ×4, first 2 shown]
	global_load_ushort v9, v8, s[0:1]
	s_getpc_b64 s[0:1]
	s_add_u32 s0, s0, _ZL9iq2s_grid@rel32@lo+4
	s_addc_u32 s1, s1, _ZL9iq2s_grid@rel32@hi+12
	v_lshlrev_b32_e32 v3, 6, v3
	s_waitcnt vmcnt(4)
	v_lshlrev_b32_e32 v1, v1, v4
	v_lshrrev_b32_e32 v4, 2, v0
	s_waitcnt vmcnt(2)
	v_and_b32_e32 v11, 8, v6
	s_waitcnt vmcnt(0)
	v_cvt_f32_f16_e32 v9, v9
	v_and_b32_e32 v12, 4, v6
	v_and_or_b32 v1, 0x300, v1, v5
	v_and_b32_e32 v4, 0xfc, v4
	v_cmp_eq_u16_e32 vcc_lo, 0, v11
	v_and_b32_e32 v13, 2, v6
	v_and_b32_e32 v14, 16, v6
	v_lshlrev_b32_e32 v1, 3, v1
	v_bfe_u32 v4, v7, v4, 4
	v_and_b32_e32 v15, 32, v6
	v_and_b32_e32 v16, 64, v6
	v_mov_b32_e32 v5, 1
	global_load_dwordx2 v[1:2], v1, s[0:1]
	v_cvt_f32_ubyte0_e32 v4, v4
	v_add_co_u32 v3, s0, s2, v3
	v_add_co_ci_u32_e64 v10, null, s3, 0, s0
	v_add_f32_e32 v4, 0.5, v4
	v_cmp_lt_i16_sdwa s0, sext(v6), v8 src0_sel:BYTE_0 src1_sel:DWORD
	v_mov_b32_e32 v7, 0x7fc0
	v_and_b32_e32 v0, 0x3f8, v0
	v_mul_f32_e32 v4, v4, v9
	v_and_b32_e32 v9, 1, v6
	v_lshlrev_b32_e32 v0, 1, v0
	v_mul_f32_e32 v4, 0x3e800000, v4
	s_waitcnt vmcnt(0)
	v_cvt_f32_ubyte3_e32 v17, v1
	v_cvt_f32_ubyte2_e32 v18, v1
	v_cvt_f32_ubyte1_e32 v19, v1
	v_cvt_f32_ubyte0_e32 v1, v1
	v_cvt_f32_ubyte0_e32 v20, v2
	v_cvt_f32_ubyte1_e32 v21, v2
	v_cvt_f32_ubyte2_e32 v22, v2
	v_cvt_f32_ubyte3_e32 v2, v2
	v_mul_f32_e32 v17, v4, v17
	v_mul_f32_e32 v1, v4, v1
	;; [unrolled: 1-line block ×8, first 2 shown]
	v_cndmask_b32_e64 v4, -v17, v17, vcc_lo
	v_cmp_eq_u16_e32 vcc_lo, 0, v12
	v_cndmask_b32_e64 v2, v2, -v2, s0
	v_cndmask_b32_e64 v11, -v18, v18, vcc_lo
	v_cmp_eq_u16_e32 vcc_lo, 0, v13
	v_cmp_o_f32_e64 s0, v2, v2
	v_cndmask_b32_e64 v12, -v19, v19, vcc_lo
	v_cmp_eq_u16_e32 vcc_lo, 0, v9
	v_and_b32_sdwa v19, v2, v5 dst_sel:DWORD dst_unused:UNUSED_PAD src0_sel:WORD_1 src1_sel:DWORD
	v_bfe_u32 v8, v12, 16, 1
	v_cndmask_b32_e64 v1, -v1, v1, vcc_lo
	v_cmp_eq_u16_e32 vcc_lo, 0, v14
	v_add3_u32 v2, v2, v19, 0x7fff
	v_add3_u32 v8, v12, v8, 0x7fff
	v_bfe_u32 v6, v1, 16, 1
	v_cndmask_b32_e64 v9, -v20, v20, vcc_lo
	v_cmp_eq_u16_e32 vcc_lo, 0, v15
	v_bfe_u32 v15, v11, 16, 1
	v_lshrrev_b32_e32 v8, 16, v8
	v_add3_u32 v6, v1, v6, 0x7fff
	v_bfe_u32 v17, v9, 16, 1
	v_cndmask_b32_e64 v13, -v21, v21, vcc_lo
	v_cmp_eq_u16_e32 vcc_lo, 0, v16
	v_bfe_u32 v16, v4, 16, 1
	v_add3_u32 v15, v11, v15, 0x7fff
	v_add3_u32 v17, v9, v17, 0x7fff
	v_bfe_u32 v18, v13, 16, 1
	v_cndmask_b32_e64 v14, -v22, v22, vcc_lo
	v_add3_u32 v16, v4, v16, 0x7fff
	v_lshrrev_b32_e32 v6, 16, v6
	v_add3_u32 v18, v13, v18, 0x7fff
	v_and_b32_sdwa v5, v14, v5 dst_sel:DWORD dst_unused:UNUSED_PAD src0_sel:WORD_1 src1_sel:DWORD
	v_cmp_o_f32_e32 vcc_lo, v14, v14
	v_add3_u32 v5, v14, v5, 0x7fff
	v_lshrrev_b32_e32 v14, 16, v15
	v_lshrrev_b32_e32 v15, 16, v16
	v_lshrrev_b32_e32 v16, 16, v17
	v_lshrrev_b32_e32 v17, 16, v18
	v_cndmask_b32_sdwa v18, v7, v5, vcc_lo dst_sel:DWORD dst_unused:UNUSED_PAD src0_sel:DWORD src1_sel:WORD_1
	s_mov_b32 vcc_lo, s0
	v_cndmask_b32_sdwa v2, v7, v2, vcc_lo dst_sel:DWORD dst_unused:UNUSED_PAD src0_sel:DWORD src1_sel:WORD_1
	v_cmp_o_f32_e32 vcc_lo, v1, v1
	v_cndmask_b32_e32 v6, 0x7fc0, v6, vcc_lo
	v_cmp_o_f32_e32 vcc_lo, v12, v12
	v_cndmask_b32_e32 v7, 0x7fc0, v8, vcc_lo
	;; [unrolled: 2-line block ×4, first 2 shown]
	v_cmp_o_f32_e32 vcc_lo, v9, v9
	v_perm_b32 v1, v8, v1, 0x5040100
	v_cndmask_b32_e32 v9, 0x7fc0, v16, vcc_lo
	v_cmp_o_f32_e32 vcc_lo, v13, v13
	v_cndmask_b32_e32 v11, 0x7fc0, v17, vcc_lo
	v_add_co_u32 v4, vcc_lo, v3, v0
	v_add_co_ci_u32_e64 v5, null, 0, v10, vcc_lo
	v_perm_b32 v3, v2, v18, 0x5040100
	v_perm_b32 v2, v11, v9, 0x5040100
	;; [unrolled: 1-line block ×3, first 2 shown]
	global_store_dwordx4 v[4:5], v[0:3], off
	s_endpgm
	.section	.rodata,"a",@progbits
	.p2align	6, 0x0
	.amdhsa_kernel _ZL22dequantize_block_iq2_sIN3c108BFloat16EEvPKvPT_
		.amdhsa_group_segment_fixed_size 0
		.amdhsa_private_segment_fixed_size 0
		.amdhsa_kernarg_size 16
		.amdhsa_user_sgpr_count 6
		.amdhsa_user_sgpr_private_segment_buffer 1
		.amdhsa_user_sgpr_dispatch_ptr 0
		.amdhsa_user_sgpr_queue_ptr 0
		.amdhsa_user_sgpr_kernarg_segment_ptr 1
		.amdhsa_user_sgpr_dispatch_id 0
		.amdhsa_user_sgpr_flat_scratch_init 0
		.amdhsa_user_sgpr_private_segment_size 0
		.amdhsa_wavefront_size32 1
		.amdhsa_uses_dynamic_stack 0
		.amdhsa_system_sgpr_private_segment_wavefront_offset 0
		.amdhsa_system_sgpr_workgroup_id_x 1
		.amdhsa_system_sgpr_workgroup_id_y 0
		.amdhsa_system_sgpr_workgroup_id_z 0
		.amdhsa_system_sgpr_workgroup_info 0
		.amdhsa_system_vgpr_workitem_id 0
		.amdhsa_next_free_vgpr 23
		.amdhsa_next_free_sgpr 8
		.amdhsa_reserve_vcc 1
		.amdhsa_reserve_flat_scratch 0
		.amdhsa_float_round_mode_32 0
		.amdhsa_float_round_mode_16_64 0
		.amdhsa_float_denorm_mode_32 3
		.amdhsa_float_denorm_mode_16_64 3
		.amdhsa_dx10_clamp 1
		.amdhsa_ieee_mode 1
		.amdhsa_fp16_overflow 0
		.amdhsa_workgroup_processor_mode 1
		.amdhsa_memory_ordered 1
		.amdhsa_forward_progress 1
		.amdhsa_shared_vgpr_count 0
		.amdhsa_exception_fp_ieee_invalid_op 0
		.amdhsa_exception_fp_denorm_src 0
		.amdhsa_exception_fp_ieee_div_zero 0
		.amdhsa_exception_fp_ieee_overflow 0
		.amdhsa_exception_fp_ieee_underflow 0
		.amdhsa_exception_fp_ieee_inexact 0
		.amdhsa_exception_int_div_zero 0
	.end_amdhsa_kernel
	.section	.text._ZL22dequantize_block_iq2_sIN3c108BFloat16EEvPKvPT_,"axG",@progbits,_ZL22dequantize_block_iq2_sIN3c108BFloat16EEvPKvPT_,comdat
.Lfunc_end54:
	.size	_ZL22dequantize_block_iq2_sIN3c108BFloat16EEvPKvPT_, .Lfunc_end54-_ZL22dequantize_block_iq2_sIN3c108BFloat16EEvPKvPT_
                                        ; -- End function
	.set _ZL22dequantize_block_iq2_sIN3c108BFloat16EEvPKvPT_.num_vgpr, 23
	.set _ZL22dequantize_block_iq2_sIN3c108BFloat16EEvPKvPT_.num_agpr, 0
	.set _ZL22dequantize_block_iq2_sIN3c108BFloat16EEvPKvPT_.numbered_sgpr, 8
	.set _ZL22dequantize_block_iq2_sIN3c108BFloat16EEvPKvPT_.num_named_barrier, 0
	.set _ZL22dequantize_block_iq2_sIN3c108BFloat16EEvPKvPT_.private_seg_size, 0
	.set _ZL22dequantize_block_iq2_sIN3c108BFloat16EEvPKvPT_.uses_vcc, 1
	.set _ZL22dequantize_block_iq2_sIN3c108BFloat16EEvPKvPT_.uses_flat_scratch, 0
	.set _ZL22dequantize_block_iq2_sIN3c108BFloat16EEvPKvPT_.has_dyn_sized_stack, 0
	.set _ZL22dequantize_block_iq2_sIN3c108BFloat16EEvPKvPT_.has_recursion, 0
	.set _ZL22dequantize_block_iq2_sIN3c108BFloat16EEvPKvPT_.has_indirect_call, 0
	.section	.AMDGPU.csdata,"",@progbits
; Kernel info:
; codeLenInByte = 832
; TotalNumSgprs: 10
; NumVgprs: 23
; ScratchSize: 0
; MemoryBound: 0
; FloatMode: 240
; IeeeMode: 1
; LDSByteSize: 0 bytes/workgroup (compile time only)
; SGPRBlocks: 0
; VGPRBlocks: 2
; NumSGPRsForWavesPerEU: 10
; NumVGPRsForWavesPerEU: 23
; Occupancy: 16
; WaveLimiterHint : 0
; COMPUTE_PGM_RSRC2:SCRATCH_EN: 0
; COMPUTE_PGM_RSRC2:USER_SGPR: 6
; COMPUTE_PGM_RSRC2:TRAP_HANDLER: 0
; COMPUTE_PGM_RSRC2:TGID_X_EN: 1
; COMPUTE_PGM_RSRC2:TGID_Y_EN: 0
; COMPUTE_PGM_RSRC2:TGID_Z_EN: 0
; COMPUTE_PGM_RSRC2:TIDIG_COMP_CNT: 0
	.section	.text._ZL23dequantize_block_iq4_xsIN3c108BFloat16EEvPKvPT_,"axG",@progbits,_ZL23dequantize_block_iq4_xsIN3c108BFloat16EEvPKvPT_,comdat
	.globl	_ZL23dequantize_block_iq4_xsIN3c108BFloat16EEvPKvPT_ ; -- Begin function _ZL23dequantize_block_iq4_xsIN3c108BFloat16EEvPKvPT_
	.p2align	8
	.type	_ZL23dequantize_block_iq4_xsIN3c108BFloat16EEvPKvPT_,@function
_ZL23dequantize_block_iq4_xsIN3c108BFloat16EEvPKvPT_: ; @_ZL23dequantize_block_iq4_xsIN3c108BFloat16EEvPKvPT_
; %bb.0:
	s_load_dwordx4 s[0:3], s[4:5], 0x0
	v_lshrrev_b32_e32 v1, 1, v0
	v_and_b32_e32 v5, 7, v0
	s_mov_b32 s5, 0
	s_lshl_b32 s4, s6, 8
	s_mul_hi_u32 s7, s6, 0x88
	s_lshl_b64 s[4:5], s[4:5], 1
	v_and_b32_e32 v6, 0x1fc, v1
	v_lshlrev_b32_e32 v1, 4, v5
	s_mulk_i32 s6, 0x88
	s_waitcnt lgkmcnt(0)
	s_add_u32 s2, s2, s4
	s_addc_u32 s3, s3, s5
	s_add_u32 s0, s0, s6
	s_addc_u32 s1, s1, s7
	v_add_co_u32 v1, s4, s0, v1
	v_add_co_ci_u32_e64 v2, null, s1, 0, s4
	v_add_co_u32 v1, vcc_lo, v1, v6
	v_add_co_ci_u32_e64 v2, null, 0, v2, vcc_lo
	v_lshlrev_b32_e32 v6, 1, v6
	global_load_dword v3, v[1:2], off offset:8
	v_mov_b32_e32 v1, 0
	v_bfe_u32 v2, v0, 1, 2
	v_lshlrev_b32_e32 v0, 2, v0
	s_clause 0x1
	global_load_dword v7, v1, s[0:1]
	global_load_ubyte v8, v2, s[0:1] offset:4
	s_getpc_b64 s[0:1]
	s_add_u32 s0, s0, _ZL13kvalues_iq4nl@rel32@lo+4
	s_addc_u32 s1, s1, _ZL13kvalues_iq4nl@rel32@hi+12
	v_and_b32_e32 v0, 4, v0
	s_waitcnt vmcnt(2)
	v_lshrrev_b16 v1, 4, v3
	v_lshrrev_b32_e32 v2, 8, v3
	v_and_b32_e32 v4, 15, v3
	v_lshrrev_b32_e32 v9, 24, v3
	v_bfe_u32 v10, v3, 8, 4
	v_and_b32_e32 v1, 15, v1
	v_lshrrev_b16 v2, 4, v2
	global_load_sbyte v11, v4, s[0:1]
	v_lshrrev_b16 v4, 4, v9
	v_bfe_u32 v12, v3, 16, 4
	v_and_b32_e32 v1, 0xffff, v1
	v_and_b32_e32 v9, 15, v2
	v_bfe_u32 v13, v3, 20, 4
	v_bfe_u32 v14, v3, 24, 4
	v_and_b32_e32 v4, 0xffff, v4
	v_add_co_u32 v1, s4, s0, v1
	v_add_co_ci_u32_e64 v2, null, s1, 0, s4
	v_and_b32_e32 v3, 0xffff, v9
	s_waitcnt vmcnt(1)
	v_bfe_u32 v0, v8, v0, 4
	s_clause 0x1
	global_load_sbyte v9, v[1:2], off
	global_load_sbyte v10, v10, s[0:1]
	v_add_co_u32 v1, s4, s0, v3
	v_add_co_ci_u32_e64 v2, null, s1, 0, s4
	v_add_co_u32 v3, s4, s0, v4
	v_add_co_ci_u32_e64 v4, null, s1, 0, s4
	s_clause 0x4
	global_load_sbyte v1, v[1:2], off
	global_load_sbyte v2, v14, s[0:1]
	global_load_sbyte v12, v12, s[0:1]
	global_load_sbyte v13, v13, s[0:1]
	global_load_sbyte v3, v[3:4], off
	v_lshlrev_b32_e32 v4, 1, v5
	v_lshlrev_b32_e32 v5, 6, v5
	v_lshrrev_b32_sdwa v4, v4, v7 dst_sel:DWORD dst_unused:UNUSED_PAD src0_sel:DWORD src1_sel:WORD_1
	v_add_co_u32 v5, s0, s2, v5
	v_add_co_ci_u32_e64 v14, null, s3, 0, s0
	v_lshlrev_b32_e32 v4, 4, v4
	v_and_or_b32 v0, v4, 48, v0
	v_cvt_f32_f16_e32 v4, v7
	v_mov_b32_e32 v7, 1
	v_subrev_nc_u32_e32 v0, 32, v0
	v_cvt_f32_i32_e32 v0, v0
	v_mul_f32_e32 v0, v4, v0
	s_waitcnt vmcnt(7)
	v_cvt_f32_i32_e32 v4, v11
	v_mov_b32_e32 v11, 0x7fc0
	v_mul_f32_e32 v4, v0, v4
	v_and_b32_sdwa v8, v4, v7 dst_sel:DWORD dst_unused:UNUSED_PAD src0_sel:WORD_1 src1_sel:DWORD
	v_cmp_o_f32_e32 vcc_lo, v4, v4
	s_waitcnt vmcnt(6)
	v_cvt_f32_i32_e32 v9, v9
	s_waitcnt vmcnt(5)
	v_cvt_f32_i32_e32 v10, v10
	v_add3_u32 v8, v4, v8, 0x7fff
	v_mul_f32_e32 v9, v0, v9
	v_mul_f32_e32 v10, v0, v10
	s_waitcnt vmcnt(4)
	v_cvt_f32_i32_e32 v1, v1
	s_waitcnt vmcnt(3)
	v_cvt_f32_i32_e32 v2, v2
	;; [unrolled: 2-line block ×5, first 2 shown]
	v_lshrrev_b32_e32 v8, 16, v8
	v_and_b32_sdwa v15, v10, v7 dst_sel:DWORD dst_unused:UNUSED_PAD src0_sel:WORD_1 src1_sel:DWORD
	v_mul_f32_e32 v1, v0, v1
	v_mul_f32_e32 v12, v0, v12
	;; [unrolled: 1-line block ×5, first 2 shown]
	v_cndmask_b32_e32 v4, 0x7fc0, v8, vcc_lo
	v_and_b32_sdwa v8, v9, v7 dst_sel:DWORD dst_unused:UNUSED_PAD src0_sel:WORD_1 src1_sel:DWORD
	v_add3_u32 v13, v10, v15, 0x7fff
	v_and_b32_sdwa v15, v1, v7 dst_sel:DWORD dst_unused:UNUSED_PAD src0_sel:WORD_1 src1_sel:DWORD
	v_and_b32_sdwa v16, v2, v7 dst_sel:DWORD dst_unused:UNUSED_PAD src0_sel:WORD_1 src1_sel:DWORD
	;; [unrolled: 1-line block ×5, first 2 shown]
	v_cmp_o_f32_e32 vcc_lo, v0, v0
	v_cmp_o_f32_e64 s0, v3, v3
	v_add3_u32 v15, v1, v15, 0x7fff
	v_add3_u32 v3, v3, v18, 0x7fff
	;; [unrolled: 1-line block ×3, first 2 shown]
	v_cmp_o_f32_e64 s1, v10, v10
	v_lshrrev_b32_e32 v13, 16, v13
	v_lshrrev_b32_e32 v10, 16, v15
	v_add3_u32 v17, v12, v17, 0x7fff
	v_cndmask_b32_sdwa v15, v11, v0, vcc_lo dst_sel:DWORD dst_unused:UNUSED_PAD src0_sel:DWORD src1_sel:WORD_1
	s_mov_b32 vcc_lo, s0
	v_add3_u32 v8, v9, v8, 0x7fff
	v_cndmask_b32_sdwa v3, v11, v3, vcc_lo dst_sel:DWORD dst_unused:UNUSED_PAD src0_sel:DWORD src1_sel:WORD_1
	v_cmp_o_f32_e32 vcc_lo, v1, v1
	v_add3_u32 v16, v2, v16, 0x7fff
	v_cndmask_b32_e64 v7, 0x7fc0, v13, s1
	v_cmp_o_f32_e64 s1, v9, v9
	v_lshrrev_b32_e32 v9, 16, v17
	v_cndmask_b32_e32 v10, 0x7fc0, v10, vcc_lo
	v_cmp_o_f32_e32 vcc_lo, v12, v12
	v_lshrrev_b32_e32 v13, 16, v16
	v_lshrrev_b32_e32 v8, 16, v8
	v_cndmask_b32_e32 v9, 0x7fc0, v9, vcc_lo
	v_cmp_o_f32_e32 vcc_lo, v2, v2
	v_cndmask_b32_e64 v8, 0x7fc0, v8, s1
	v_perm_b32 v2, v7, v4, 0x5040100
	v_cndmask_b32_e32 v11, 0x7fc0, v13, vcc_lo
	v_add_co_u32 v0, vcc_lo, v5, v6
	v_add_co_ci_u32_e64 v1, null, 0, v14, vcc_lo
	v_perm_b32 v5, v3, v15, 0x5040100
	v_perm_b32 v3, v11, v9, 0x5040100
	v_perm_b32 v4, v10, v8, 0x5040100
	global_store_dwordx2 v[0:1], v[2:3], off
	global_store_dwordx2 v[0:1], v[4:5], off offset:32
	s_endpgm
	.section	.rodata,"a",@progbits
	.p2align	6, 0x0
	.amdhsa_kernel _ZL23dequantize_block_iq4_xsIN3c108BFloat16EEvPKvPT_
		.amdhsa_group_segment_fixed_size 0
		.amdhsa_private_segment_fixed_size 0
		.amdhsa_kernarg_size 16
		.amdhsa_user_sgpr_count 6
		.amdhsa_user_sgpr_private_segment_buffer 1
		.amdhsa_user_sgpr_dispatch_ptr 0
		.amdhsa_user_sgpr_queue_ptr 0
		.amdhsa_user_sgpr_kernarg_segment_ptr 1
		.amdhsa_user_sgpr_dispatch_id 0
		.amdhsa_user_sgpr_flat_scratch_init 0
		.amdhsa_user_sgpr_private_segment_size 0
		.amdhsa_wavefront_size32 1
		.amdhsa_uses_dynamic_stack 0
		.amdhsa_system_sgpr_private_segment_wavefront_offset 0
		.amdhsa_system_sgpr_workgroup_id_x 1
		.amdhsa_system_sgpr_workgroup_id_y 0
		.amdhsa_system_sgpr_workgroup_id_z 0
		.amdhsa_system_sgpr_workgroup_info 0
		.amdhsa_system_vgpr_workitem_id 0
		.amdhsa_next_free_vgpr 19
		.amdhsa_next_free_sgpr 8
		.amdhsa_reserve_vcc 1
		.amdhsa_reserve_flat_scratch 0
		.amdhsa_float_round_mode_32 0
		.amdhsa_float_round_mode_16_64 0
		.amdhsa_float_denorm_mode_32 3
		.amdhsa_float_denorm_mode_16_64 3
		.amdhsa_dx10_clamp 1
		.amdhsa_ieee_mode 1
		.amdhsa_fp16_overflow 0
		.amdhsa_workgroup_processor_mode 1
		.amdhsa_memory_ordered 1
		.amdhsa_forward_progress 1
		.amdhsa_shared_vgpr_count 0
		.amdhsa_exception_fp_ieee_invalid_op 0
		.amdhsa_exception_fp_denorm_src 0
		.amdhsa_exception_fp_ieee_div_zero 0
		.amdhsa_exception_fp_ieee_overflow 0
		.amdhsa_exception_fp_ieee_underflow 0
		.amdhsa_exception_fp_ieee_inexact 0
		.amdhsa_exception_int_div_zero 0
	.end_amdhsa_kernel
	.section	.text._ZL23dequantize_block_iq4_xsIN3c108BFloat16EEvPKvPT_,"axG",@progbits,_ZL23dequantize_block_iq4_xsIN3c108BFloat16EEvPKvPT_,comdat
.Lfunc_end55:
	.size	_ZL23dequantize_block_iq4_xsIN3c108BFloat16EEvPKvPT_, .Lfunc_end55-_ZL23dequantize_block_iq4_xsIN3c108BFloat16EEvPKvPT_
                                        ; -- End function
	.set _ZL23dequantize_block_iq4_xsIN3c108BFloat16EEvPKvPT_.num_vgpr, 19
	.set _ZL23dequantize_block_iq4_xsIN3c108BFloat16EEvPKvPT_.num_agpr, 0
	.set _ZL23dequantize_block_iq4_xsIN3c108BFloat16EEvPKvPT_.numbered_sgpr, 8
	.set _ZL23dequantize_block_iq4_xsIN3c108BFloat16EEvPKvPT_.num_named_barrier, 0
	.set _ZL23dequantize_block_iq4_xsIN3c108BFloat16EEvPKvPT_.private_seg_size, 0
	.set _ZL23dequantize_block_iq4_xsIN3c108BFloat16EEvPKvPT_.uses_vcc, 1
	.set _ZL23dequantize_block_iq4_xsIN3c108BFloat16EEvPKvPT_.uses_flat_scratch, 0
	.set _ZL23dequantize_block_iq4_xsIN3c108BFloat16EEvPKvPT_.has_dyn_sized_stack, 0
	.set _ZL23dequantize_block_iq4_xsIN3c108BFloat16EEvPKvPT_.has_recursion, 0
	.set _ZL23dequantize_block_iq4_xsIN3c108BFloat16EEvPKvPT_.has_indirect_call, 0
	.section	.AMDGPU.csdata,"",@progbits
; Kernel info:
; codeLenInByte = 968
; TotalNumSgprs: 10
; NumVgprs: 19
; ScratchSize: 0
; MemoryBound: 0
; FloatMode: 240
; IeeeMode: 1
; LDSByteSize: 0 bytes/workgroup (compile time only)
; SGPRBlocks: 0
; VGPRBlocks: 2
; NumSGPRsForWavesPerEU: 10
; NumVGPRsForWavesPerEU: 19
; Occupancy: 16
; WaveLimiterHint : 0
; COMPUTE_PGM_RSRC2:SCRATCH_EN: 0
; COMPUTE_PGM_RSRC2:USER_SGPR: 6
; COMPUTE_PGM_RSRC2:TRAP_HANDLER: 0
; COMPUTE_PGM_RSRC2:TGID_X_EN: 1
; COMPUTE_PGM_RSRC2:TGID_Y_EN: 0
; COMPUTE_PGM_RSRC2:TGID_Z_EN: 0
; COMPUTE_PGM_RSRC2:TIDIG_COMP_CNT: 0
	.section	.text._ZL22dequantize_block_iq1_mIN3c108BFloat16EEvPKvPT_,"axG",@progbits,_ZL22dequantize_block_iq1_mIN3c108BFloat16EEvPKvPT_,comdat
	.globl	_ZL22dequantize_block_iq1_mIN3c108BFloat16EEvPKvPT_ ; -- Begin function _ZL22dequantize_block_iq1_mIN3c108BFloat16EEvPKvPT_
	.p2align	8
	.type	_ZL22dequantize_block_iq1_mIN3c108BFloat16EEvPKvPT_,@function
_ZL22dequantize_block_iq1_mIN3c108BFloat16EEvPKvPT_: ; @_ZL22dequantize_block_iq1_mIN3c108BFloat16EEvPKvPT_
; %bb.0:
	s_load_dwordx4 s[0:3], s[4:5], 0x0
	v_and_b32_e32 v5, 7, v0
	s_mov_b32 s7, 0
	v_lshrrev_b32_e32 v1, 3, v0
	s_lshl_b64 s[4:5], s[6:7], 9
	s_mul_hi_u32 s7, s6, 56
	v_lshlrev_b32_e32 v2, 2, v5
	s_mul_i32 s6, s6, 56
	v_lshrrev_b32_e32 v3, 4, v0
	v_lshlrev_b32_e32 v6, 1, v5
	v_add_nc_u32_e32 v7, v6, v3
	s_waitcnt lgkmcnt(0)
	s_add_u32 s2, s2, s4
	s_addc_u32 s3, s3, s5
	s_add_u32 s0, s0, s6
	s_addc_u32 s1, s1, s7
	v_add_co_u32 v2, s4, s0, v2
	v_add_co_ci_u32_e64 v4, null, s1, 0, s4
	v_add_co_u32 v1, vcc_lo, v2, v1
	v_add_co_ci_u32_e64 v2, null, 0, v4, vcc_lo
	s_clause 0x1
	global_load_ubyte v8, v[1:2], off
	global_load_ubyte v9, v7, s[0:1] offset:32
	v_add_nc_u16 v1, v6, v3
	v_mov_b32_e32 v2, 0
	v_lshrrev_b32_e32 v6, 1, v0
	v_and_b32_e32 v7, 3, v7
	v_and_b32_e32 v0, 0x3f8, v0
	v_lshrrev_b16 v1, 1, v1
	v_and_b32_e32 v6, 4, v6
	v_mul_u32_u24_e32 v7, 3, v7
	v_lshlrev_b32_e32 v0, 1, v0
	v_and_b32_e32 v3, 62, v1
	global_load_dwordx2 v[1:2], v2, s[0:1] offset:48
	v_add_co_u32 v3, s0, s0, v3
	v_add_co_ci_u32_e64 v4, null, s1, 0, s0
	s_getpc_b64 s[0:1]
	s_add_u32 s0, s0, _ZL13iq1s_grid_gpu@rel32@lo+4
	s_addc_u32 s1, s1, _ZL13iq1s_grid_gpu@rel32@hi+12
	global_load_ushort v3, v[3:4], off offset:48
	s_waitcnt vmcnt(2)
	v_lshrrev_b32_e32 v4, v6, v9
	v_mov_b32_e32 v9, 0x7fc0
	v_lshlrev_b32_e32 v6, 8, v4
	v_and_b32_e32 v4, 8, v4
	v_and_or_b32 v6, 0x700, v6, v8
	v_mov_b32_e32 v8, 0xf0
	s_waitcnt vmcnt(1)
	v_pk_lshrrev_b16 v1, 0x8000c, v1
	v_pk_lshrrev_b16 v2, 4, v2
	v_cmp_eq_u32_e32 vcc_lo, 0, v4
	v_lshlrev_b32_e32 v6, 3, v6
	v_and_b32_sdwa v8, v1, v8 dst_sel:DWORD dst_unused:UNUSED_PAD src0_sel:WORD_1 src1_sel:DWORD
	v_and_b32_e32 v2, 0xf0000f00, v2
	global_load_dword v6, v6, s[0:1]
	v_or_b32_e32 v1, v8, v1
	s_waitcnt vmcnt(1)
	v_lshrrev_b32_e32 v3, v7, v3
	v_mov_b32_e32 v7, 0xbf600000
	v_mov_b32_e32 v8, 1
	v_or_b32_e32 v1, v1, v2
	v_lshlrev_b32_e32 v3, 1, v3
	v_cndmask_b32_e32 v4, 0xbf900000, v7, vcc_lo
	v_or_b32_sdwa v1, v1, v2 dst_sel:DWORD dst_unused:UNUSED_PAD src0_sel:DWORD src1_sel:WORD_1
	v_and_or_b32 v3, v3, 14, 1
	v_lshlrev_b32_e32 v2, 6, v5
	v_cvt_f32_f16_e32 v1, v1
	v_cvt_f32_ubyte0_e32 v3, v3
	v_add_co_u32 v2, s0, s2, v2
	v_add_co_ci_u32_e64 v5, null, s3, 0, s0
	v_mul_f32_e32 v1, v1, v3
	s_waitcnt vmcnt(0)
	v_and_b32_e32 v3, 0xf0f0f0f, v6
	v_and_b32_e32 v7, 15, v6
	v_bfe_u32 v10, v6, 8, 4
	v_bfe_u32 v11, v6, 16, 4
	;; [unrolled: 1-line block ×4, first 2 shown]
	v_lshrrev_b32_e32 v14, 28, v6
	v_bfe_u32 v6, v6, 20, 4
	v_cvt_f32_ubyte0_e32 v7, v7
	v_cvt_f32_ubyte0_e32 v10, v10
	;; [unrolled: 1-line block ×3, first 2 shown]
	v_cvt_f32_ubyte3_e32 v3, v3
	v_cvt_f32_ubyte0_e32 v12, v12
	v_cvt_f32_ubyte0_e32 v13, v13
	;; [unrolled: 1-line block ×4, first 2 shown]
	v_add_f32_e32 v10, v4, v10
	v_add_f32_e32 v7, v4, v7
	;; [unrolled: 1-line block ×8, first 2 shown]
	v_mul_f32_e32 v6, v1, v7
	v_mul_f32_e32 v7, v1, v10
	;; [unrolled: 1-line block ×8, first 2 shown]
	v_and_b32_sdwa v13, v7, v8 dst_sel:DWORD dst_unused:UNUSED_PAD src0_sel:WORD_1 src1_sel:DWORD
	v_and_b32_sdwa v14, v6, v8 dst_sel:DWORD dst_unused:UNUSED_PAD src0_sel:WORD_1 src1_sel:DWORD
	;; [unrolled: 1-line block ×8, first 2 shown]
	v_cmp_o_f32_e32 vcc_lo, v4, v4
	v_cmp_o_f32_e64 s0, v1, v1
	v_add3_u32 v14, v6, v14, 0x7fff
	v_add3_u32 v16, v10, v16, 0x7fff
	;; [unrolled: 1-line block ×5, first 2 shown]
	v_lshrrev_b32_e32 v8, 16, v14
	v_lshrrev_b32_e32 v14, 16, v16
	;; [unrolled: 1-line block ×3, first 2 shown]
	v_cndmask_b32_sdwa v18, v9, v4, vcc_lo dst_sel:DWORD dst_unused:UNUSED_PAD src0_sel:DWORD src1_sel:WORD_1
	s_mov_b32 vcc_lo, s0
	v_add3_u32 v13, v7, v13, 0x7fff
	v_cndmask_b32_sdwa v1, v9, v1, vcc_lo dst_sel:DWORD dst_unused:UNUSED_PAD src0_sel:DWORD src1_sel:WORD_1
	v_cmp_o_f32_e32 vcc_lo, v6, v6
	v_add3_u32 v15, v3, v15, 0x7fff
	v_add3_u32 v17, v12, v17, 0x7fff
	v_lshrrev_b32_e32 v13, 16, v13
	v_cndmask_b32_e32 v6, 0x7fc0, v8, vcc_lo
	v_cmp_o_f32_e32 vcc_lo, v7, v7
	v_lshrrev_b32_e32 v15, 16, v15
	v_lshrrev_b32_e32 v17, 16, v17
	v_cndmask_b32_e32 v7, 0x7fc0, v13, vcc_lo
	v_cmp_o_f32_e32 vcc_lo, v10, v10
	v_cndmask_b32_e32 v8, 0x7fc0, v14, vcc_lo
	v_cmp_o_f32_e32 vcc_lo, v3, v3
	v_perm_b32 v3, v1, v18, 0x5040100
	v_cndmask_b32_e32 v9, 0x7fc0, v15, vcc_lo
	v_cmp_o_f32_e32 vcc_lo, v11, v11
	v_perm_b32 v1, v9, v8, 0x5040100
	v_cndmask_b32_e32 v10, 0x7fc0, v16, vcc_lo
	v_cmp_o_f32_e32 vcc_lo, v12, v12
	v_cndmask_b32_e32 v11, 0x7fc0, v17, vcc_lo
	v_add_co_u32 v4, vcc_lo, v2, v0
	v_add_co_ci_u32_e64 v5, null, 0, v5, vcc_lo
	v_perm_b32 v2, v11, v10, 0x5040100
	v_perm_b32 v0, v7, v6, 0x5040100
	global_store_dwordx4 v[4:5], v[0:3], off
	s_endpgm
	.section	.rodata,"a",@progbits
	.p2align	6, 0x0
	.amdhsa_kernel _ZL22dequantize_block_iq1_mIN3c108BFloat16EEvPKvPT_
		.amdhsa_group_segment_fixed_size 0
		.amdhsa_private_segment_fixed_size 0
		.amdhsa_kernarg_size 16
		.amdhsa_user_sgpr_count 6
		.amdhsa_user_sgpr_private_segment_buffer 1
		.amdhsa_user_sgpr_dispatch_ptr 0
		.amdhsa_user_sgpr_queue_ptr 0
		.amdhsa_user_sgpr_kernarg_segment_ptr 1
		.amdhsa_user_sgpr_dispatch_id 0
		.amdhsa_user_sgpr_flat_scratch_init 0
		.amdhsa_user_sgpr_private_segment_size 0
		.amdhsa_wavefront_size32 1
		.amdhsa_uses_dynamic_stack 0
		.amdhsa_system_sgpr_private_segment_wavefront_offset 0
		.amdhsa_system_sgpr_workgroup_id_x 1
		.amdhsa_system_sgpr_workgroup_id_y 0
		.amdhsa_system_sgpr_workgroup_id_z 0
		.amdhsa_system_sgpr_workgroup_info 0
		.amdhsa_system_vgpr_workitem_id 0
		.amdhsa_next_free_vgpr 20
		.amdhsa_next_free_sgpr 8
		.amdhsa_reserve_vcc 1
		.amdhsa_reserve_flat_scratch 0
		.amdhsa_float_round_mode_32 0
		.amdhsa_float_round_mode_16_64 0
		.amdhsa_float_denorm_mode_32 3
		.amdhsa_float_denorm_mode_16_64 3
		.amdhsa_dx10_clamp 1
		.amdhsa_ieee_mode 1
		.amdhsa_fp16_overflow 0
		.amdhsa_workgroup_processor_mode 1
		.amdhsa_memory_ordered 1
		.amdhsa_forward_progress 1
		.amdhsa_shared_vgpr_count 0
		.amdhsa_exception_fp_ieee_invalid_op 0
		.amdhsa_exception_fp_denorm_src 0
		.amdhsa_exception_fp_ieee_div_zero 0
		.amdhsa_exception_fp_ieee_overflow 0
		.amdhsa_exception_fp_ieee_underflow 0
		.amdhsa_exception_fp_ieee_inexact 0
		.amdhsa_exception_int_div_zero 0
	.end_amdhsa_kernel
	.section	.text._ZL22dequantize_block_iq1_mIN3c108BFloat16EEvPKvPT_,"axG",@progbits,_ZL22dequantize_block_iq1_mIN3c108BFloat16EEvPKvPT_,comdat
.Lfunc_end56:
	.size	_ZL22dequantize_block_iq1_mIN3c108BFloat16EEvPKvPT_, .Lfunc_end56-_ZL22dequantize_block_iq1_mIN3c108BFloat16EEvPKvPT_
                                        ; -- End function
	.set _ZL22dequantize_block_iq1_mIN3c108BFloat16EEvPKvPT_.num_vgpr, 20
	.set _ZL22dequantize_block_iq1_mIN3c108BFloat16EEvPKvPT_.num_agpr, 0
	.set _ZL22dequantize_block_iq1_mIN3c108BFloat16EEvPKvPT_.numbered_sgpr, 8
	.set _ZL22dequantize_block_iq1_mIN3c108BFloat16EEvPKvPT_.num_named_barrier, 0
	.set _ZL22dequantize_block_iq1_mIN3c108BFloat16EEvPKvPT_.private_seg_size, 0
	.set _ZL22dequantize_block_iq1_mIN3c108BFloat16EEvPKvPT_.uses_vcc, 1
	.set _ZL22dequantize_block_iq1_mIN3c108BFloat16EEvPKvPT_.uses_flat_scratch, 0
	.set _ZL22dequantize_block_iq1_mIN3c108BFloat16EEvPKvPT_.has_dyn_sized_stack, 0
	.set _ZL22dequantize_block_iq1_mIN3c108BFloat16EEvPKvPT_.has_recursion, 0
	.set _ZL22dequantize_block_iq1_mIN3c108BFloat16EEvPKvPT_.has_indirect_call, 0
	.section	.AMDGPU.csdata,"",@progbits
; Kernel info:
; codeLenInByte = 932
; TotalNumSgprs: 10
; NumVgprs: 20
; ScratchSize: 0
; MemoryBound: 0
; FloatMode: 240
; IeeeMode: 1
; LDSByteSize: 0 bytes/workgroup (compile time only)
; SGPRBlocks: 0
; VGPRBlocks: 2
; NumSGPRsForWavesPerEU: 10
; NumVGPRsForWavesPerEU: 20
; Occupancy: 16
; WaveLimiterHint : 0
; COMPUTE_PGM_RSRC2:SCRATCH_EN: 0
; COMPUTE_PGM_RSRC2:USER_SGPR: 6
; COMPUTE_PGM_RSRC2:TRAP_HANDLER: 0
; COMPUTE_PGM_RSRC2:TGID_X_EN: 1
; COMPUTE_PGM_RSRC2:TGID_Y_EN: 0
; COMPUTE_PGM_RSRC2:TGID_Z_EN: 0
; COMPUTE_PGM_RSRC2:TIDIG_COMP_CNT: 0
	.section	.text._ZL13quantize_q8_1IfEvPKT_Pvii,"axG",@progbits,_ZL13quantize_q8_1IfEvPKT_Pvii,comdat
	.globl	_ZL13quantize_q8_1IfEvPKT_Pvii  ; -- Begin function _ZL13quantize_q8_1IfEvPKT_Pvii
	.p2align	8
	.type	_ZL13quantize_q8_1IfEvPKT_Pvii,@function
_ZL13quantize_q8_1IfEvPKT_Pvii:         ; @_ZL13quantize_q8_1IfEvPKT_Pvii
; %bb.0:
	s_clause 0x1
	s_load_dword s8, s[4:5], 0x24
	s_load_dwordx2 s[0:1], s[4:5], 0x10
	s_add_u32 s2, s4, 24
	s_addc_u32 s3, s5, 0
	s_waitcnt lgkmcnt(0)
	s_and_b32 s8, s8, 0xffff
	v_mad_u64_u32 v[2:3], null, s6, s8, v[0:1]
	s_mov_b32 s6, exec_lo
	v_cmpx_gt_u32_e64 s1, v2
	s_cbranch_execz .LBB57_7
; %bb.1:
	s_load_dword s2, s[2:3], 0xc
	v_mov_b32_e32 v3, 0
	s_waitcnt lgkmcnt(0)
	s_lshr_b32 s2, s2, 16
	v_mad_u64_u32 v[0:1], null, s7, s2, v[1:2]
	v_mov_b32_e32 v1, 0
	s_mov_b32 s2, exec_lo
	v_cmpx_gt_u32_e64 s0, v2
	s_cbranch_execz .LBB57_3
; %bb.2:
	s_load_dwordx2 s[6:7], s[4:5], 0x0
	v_mad_u64_u32 v[4:5], null, v0, s0, v[2:3]
	v_mov_b32_e32 v5, 0
	v_lshlrev_b64 v[4:5], 2, v[4:5]
	s_waitcnt lgkmcnt(0)
	v_add_co_u32 v4, vcc_lo, s6, v4
	v_add_co_ci_u32_e64 v5, null, s7, v5, vcc_lo
	global_load_dword v1, v[4:5], off
.LBB57_3:
	s_or_b32 exec_lo, exec_lo, s2
	v_mbcnt_lo_u32_b32 v4, -1, 0
	s_waitcnt vmcnt(0)
	v_and_b32_e32 v6, 0x7fffffff, v1
	v_max_f32_e64 v8, |v1|, |v1|
	s_load_dwordx2 s[2:3], s[4:5], 0x8
	s_mov_b32 s0, exec_lo
	v_xor_b32_e32 v5, 16, v4
	v_xor_b32_e32 v7, 8, v4
	;; [unrolled: 1-line block ×5, first 2 shown]
	v_cmp_gt_i32_e32 vcc_lo, 32, v5
	v_cndmask_b32_e32 v5, v4, v5, vcc_lo
	v_cmp_gt_i32_e32 vcc_lo, 32, v7
	v_lshlrev_b32_e32 v5, 2, v5
	v_cndmask_b32_e32 v7, v4, v7, vcc_lo
	v_cmp_gt_i32_e32 vcc_lo, 32, v9
	ds_bpermute_b32 v6, v5, v6
	v_lshlrev_b32_e32 v7, 2, v7
	v_cndmask_b32_e32 v9, v4, v9, vcc_lo
	v_cmp_gt_i32_e32 vcc_lo, 32, v10
	ds_bpermute_b32 v5, v5, v1
	v_lshlrev_b32_e32 v9, 2, v9
	v_cndmask_b32_e32 v10, v4, v10, vcc_lo
	v_cmp_gt_i32_e32 vcc_lo, 32, v11
	v_lshlrev_b32_e32 v10, 2, v10
	v_cndmask_b32_e32 v4, v4, v11, vcc_lo
	v_lshlrev_b32_e32 v11, 2, v4
	s_waitcnt lgkmcnt(0)
	v_max_f32_e32 v6, v6, v6
	v_add_f32_e32 v5, v1, v5
	v_max_f32_e32 v6, v8, v6
	ds_bpermute_b32 v8, v7, v6
	ds_bpermute_b32 v7, v7, v5
	s_waitcnt lgkmcnt(1)
	v_max_f32_e32 v8, v8, v8
	s_waitcnt lgkmcnt(0)
	v_add_f32_e32 v5, v5, v7
	v_max_f32_e32 v6, v6, v8
	ds_bpermute_b32 v7, v9, v5
	ds_bpermute_b32 v8, v9, v6
	s_waitcnt lgkmcnt(0)
	v_max_f32_e32 v8, v8, v8
	v_max_f32_e32 v6, v6, v8
	ds_bpermute_b32 v8, v10, v6
	s_waitcnt lgkmcnt(0)
	v_max_f32_e32 v8, v8, v8
	v_max_f32_e32 v4, v6, v8
	;; [unrolled: 4-line block ×3, first 2 shown]
	v_add_f32_e32 v4, v5, v7
	v_div_scale_f32 v6, null, 0x42fe0000, 0x42fe0000, v8
	ds_bpermute_b32 v5, v10, v4
	v_div_scale_f32 v10, vcc_lo, v8, 0x42fe0000, v8
	v_rcp_f32_e32 v9, v6
	v_fma_f32 v7, -v6, v9, 1.0
	v_fmac_f32_e32 v9, v7, v9
	s_waitcnt lgkmcnt(0)
	v_add_f32_e32 v4, v4, v5
	v_mul_f32_e32 v7, v10, v9
	ds_bpermute_b32 v5, v11, v4
	v_fma_f32 v12, -v6, v7, v10
	v_fmac_f32_e32 v7, v12, v9
	v_fma_f32 v6, -v6, v7, v10
	v_div_fmas_f32 v6, v6, v9, v7
	v_div_fixup_f32 v6, v6, 0x42fe0000, v8
	v_cmpx_neq_f32_e32 0, v8
	s_cbranch_execz .LBB57_5
; %bb.4:
	v_div_scale_f32 v3, null, v6, v6, v1
	v_div_scale_f32 v9, vcc_lo, v1, v6, v1
	v_rcp_f32_e32 v7, v3
	v_fma_f32 v8, -v3, v7, 1.0
	v_fmac_f32_e32 v7, v8, v7
	v_mul_f32_e32 v8, v9, v7
	v_fma_f32 v10, -v3, v8, v9
	v_fmac_f32_e32 v8, v10, v7
	v_fma_f32 v3, -v3, v8, v9
	v_div_fmas_f32 v3, v3, v7, v8
	v_div_fixup_f32 v1, v3, v6, v1
	v_trunc_f32_e32 v3, v1
	v_sub_f32_e32 v7, v1, v3
	v_cmp_ge_f32_e64 s4, |v7|, 0.5
	v_cndmask_b32_e64 v7, 0, 1.0, s4
	v_bfi_b32 v1, 0x7fffffff, v7, v1
	v_add_f32_e32 v1, v3, v1
	v_cvt_i32_f32_e32 v3, v1
.LBB57_5:
	s_or_b32 exec_lo, exec_lo, s0
	v_mad_u64_u32 v[0:1], null, v0, s1, v[2:3]
	v_ashrrev_i32_e32 v1, 31, v0
	v_lshrrev_b32_e32 v1, 27, v1
	v_add_nc_u32_e32 v1, v0, v1
	v_and_b32_e32 v2, 0xffffffe0, v1
	v_ashrrev_i32_e32 v1, 5, v1
	v_sub_nc_u32_e32 v2, v0, v2
	v_mad_i64_i32 v[0:1], null, v1, 36, s[2:3]
	v_ashrrev_i32_e32 v8, 31, v2
	v_add_co_u32 v7, vcc_lo, v0, v2
	v_add_co_ci_u32_e64 v8, null, v1, v8, vcc_lo
	v_cmp_gt_i32_e32 vcc_lo, 1, v2
	global_store_byte v[7:8], v3, off offset:4
	s_and_b32 exec_lo, exec_lo, vcc_lo
	s_cbranch_execz .LBB57_7
; %bb.6:
	s_waitcnt lgkmcnt(0)
	v_add_f32_e32 v2, v4, v5
	v_cvt_f16_f32_e32 v3, v6
	v_cvt_f16_f32_e32 v2, v2
	v_pack_b32_f16 v2, v3, v2
	global_store_dword v[0:1], v2, off
.LBB57_7:
	s_endpgm
	.section	.rodata,"a",@progbits
	.p2align	6, 0x0
	.amdhsa_kernel _ZL13quantize_q8_1IfEvPKT_Pvii
		.amdhsa_group_segment_fixed_size 0
		.amdhsa_private_segment_fixed_size 0
		.amdhsa_kernarg_size 280
		.amdhsa_user_sgpr_count 6
		.amdhsa_user_sgpr_private_segment_buffer 1
		.amdhsa_user_sgpr_dispatch_ptr 0
		.amdhsa_user_sgpr_queue_ptr 0
		.amdhsa_user_sgpr_kernarg_segment_ptr 1
		.amdhsa_user_sgpr_dispatch_id 0
		.amdhsa_user_sgpr_flat_scratch_init 0
		.amdhsa_user_sgpr_private_segment_size 0
		.amdhsa_wavefront_size32 1
		.amdhsa_uses_dynamic_stack 0
		.amdhsa_system_sgpr_private_segment_wavefront_offset 0
		.amdhsa_system_sgpr_workgroup_id_x 1
		.amdhsa_system_sgpr_workgroup_id_y 1
		.amdhsa_system_sgpr_workgroup_id_z 0
		.amdhsa_system_sgpr_workgroup_info 0
		.amdhsa_system_vgpr_workitem_id 1
		.amdhsa_next_free_vgpr 13
		.amdhsa_next_free_sgpr 9
		.amdhsa_reserve_vcc 1
		.amdhsa_reserve_flat_scratch 0
		.amdhsa_float_round_mode_32 0
		.amdhsa_float_round_mode_16_64 0
		.amdhsa_float_denorm_mode_32 3
		.amdhsa_float_denorm_mode_16_64 3
		.amdhsa_dx10_clamp 1
		.amdhsa_ieee_mode 1
		.amdhsa_fp16_overflow 0
		.amdhsa_workgroup_processor_mode 1
		.amdhsa_memory_ordered 1
		.amdhsa_forward_progress 1
		.amdhsa_shared_vgpr_count 0
		.amdhsa_exception_fp_ieee_invalid_op 0
		.amdhsa_exception_fp_denorm_src 0
		.amdhsa_exception_fp_ieee_div_zero 0
		.amdhsa_exception_fp_ieee_overflow 0
		.amdhsa_exception_fp_ieee_underflow 0
		.amdhsa_exception_fp_ieee_inexact 0
		.amdhsa_exception_int_div_zero 0
	.end_amdhsa_kernel
	.section	.text._ZL13quantize_q8_1IfEvPKT_Pvii,"axG",@progbits,_ZL13quantize_q8_1IfEvPKT_Pvii,comdat
.Lfunc_end57:
	.size	_ZL13quantize_q8_1IfEvPKT_Pvii, .Lfunc_end57-_ZL13quantize_q8_1IfEvPKT_Pvii
                                        ; -- End function
	.set _ZL13quantize_q8_1IfEvPKT_Pvii.num_vgpr, 13
	.set _ZL13quantize_q8_1IfEvPKT_Pvii.num_agpr, 0
	.set _ZL13quantize_q8_1IfEvPKT_Pvii.numbered_sgpr, 9
	.set _ZL13quantize_q8_1IfEvPKT_Pvii.num_named_barrier, 0
	.set _ZL13quantize_q8_1IfEvPKT_Pvii.private_seg_size, 0
	.set _ZL13quantize_q8_1IfEvPKT_Pvii.uses_vcc, 1
	.set _ZL13quantize_q8_1IfEvPKT_Pvii.uses_flat_scratch, 0
	.set _ZL13quantize_q8_1IfEvPKT_Pvii.has_dyn_sized_stack, 0
	.set _ZL13quantize_q8_1IfEvPKT_Pvii.has_recursion, 0
	.set _ZL13quantize_q8_1IfEvPKT_Pvii.has_indirect_call, 0
	.section	.AMDGPU.csdata,"",@progbits
; Kernel info:
; codeLenInByte = 788
; TotalNumSgprs: 11
; NumVgprs: 13
; ScratchSize: 0
; MemoryBound: 0
; FloatMode: 240
; IeeeMode: 1
; LDSByteSize: 0 bytes/workgroup (compile time only)
; SGPRBlocks: 0
; VGPRBlocks: 1
; NumSGPRsForWavesPerEU: 11
; NumVGPRsForWavesPerEU: 13
; Occupancy: 16
; WaveLimiterHint : 0
; COMPUTE_PGM_RSRC2:SCRATCH_EN: 0
; COMPUTE_PGM_RSRC2:USER_SGPR: 6
; COMPUTE_PGM_RSRC2:TRAP_HANDLER: 0
; COMPUTE_PGM_RSRC2:TGID_X_EN: 1
; COMPUTE_PGM_RSRC2:TGID_Y_EN: 1
; COMPUTE_PGM_RSRC2:TGID_Z_EN: 0
; COMPUTE_PGM_RSRC2:TIDIG_COMP_CNT: 1
	.section	.text._ZL13mul_mat_vec_qIfLi32ELi4E10block_q4_0Li2EXadL_ZL17vec_dot_q4_0_q8_1PKvPK10block_q8_1RKiEEEvS2_S2_PT_iii,"axG",@progbits,_ZL13mul_mat_vec_qIfLi32ELi4E10block_q4_0Li2EXadL_ZL17vec_dot_q4_0_q8_1PKvPK10block_q8_1RKiEEEvS2_S2_PT_iii,comdat
	.globl	_ZL13mul_mat_vec_qIfLi32ELi4E10block_q4_0Li2EXadL_ZL17vec_dot_q4_0_q8_1PKvPK10block_q8_1RKiEEEvS2_S2_PT_iii ; -- Begin function _ZL13mul_mat_vec_qIfLi32ELi4E10block_q4_0Li2EXadL_ZL17vec_dot_q4_0_q8_1PKvPK10block_q8_1RKiEEEvS2_S2_PT_iii
	.p2align	8
	.type	_ZL13mul_mat_vec_qIfLi32ELi4E10block_q4_0Li2EXadL_ZL17vec_dot_q4_0_q8_1PKvPK10block_q8_1RKiEEEvS2_S2_PT_iii,@function
_ZL13mul_mat_vec_qIfLi32ELi4E10block_q4_0Li2EXadL_ZL17vec_dot_q4_0_q8_1PKvPK10block_q8_1RKiEEEvS2_S2_PT_iii: ; @_ZL13mul_mat_vec_qIfLi32ELi4E10block_q4_0Li2EXadL_ZL17vec_dot_q4_0_q8_1PKvPK10block_q8_1RKiEEEvS2_S2_PT_iii
; %bb.0:
	s_clause 0x1
	s_load_dword s8, s[4:5], 0x34
	s_load_dwordx4 s[0:3], s[4:5], 0x18
	s_waitcnt lgkmcnt(0)
	s_lshr_b32 s3, s8, 16
	s_cmp_lt_u32 s7, s2
	v_mad_u64_u32 v[1:2], null, s6, s3, v[1:2]
	s_cselect_b32 s2, -1, 0
	v_cmp_gt_u32_e32 vcc_lo, s1, v1
	s_and_b32 s2, s2, vcc_lo
	s_and_saveexec_b32 s3, s2
	s_cbranch_execz .LBB58_7
; %bb.1:
	s_load_dwordx2 s[2:3], s[4:5], 0x10
	s_ashr_i32 s6, s0, 31
	v_lshrrev_b32_e32 v3, 1, v0
	s_lshr_b32 s6, s6, 27
	v_mov_b32_e32 v2, 0
	s_add_i32 s6, s0, s6
	s_ashr_i32 s12, s6, 5
	s_mov_b32 s6, exec_lo
	v_cmpx_gt_u32_e64 s12, v3
	s_cbranch_execz .LBB58_5
; %bb.2:
	s_load_dwordx4 s[8:11], s[4:5], 0x0
	s_addk_i32 s0, 0x1ff
	v_lshlrev_b32_e32 v2, 3, v0
	s_ashr_i32 s4, s0, 31
	v_mul_lo_u32 v4, v1, s12
	s_lshr_b32 s4, s4, 23
	s_add_i32 s0, s0, s4
	v_and_b32_e32 v5, 8, v2
	s_ashr_i32 s0, s0, 9
	v_mov_b32_e32 v2, 0
	s_mul_i32 s0, s7, s0
	s_mov_b32 s4, 0
	s_lshl_b32 s0, s0, 4
.LBB58_3:                               ; =>This Inner Loop Header: Depth=1
	v_add_nc_u32_e32 v6, v4, v3
	v_add_nc_u32_e32 v8, s0, v3
	v_add_nc_u32_e32 v3, 16, v3
	s_waitcnt lgkmcnt(0)
	v_mad_i64_i32 v[6:7], null, v6, 18, s[8:9]
	v_mad_i64_i32 v[8:9], null, v8, 36, s[10:11]
	v_add_co_u32 v10, vcc_lo, v6, v5
	v_add_co_ci_u32_e64 v11, null, 0, v7, vcc_lo
	v_add_co_u32 v12, vcc_lo, v8, v5
	v_add_co_ci_u32_e64 v13, null, 0, v9, vcc_lo
	global_load_dwordx2 v[10:11], v[10:11], off offset:2
	s_clause 0x2
	global_load_dwordx2 v[14:15], v[12:13], off offset:4
	global_load_dwordx2 v[12:13], v[12:13], off offset:20
	global_load_dword v8, v[8:9], off
	global_load_ushort v6, v[6:7], off
	v_mov_b32_e32 v7, 0
	v_cmp_le_u32_e32 vcc_lo, s12, v3
	s_or_b32 s4, vcc_lo, s4
	s_waitcnt vmcnt(4)
	v_lshrrev_b32_e32 v9, 4, v10
	v_and_b32_e32 v10, 0xf0f0f0f, v10
	v_and_b32_e32 v9, 0xf0f0f0f, v9
	s_waitcnt vmcnt(3)
	v_dot4c_i32_i8 v7, v10, v14
	v_and_b32_e32 v10, 0xf0f0f0f, v11
	v_lshrrev_b32_e32 v11, 4, v11
	s_waitcnt vmcnt(2)
	v_dot4c_i32_i8 v7, v9, v12
	v_and_b32_e32 v9, 0xf0f0f0f, v11
	v_dot4c_i32_i8 v7, v10, v15
	s_waitcnt vmcnt(1)
	v_cvt_f32_f16_sdwa v10, v8 dst_sel:DWORD dst_unused:UNUSED_PAD src0_sel:WORD_1
	v_dot4c_i32_i8 v7, v9, v13
	v_mul_f32_e32 v9, -4.0, v10
	v_cvt_f32_i32_e32 v7, v7
	v_fma_mix_f32 v7, v7, v8, v9 op_sel_hi:[0,1,0]
	s_waitcnt vmcnt(0)
	v_fma_mix_f32 v2, v7, v6, v2 op_sel_hi:[0,1,0]
	s_andn2_b32 exec_lo, exec_lo, s4
	s_cbranch_execnz .LBB58_3
; %bb.4:
	s_or_b32 exec_lo, exec_lo, s4
.LBB58_5:
	s_or_b32 exec_lo, exec_lo, s6
	v_mbcnt_lo_u32_b32 v3, -1, 0
	v_xor_b32_e32 v4, 16, v3
	v_xor_b32_e32 v5, 8, v3
	v_cmp_gt_i32_e32 vcc_lo, 32, v4
	v_cndmask_b32_e32 v4, v3, v4, vcc_lo
	v_cmp_gt_i32_e32 vcc_lo, 32, v5
	v_lshlrev_b32_e32 v4, 2, v4
	v_cndmask_b32_e32 v5, v3, v5, vcc_lo
	ds_bpermute_b32 v4, v4, v2
	v_lshlrev_b32_e32 v5, 2, v5
	s_waitcnt lgkmcnt(0)
	v_add_f32_e32 v2, v2, v4
	ds_bpermute_b32 v4, v5, v2
	v_xor_b32_e32 v5, 4, v3
	v_cmp_gt_i32_e32 vcc_lo, 32, v5
	v_cndmask_b32_e32 v5, v3, v5, vcc_lo
	v_lshlrev_b32_e32 v5, 2, v5
	s_waitcnt lgkmcnt(0)
	v_add_f32_e32 v2, v2, v4
	ds_bpermute_b32 v4, v5, v2
	v_xor_b32_e32 v5, 2, v3
	v_cmp_gt_i32_e32 vcc_lo, 32, v5
	v_cndmask_b32_e32 v5, v3, v5, vcc_lo
	;; [unrolled: 7-line block ×3, first 2 shown]
	v_cmp_eq_u32_e32 vcc_lo, 0, v0
	v_lshlrev_b32_e32 v3, 2, v3
	s_waitcnt lgkmcnt(0)
	v_add_f32_e32 v2, v2, v4
	ds_bpermute_b32 v3, v3, v2
	s_and_b32 exec_lo, exec_lo, vcc_lo
	s_cbranch_execz .LBB58_7
; %bb.6:
	v_mad_u64_u32 v[0:1], null, s1, s7, v[1:2]
	v_mov_b32_e32 v1, 0
	s_waitcnt lgkmcnt(0)
	v_add_f32_e32 v2, v2, v3
	v_lshlrev_b64 v[0:1], 2, v[0:1]
	v_add_co_u32 v0, vcc_lo, s2, v0
	v_add_co_ci_u32_e64 v1, null, s3, v1, vcc_lo
	global_store_dword v[0:1], v2, off
.LBB58_7:
	s_endpgm
	.section	.rodata,"a",@progbits
	.p2align	6, 0x0
	.amdhsa_kernel _ZL13mul_mat_vec_qIfLi32ELi4E10block_q4_0Li2EXadL_ZL17vec_dot_q4_0_q8_1PKvPK10block_q8_1RKiEEEvS2_S2_PT_iii
		.amdhsa_group_segment_fixed_size 0
		.amdhsa_private_segment_fixed_size 0
		.amdhsa_kernarg_size 296
		.amdhsa_user_sgpr_count 6
		.amdhsa_user_sgpr_private_segment_buffer 1
		.amdhsa_user_sgpr_dispatch_ptr 0
		.amdhsa_user_sgpr_queue_ptr 0
		.amdhsa_user_sgpr_kernarg_segment_ptr 1
		.amdhsa_user_sgpr_dispatch_id 0
		.amdhsa_user_sgpr_flat_scratch_init 0
		.amdhsa_user_sgpr_private_segment_size 0
		.amdhsa_wavefront_size32 1
		.amdhsa_uses_dynamic_stack 0
		.amdhsa_system_sgpr_private_segment_wavefront_offset 0
		.amdhsa_system_sgpr_workgroup_id_x 1
		.amdhsa_system_sgpr_workgroup_id_y 1
		.amdhsa_system_sgpr_workgroup_id_z 0
		.amdhsa_system_sgpr_workgroup_info 0
		.amdhsa_system_vgpr_workitem_id 1
		.amdhsa_next_free_vgpr 16
		.amdhsa_next_free_sgpr 13
		.amdhsa_reserve_vcc 1
		.amdhsa_reserve_flat_scratch 0
		.amdhsa_float_round_mode_32 0
		.amdhsa_float_round_mode_16_64 0
		.amdhsa_float_denorm_mode_32 3
		.amdhsa_float_denorm_mode_16_64 3
		.amdhsa_dx10_clamp 1
		.amdhsa_ieee_mode 1
		.amdhsa_fp16_overflow 0
		.amdhsa_workgroup_processor_mode 1
		.amdhsa_memory_ordered 1
		.amdhsa_forward_progress 1
		.amdhsa_shared_vgpr_count 0
		.amdhsa_exception_fp_ieee_invalid_op 0
		.amdhsa_exception_fp_denorm_src 0
		.amdhsa_exception_fp_ieee_div_zero 0
		.amdhsa_exception_fp_ieee_overflow 0
		.amdhsa_exception_fp_ieee_underflow 0
		.amdhsa_exception_fp_ieee_inexact 0
		.amdhsa_exception_int_div_zero 0
	.end_amdhsa_kernel
	.section	.text._ZL13mul_mat_vec_qIfLi32ELi4E10block_q4_0Li2EXadL_ZL17vec_dot_q4_0_q8_1PKvPK10block_q8_1RKiEEEvS2_S2_PT_iii,"axG",@progbits,_ZL13mul_mat_vec_qIfLi32ELi4E10block_q4_0Li2EXadL_ZL17vec_dot_q4_0_q8_1PKvPK10block_q8_1RKiEEEvS2_S2_PT_iii,comdat
.Lfunc_end58:
	.size	_ZL13mul_mat_vec_qIfLi32ELi4E10block_q4_0Li2EXadL_ZL17vec_dot_q4_0_q8_1PKvPK10block_q8_1RKiEEEvS2_S2_PT_iii, .Lfunc_end58-_ZL13mul_mat_vec_qIfLi32ELi4E10block_q4_0Li2EXadL_ZL17vec_dot_q4_0_q8_1PKvPK10block_q8_1RKiEEEvS2_S2_PT_iii
                                        ; -- End function
	.set _ZL13mul_mat_vec_qIfLi32ELi4E10block_q4_0Li2EXadL_ZL17vec_dot_q4_0_q8_1PKvPK10block_q8_1RKiEEEvS2_S2_PT_iii.num_vgpr, 16
	.set _ZL13mul_mat_vec_qIfLi32ELi4E10block_q4_0Li2EXadL_ZL17vec_dot_q4_0_q8_1PKvPK10block_q8_1RKiEEEvS2_S2_PT_iii.num_agpr, 0
	.set _ZL13mul_mat_vec_qIfLi32ELi4E10block_q4_0Li2EXadL_ZL17vec_dot_q4_0_q8_1PKvPK10block_q8_1RKiEEEvS2_S2_PT_iii.numbered_sgpr, 13
	.set _ZL13mul_mat_vec_qIfLi32ELi4E10block_q4_0Li2EXadL_ZL17vec_dot_q4_0_q8_1PKvPK10block_q8_1RKiEEEvS2_S2_PT_iii.num_named_barrier, 0
	.set _ZL13mul_mat_vec_qIfLi32ELi4E10block_q4_0Li2EXadL_ZL17vec_dot_q4_0_q8_1PKvPK10block_q8_1RKiEEEvS2_S2_PT_iii.private_seg_size, 0
	.set _ZL13mul_mat_vec_qIfLi32ELi4E10block_q4_0Li2EXadL_ZL17vec_dot_q4_0_q8_1PKvPK10block_q8_1RKiEEEvS2_S2_PT_iii.uses_vcc, 1
	.set _ZL13mul_mat_vec_qIfLi32ELi4E10block_q4_0Li2EXadL_ZL17vec_dot_q4_0_q8_1PKvPK10block_q8_1RKiEEEvS2_S2_PT_iii.uses_flat_scratch, 0
	.set _ZL13mul_mat_vec_qIfLi32ELi4E10block_q4_0Li2EXadL_ZL17vec_dot_q4_0_q8_1PKvPK10block_q8_1RKiEEEvS2_S2_PT_iii.has_dyn_sized_stack, 0
	.set _ZL13mul_mat_vec_qIfLi32ELi4E10block_q4_0Li2EXadL_ZL17vec_dot_q4_0_q8_1PKvPK10block_q8_1RKiEEEvS2_S2_PT_iii.has_recursion, 0
	.set _ZL13mul_mat_vec_qIfLi32ELi4E10block_q4_0Li2EXadL_ZL17vec_dot_q4_0_q8_1PKvPK10block_q8_1RKiEEEvS2_S2_PT_iii.has_indirect_call, 0
	.section	.AMDGPU.csdata,"",@progbits
; Kernel info:
; codeLenInByte = 640
; TotalNumSgprs: 15
; NumVgprs: 16
; ScratchSize: 0
; MemoryBound: 0
; FloatMode: 240
; IeeeMode: 1
; LDSByteSize: 0 bytes/workgroup (compile time only)
; SGPRBlocks: 0
; VGPRBlocks: 1
; NumSGPRsForWavesPerEU: 15
; NumVGPRsForWavesPerEU: 16
; Occupancy: 16
; WaveLimiterHint : 0
; COMPUTE_PGM_RSRC2:SCRATCH_EN: 0
; COMPUTE_PGM_RSRC2:USER_SGPR: 6
; COMPUTE_PGM_RSRC2:TRAP_HANDLER: 0
; COMPUTE_PGM_RSRC2:TGID_X_EN: 1
; COMPUTE_PGM_RSRC2:TGID_Y_EN: 1
; COMPUTE_PGM_RSRC2:TGID_Z_EN: 0
; COMPUTE_PGM_RSRC2:TIDIG_COMP_CNT: 1
	.section	.text._ZL13mul_mat_vec_qIfLi32ELi4E10block_q4_1Li2EXadL_ZL17vec_dot_q4_1_q8_1PKvPK10block_q8_1RKiEEEvS2_S2_PT_iii,"axG",@progbits,_ZL13mul_mat_vec_qIfLi32ELi4E10block_q4_1Li2EXadL_ZL17vec_dot_q4_1_q8_1PKvPK10block_q8_1RKiEEEvS2_S2_PT_iii,comdat
	.globl	_ZL13mul_mat_vec_qIfLi32ELi4E10block_q4_1Li2EXadL_ZL17vec_dot_q4_1_q8_1PKvPK10block_q8_1RKiEEEvS2_S2_PT_iii ; -- Begin function _ZL13mul_mat_vec_qIfLi32ELi4E10block_q4_1Li2EXadL_ZL17vec_dot_q4_1_q8_1PKvPK10block_q8_1RKiEEEvS2_S2_PT_iii
	.p2align	8
	.type	_ZL13mul_mat_vec_qIfLi32ELi4E10block_q4_1Li2EXadL_ZL17vec_dot_q4_1_q8_1PKvPK10block_q8_1RKiEEEvS2_S2_PT_iii,@function
_ZL13mul_mat_vec_qIfLi32ELi4E10block_q4_1Li2EXadL_ZL17vec_dot_q4_1_q8_1PKvPK10block_q8_1RKiEEEvS2_S2_PT_iii: ; @_ZL13mul_mat_vec_qIfLi32ELi4E10block_q4_1Li2EXadL_ZL17vec_dot_q4_1_q8_1PKvPK10block_q8_1RKiEEEvS2_S2_PT_iii
; %bb.0:
	s_clause 0x1
	s_load_dword s8, s[4:5], 0x34
	s_load_dwordx4 s[0:3], s[4:5], 0x18
	s_waitcnt lgkmcnt(0)
	s_lshr_b32 s3, s8, 16
	s_cmp_lt_u32 s7, s2
	v_mad_u64_u32 v[1:2], null, s6, s3, v[1:2]
	s_cselect_b32 s2, -1, 0
	v_cmp_gt_u32_e32 vcc_lo, s1, v1
	s_and_b32 s2, s2, vcc_lo
	s_and_saveexec_b32 s3, s2
	s_cbranch_execz .LBB59_7
; %bb.1:
	s_load_dwordx2 s[2:3], s[4:5], 0x10
	s_ashr_i32 s6, s0, 31
	v_lshrrev_b32_e32 v3, 1, v0
	s_lshr_b32 s6, s6, 27
	v_mov_b32_e32 v2, 0
	s_add_i32 s6, s0, s6
	s_ashr_i32 s12, s6, 5
	s_mov_b32 s6, exec_lo
	v_cmpx_gt_u32_e64 s12, v3
	s_cbranch_execz .LBB59_5
; %bb.2:
	s_load_dwordx4 s[8:11], s[4:5], 0x0
	s_addk_i32 s0, 0x1ff
	v_lshlrev_b32_e32 v2, 3, v0
	s_ashr_i32 s4, s0, 31
	v_mul_lo_u32 v4, v1, s12
	s_lshr_b32 s4, s4, 23
	s_add_i32 s0, s0, s4
	v_and_b32_e32 v5, 8, v2
	s_ashr_i32 s0, s0, 9
	v_mov_b32_e32 v2, 0
	s_mul_i32 s0, s7, s0
	s_mov_b32 s4, 0
	s_lshl_b32 s0, s0, 4
.LBB59_3:                               ; =>This Inner Loop Header: Depth=1
	v_add_nc_u32_e32 v6, v4, v3
	v_add_nc_u32_e32 v8, s0, v3
	;; [unrolled: 1-line block ×3, first 2 shown]
	s_waitcnt lgkmcnt(0)
	v_mad_i64_i32 v[6:7], null, v6, 20, s[8:9]
	v_mad_i64_i32 v[8:9], null, v8, 36, s[10:11]
	v_add_co_u32 v10, vcc_lo, v6, v5
	v_add_co_ci_u32_e64 v11, null, 0, v7, vcc_lo
	v_add_co_u32 v12, vcc_lo, v8, v5
	v_add_co_ci_u32_e64 v13, null, 0, v9, vcc_lo
	global_load_dwordx2 v[10:11], v[10:11], off offset:4
	s_clause 0x1
	global_load_dwordx2 v[14:15], v[12:13], off offset:4
	global_load_dwordx2 v[12:13], v[12:13], off offset:20
	global_load_dword v6, v[6:7], off
	global_load_dword v7, v[8:9], off
	v_mov_b32_e32 v8, 0
	v_cmp_le_u32_e32 vcc_lo, s12, v3
	s_or_b32 s4, vcc_lo, s4
	s_waitcnt vmcnt(4)
	v_lshrrev_b32_e32 v9, 4, v10
	v_and_b32_e32 v10, 0xf0f0f0f, v10
	s_waitcnt vmcnt(0)
	v_pk_mul_f16 v6, v6, v7
	v_and_b32_e32 v9, 0xf0f0f0f, v9
	v_dot4c_i32_i8 v8, v10, v14
	v_and_b32_e32 v10, 0xf0f0f0f, v11
	v_lshrrev_b32_e32 v11, 4, v11
	v_dot4c_i32_i8 v8, v9, v12
	v_cvt_f32_f16_sdwa v9, v6 dst_sel:DWORD dst_unused:UNUSED_PAD src0_sel:WORD_1
	v_and_b32_e32 v7, 0xf0f0f0f, v11
	v_dot4c_i32_i8 v8, v10, v15
	v_dot4c_i32_i8 v8, v7, v13
	v_mul_f32_e32 v7, 0.5, v9
	v_cvt_f32_i32_e32 v8, v8
	v_fma_mix_f32 v6, v8, v6, v7 op_sel_hi:[0,1,0]
	v_add_f32_e32 v2, v2, v6
	s_andn2_b32 exec_lo, exec_lo, s4
	s_cbranch_execnz .LBB59_3
; %bb.4:
	s_or_b32 exec_lo, exec_lo, s4
.LBB59_5:
	s_or_b32 exec_lo, exec_lo, s6
	v_mbcnt_lo_u32_b32 v3, -1, 0
	v_xor_b32_e32 v4, 16, v3
	v_xor_b32_e32 v5, 8, v3
	v_cmp_gt_i32_e32 vcc_lo, 32, v4
	v_cndmask_b32_e32 v4, v3, v4, vcc_lo
	v_cmp_gt_i32_e32 vcc_lo, 32, v5
	v_lshlrev_b32_e32 v4, 2, v4
	v_cndmask_b32_e32 v5, v3, v5, vcc_lo
	ds_bpermute_b32 v4, v4, v2
	v_lshlrev_b32_e32 v5, 2, v5
	s_waitcnt lgkmcnt(0)
	v_add_f32_e32 v2, v2, v4
	ds_bpermute_b32 v4, v5, v2
	v_xor_b32_e32 v5, 4, v3
	v_cmp_gt_i32_e32 vcc_lo, 32, v5
	v_cndmask_b32_e32 v5, v3, v5, vcc_lo
	v_lshlrev_b32_e32 v5, 2, v5
	s_waitcnt lgkmcnt(0)
	v_add_f32_e32 v2, v2, v4
	ds_bpermute_b32 v4, v5, v2
	v_xor_b32_e32 v5, 2, v3
	v_cmp_gt_i32_e32 vcc_lo, 32, v5
	v_cndmask_b32_e32 v5, v3, v5, vcc_lo
	;; [unrolled: 7-line block ×3, first 2 shown]
	v_cmp_eq_u32_e32 vcc_lo, 0, v0
	v_lshlrev_b32_e32 v3, 2, v3
	s_waitcnt lgkmcnt(0)
	v_add_f32_e32 v2, v2, v4
	ds_bpermute_b32 v3, v3, v2
	s_and_b32 exec_lo, exec_lo, vcc_lo
	s_cbranch_execz .LBB59_7
; %bb.6:
	v_mad_u64_u32 v[0:1], null, s1, s7, v[1:2]
	v_mov_b32_e32 v1, 0
	s_waitcnt lgkmcnt(0)
	v_add_f32_e32 v2, v2, v3
	v_lshlrev_b64 v[0:1], 2, v[0:1]
	v_add_co_u32 v0, vcc_lo, s2, v0
	v_add_co_ci_u32_e64 v1, null, s3, v1, vcc_lo
	global_store_dword v[0:1], v2, off
.LBB59_7:
	s_endpgm
	.section	.rodata,"a",@progbits
	.p2align	6, 0x0
	.amdhsa_kernel _ZL13mul_mat_vec_qIfLi32ELi4E10block_q4_1Li2EXadL_ZL17vec_dot_q4_1_q8_1PKvPK10block_q8_1RKiEEEvS2_S2_PT_iii
		.amdhsa_group_segment_fixed_size 0
		.amdhsa_private_segment_fixed_size 0
		.amdhsa_kernarg_size 296
		.amdhsa_user_sgpr_count 6
		.amdhsa_user_sgpr_private_segment_buffer 1
		.amdhsa_user_sgpr_dispatch_ptr 0
		.amdhsa_user_sgpr_queue_ptr 0
		.amdhsa_user_sgpr_kernarg_segment_ptr 1
		.amdhsa_user_sgpr_dispatch_id 0
		.amdhsa_user_sgpr_flat_scratch_init 0
		.amdhsa_user_sgpr_private_segment_size 0
		.amdhsa_wavefront_size32 1
		.amdhsa_uses_dynamic_stack 0
		.amdhsa_system_sgpr_private_segment_wavefront_offset 0
		.amdhsa_system_sgpr_workgroup_id_x 1
		.amdhsa_system_sgpr_workgroup_id_y 1
		.amdhsa_system_sgpr_workgroup_id_z 0
		.amdhsa_system_sgpr_workgroup_info 0
		.amdhsa_system_vgpr_workitem_id 1
		.amdhsa_next_free_vgpr 16
		.amdhsa_next_free_sgpr 13
		.amdhsa_reserve_vcc 1
		.amdhsa_reserve_flat_scratch 0
		.amdhsa_float_round_mode_32 0
		.amdhsa_float_round_mode_16_64 0
		.amdhsa_float_denorm_mode_32 3
		.amdhsa_float_denorm_mode_16_64 3
		.amdhsa_dx10_clamp 1
		.amdhsa_ieee_mode 1
		.amdhsa_fp16_overflow 0
		.amdhsa_workgroup_processor_mode 1
		.amdhsa_memory_ordered 1
		.amdhsa_forward_progress 1
		.amdhsa_shared_vgpr_count 0
		.amdhsa_exception_fp_ieee_invalid_op 0
		.amdhsa_exception_fp_denorm_src 0
		.amdhsa_exception_fp_ieee_div_zero 0
		.amdhsa_exception_fp_ieee_overflow 0
		.amdhsa_exception_fp_ieee_underflow 0
		.amdhsa_exception_fp_ieee_inexact 0
		.amdhsa_exception_int_div_zero 0
	.end_amdhsa_kernel
	.section	.text._ZL13mul_mat_vec_qIfLi32ELi4E10block_q4_1Li2EXadL_ZL17vec_dot_q4_1_q8_1PKvPK10block_q8_1RKiEEEvS2_S2_PT_iii,"axG",@progbits,_ZL13mul_mat_vec_qIfLi32ELi4E10block_q4_1Li2EXadL_ZL17vec_dot_q4_1_q8_1PKvPK10block_q8_1RKiEEEvS2_S2_PT_iii,comdat
.Lfunc_end59:
	.size	_ZL13mul_mat_vec_qIfLi32ELi4E10block_q4_1Li2EXadL_ZL17vec_dot_q4_1_q8_1PKvPK10block_q8_1RKiEEEvS2_S2_PT_iii, .Lfunc_end59-_ZL13mul_mat_vec_qIfLi32ELi4E10block_q4_1Li2EXadL_ZL17vec_dot_q4_1_q8_1PKvPK10block_q8_1RKiEEEvS2_S2_PT_iii
                                        ; -- End function
	.set _ZL13mul_mat_vec_qIfLi32ELi4E10block_q4_1Li2EXadL_ZL17vec_dot_q4_1_q8_1PKvPK10block_q8_1RKiEEEvS2_S2_PT_iii.num_vgpr, 16
	.set _ZL13mul_mat_vec_qIfLi32ELi4E10block_q4_1Li2EXadL_ZL17vec_dot_q4_1_q8_1PKvPK10block_q8_1RKiEEEvS2_S2_PT_iii.num_agpr, 0
	.set _ZL13mul_mat_vec_qIfLi32ELi4E10block_q4_1Li2EXadL_ZL17vec_dot_q4_1_q8_1PKvPK10block_q8_1RKiEEEvS2_S2_PT_iii.numbered_sgpr, 13
	.set _ZL13mul_mat_vec_qIfLi32ELi4E10block_q4_1Li2EXadL_ZL17vec_dot_q4_1_q8_1PKvPK10block_q8_1RKiEEEvS2_S2_PT_iii.num_named_barrier, 0
	.set _ZL13mul_mat_vec_qIfLi32ELi4E10block_q4_1Li2EXadL_ZL17vec_dot_q4_1_q8_1PKvPK10block_q8_1RKiEEEvS2_S2_PT_iii.private_seg_size, 0
	.set _ZL13mul_mat_vec_qIfLi32ELi4E10block_q4_1Li2EXadL_ZL17vec_dot_q4_1_q8_1PKvPK10block_q8_1RKiEEEvS2_S2_PT_iii.uses_vcc, 1
	.set _ZL13mul_mat_vec_qIfLi32ELi4E10block_q4_1Li2EXadL_ZL17vec_dot_q4_1_q8_1PKvPK10block_q8_1RKiEEEvS2_S2_PT_iii.uses_flat_scratch, 0
	.set _ZL13mul_mat_vec_qIfLi32ELi4E10block_q4_1Li2EXadL_ZL17vec_dot_q4_1_q8_1PKvPK10block_q8_1RKiEEEvS2_S2_PT_iii.has_dyn_sized_stack, 0
	.set _ZL13mul_mat_vec_qIfLi32ELi4E10block_q4_1Li2EXadL_ZL17vec_dot_q4_1_q8_1PKvPK10block_q8_1RKiEEEvS2_S2_PT_iii.has_recursion, 0
	.set _ZL13mul_mat_vec_qIfLi32ELi4E10block_q4_1Li2EXadL_ZL17vec_dot_q4_1_q8_1PKvPK10block_q8_1RKiEEEvS2_S2_PT_iii.has_indirect_call, 0
	.section	.AMDGPU.csdata,"",@progbits
; Kernel info:
; codeLenInByte = 632
; TotalNumSgprs: 15
; NumVgprs: 16
; ScratchSize: 0
; MemoryBound: 0
; FloatMode: 240
; IeeeMode: 1
; LDSByteSize: 0 bytes/workgroup (compile time only)
; SGPRBlocks: 0
; VGPRBlocks: 1
; NumSGPRsForWavesPerEU: 15
; NumVGPRsForWavesPerEU: 16
; Occupancy: 16
; WaveLimiterHint : 0
; COMPUTE_PGM_RSRC2:SCRATCH_EN: 0
; COMPUTE_PGM_RSRC2:USER_SGPR: 6
; COMPUTE_PGM_RSRC2:TRAP_HANDLER: 0
; COMPUTE_PGM_RSRC2:TGID_X_EN: 1
; COMPUTE_PGM_RSRC2:TGID_Y_EN: 1
; COMPUTE_PGM_RSRC2:TGID_Z_EN: 0
; COMPUTE_PGM_RSRC2:TIDIG_COMP_CNT: 1
	.section	.text._ZL13mul_mat_vec_qIfLi32ELi4E10block_q5_0Li2EXadL_ZL17vec_dot_q5_0_q8_1PKvPK10block_q8_1RKiEEEvS2_S2_PT_iii,"axG",@progbits,_ZL13mul_mat_vec_qIfLi32ELi4E10block_q5_0Li2EXadL_ZL17vec_dot_q5_0_q8_1PKvPK10block_q8_1RKiEEEvS2_S2_PT_iii,comdat
	.globl	_ZL13mul_mat_vec_qIfLi32ELi4E10block_q5_0Li2EXadL_ZL17vec_dot_q5_0_q8_1PKvPK10block_q8_1RKiEEEvS2_S2_PT_iii ; -- Begin function _ZL13mul_mat_vec_qIfLi32ELi4E10block_q5_0Li2EXadL_ZL17vec_dot_q5_0_q8_1PKvPK10block_q8_1RKiEEEvS2_S2_PT_iii
	.p2align	8
	.type	_ZL13mul_mat_vec_qIfLi32ELi4E10block_q5_0Li2EXadL_ZL17vec_dot_q5_0_q8_1PKvPK10block_q8_1RKiEEEvS2_S2_PT_iii,@function
_ZL13mul_mat_vec_qIfLi32ELi4E10block_q5_0Li2EXadL_ZL17vec_dot_q5_0_q8_1PKvPK10block_q8_1RKiEEEvS2_S2_PT_iii: ; @_ZL13mul_mat_vec_qIfLi32ELi4E10block_q5_0Li2EXadL_ZL17vec_dot_q5_0_q8_1PKvPK10block_q8_1RKiEEEvS2_S2_PT_iii
; %bb.0:
	s_clause 0x1
	s_load_dword s8, s[4:5], 0x34
	s_load_dwordx4 s[0:3], s[4:5], 0x18
	s_waitcnt lgkmcnt(0)
	s_lshr_b32 s3, s8, 16
	s_cmp_lt_u32 s7, s2
	v_mad_u64_u32 v[1:2], null, s6, s3, v[1:2]
	s_cselect_b32 s2, -1, 0
	v_cmp_gt_u32_e32 vcc_lo, s1, v1
	s_and_b32 s2, s2, vcc_lo
	s_and_saveexec_b32 s3, s2
	s_cbranch_execz .LBB60_7
; %bb.1:
	s_load_dwordx2 s[2:3], s[4:5], 0x10
	s_ashr_i32 s6, s0, 31
	v_lshrrev_b32_e32 v2, 1, v0
	s_lshr_b32 s6, s6, 27
	v_mov_b32_e32 v3, 0
	s_add_i32 s6, s0, s6
	s_ashr_i32 s12, s6, 5
	s_mov_b32 s6, exec_lo
	v_cmpx_gt_u32_e64 s12, v2
	s_cbranch_execz .LBB60_5
; %bb.2:
	s_load_dwordx4 s[8:11], s[4:5], 0x0
	v_lshlrev_b32_e32 v3, 3, v0
	s_addk_i32 s0, 0x1ff
	v_mul_lo_u32 v5, v1, s12
	s_ashr_i32 s4, s0, 31
	s_lshr_b32 s4, s4, 23
	v_and_b32_e32 v4, 8, v3
	s_add_i32 s0, s0, s4
	v_mov_b32_e32 v3, 0
	s_ashr_i32 s0, s0, 9
	v_or_b32_e32 v6, 4, v4
	s_mul_i32 s0, s7, s0
	s_lshl_b32 s4, s0, 4
	s_mov_b32 s0, 0
.LBB60_3:                               ; =>This Inner Loop Header: Depth=1
	v_add_nc_u32_e32 v7, v5, v2
	v_add_nc_u32_e32 v11, s4, v2
	;; [unrolled: 1-line block ×3, first 2 shown]
	s_waitcnt lgkmcnt(0)
	v_mad_i64_i32 v[7:8], null, v7, 22, s[8:9]
	v_mad_i64_i32 v[11:12], null, v11, 36, s[10:11]
	v_add_co_u32 v9, vcc_lo, v7, v4
	v_add_co_ci_u32_e64 v10, null, 0, v8, vcc_lo
	v_add_co_u32 v13, vcc_lo, v11, v4
	s_clause 0x1
	global_load_dword v17, v[7:8], off offset:2
	global_load_dwordx2 v[9:10], v[9:10], off offset:6
	v_add_co_ci_u32_e64 v14, null, 0, v12, vcc_lo
	s_clause 0x2
	global_load_dwordx2 v[15:16], v[13:14], off offset:4
	global_load_dwordx2 v[13:14], v[13:14], off offset:20
	global_load_dword v11, v[11:12], off
	global_load_ushort v7, v[7:8], off
	v_mov_b32_e32 v8, 0
	v_cmp_le_u32_e32 vcc_lo, s12, v2
	s_or_b32 s0, vcc_lo, s0
	s_waitcnt vmcnt(5)
	v_ashrrev_i32_e32 v12, v4, v17
	v_ashrrev_i32_e32 v17, v6, v17
	s_waitcnt vmcnt(4)
	v_and_b32_e32 v18, 0xf0f0f0f, v9
	v_lshrrev_b32_e32 v9, 4, v9
	v_and_b32_e32 v26, 0xf0f0f0f, v10
	v_lshlrev_b32_e32 v19, 4, v12
	v_lshlrev_b32_e32 v20, 11, v12
	;; [unrolled: 1-line block ×4, first 2 shown]
	v_lshrrev_b32_e32 v23, 12, v12
	v_lshrrev_b32_e32 v24, 5, v12
	v_lshlrev_b32_e32 v25, 2, v12
	v_and_b32_e32 v19, 16, v19
	v_and_b32_e32 v20, 0x1000, v20
	v_lshlrev_b32_e32 v12, 9, v12
	v_lshlrev_b32_e32 v27, 4, v17
	;; [unrolled: 1-line block ×4, first 2 shown]
	v_and_b32_e32 v21, 0x100000, v21
	v_and_b32_e32 v22, 0x10000000, v22
	;; [unrolled: 1-line block ×5, first 2 shown]
	v_or3_b32 v18, v19, v18, v20
	v_lshlrev_b32_e32 v30, 25, v17
	v_lshrrev_b32_e32 v31, 12, v17
	v_lshrrev_b32_e32 v32, 5, v17
	v_lshlrev_b32_e32 v33, 2, v17
	v_and_b32_e32 v9, 0xf0f0f0f, v9
	v_and_b32_e32 v12, 0x10000000, v12
	;; [unrolled: 1-line block ×5, first 2 shown]
	v_or3_b32 v23, v24, v23, v25
	v_or3_b32 v18, v18, v21, v22
	v_lshrrev_b32_e32 v10, 4, v10
	v_lshlrev_b32_e32 v17, 9, v17
	v_and_b32_e32 v20, 0x10000000, v30
	v_and_b32_e32 v29, 16, v31
	;; [unrolled: 1-line block ×4, first 2 shown]
	v_or3_b32 v19, v28, v27, v19
	v_or3_b32 v9, v23, v12, v9
	s_waitcnt vmcnt(3)
	v_dot4c_i32_i8 v8, v18, v15
	v_and_b32_e32 v10, 0xf0f0f0f, v10
	v_and_b32_e32 v12, 0x10000000, v17
	v_or3_b32 v15, v21, v29, v22
	v_or3_b32 v17, v19, v20, v26
	s_waitcnt vmcnt(2)
	v_dot4c_i32_i8 v8, v9, v13
	v_or3_b32 v9, v15, v12, v10
	s_waitcnt vmcnt(1)
	v_cvt_f32_f16_sdwa v10, v11 dst_sel:DWORD dst_unused:UNUSED_PAD src0_sel:WORD_1
	v_dot4c_i32_i8 v8, v17, v16
	v_dot4c_i32_i8 v8, v9, v14
	v_mul_f32_e32 v9, 0xc1000000, v10
	v_cvt_f32_i32_e32 v8, v8
	v_fma_mix_f32 v8, v11, v8, v9 op_sel_hi:[1,0,0]
	s_waitcnt vmcnt(0)
	v_fma_mix_f32 v3, v8, v7, v3 op_sel_hi:[0,1,0]
	s_andn2_b32 exec_lo, exec_lo, s0
	s_cbranch_execnz .LBB60_3
; %bb.4:
	s_or_b32 exec_lo, exec_lo, s0
.LBB60_5:
	s_or_b32 exec_lo, exec_lo, s6
	v_mbcnt_lo_u32_b32 v2, -1, 0
	v_xor_b32_e32 v4, 16, v2
	v_xor_b32_e32 v5, 8, v2
	v_cmp_gt_i32_e32 vcc_lo, 32, v4
	v_cndmask_b32_e32 v4, v2, v4, vcc_lo
	v_cmp_gt_i32_e32 vcc_lo, 32, v5
	v_lshlrev_b32_e32 v4, 2, v4
	v_cndmask_b32_e32 v5, v2, v5, vcc_lo
	ds_bpermute_b32 v4, v4, v3
	v_lshlrev_b32_e32 v5, 2, v5
	s_waitcnt lgkmcnt(0)
	v_add_f32_e32 v3, v3, v4
	ds_bpermute_b32 v4, v5, v3
	v_xor_b32_e32 v5, 4, v2
	v_cmp_gt_i32_e32 vcc_lo, 32, v5
	v_cndmask_b32_e32 v5, v2, v5, vcc_lo
	v_lshlrev_b32_e32 v5, 2, v5
	s_waitcnt lgkmcnt(0)
	v_add_f32_e32 v3, v3, v4
	ds_bpermute_b32 v4, v5, v3
	v_xor_b32_e32 v5, 2, v2
	v_cmp_gt_i32_e32 vcc_lo, 32, v5
	v_cndmask_b32_e32 v5, v2, v5, vcc_lo
	v_lshlrev_b32_e32 v5, 2, v5
	s_waitcnt lgkmcnt(0)
	v_add_f32_e32 v3, v3, v4
	ds_bpermute_b32 v4, v5, v3
	v_xor_b32_e32 v5, 1, v2
	v_cmp_gt_i32_e32 vcc_lo, 32, v5
	v_cndmask_b32_e32 v5, v2, v5, vcc_lo
	v_cmp_eq_u32_e32 vcc_lo, 0, v0
	s_waitcnt lgkmcnt(0)
	v_add_f32_e32 v2, v3, v4
	v_lshlrev_b32_e32 v3, 2, v5
	ds_bpermute_b32 v3, v3, v2
	s_and_b32 exec_lo, exec_lo, vcc_lo
	s_cbranch_execz .LBB60_7
; %bb.6:
	v_mad_u64_u32 v[0:1], null, s1, s7, v[1:2]
	v_mov_b32_e32 v1, 0
	s_waitcnt lgkmcnt(0)
	v_add_f32_e32 v2, v2, v3
	v_lshlrev_b64 v[0:1], 2, v[0:1]
	v_add_co_u32 v0, vcc_lo, s2, v0
	v_add_co_ci_u32_e64 v1, null, s3, v1, vcc_lo
	global_store_dword v[0:1], v2, off
.LBB60_7:
	s_endpgm
	.section	.rodata,"a",@progbits
	.p2align	6, 0x0
	.amdhsa_kernel _ZL13mul_mat_vec_qIfLi32ELi4E10block_q5_0Li2EXadL_ZL17vec_dot_q5_0_q8_1PKvPK10block_q8_1RKiEEEvS2_S2_PT_iii
		.amdhsa_group_segment_fixed_size 0
		.amdhsa_private_segment_fixed_size 0
		.amdhsa_kernarg_size 296
		.amdhsa_user_sgpr_count 6
		.amdhsa_user_sgpr_private_segment_buffer 1
		.amdhsa_user_sgpr_dispatch_ptr 0
		.amdhsa_user_sgpr_queue_ptr 0
		.amdhsa_user_sgpr_kernarg_segment_ptr 1
		.amdhsa_user_sgpr_dispatch_id 0
		.amdhsa_user_sgpr_flat_scratch_init 0
		.amdhsa_user_sgpr_private_segment_size 0
		.amdhsa_wavefront_size32 1
		.amdhsa_uses_dynamic_stack 0
		.amdhsa_system_sgpr_private_segment_wavefront_offset 0
		.amdhsa_system_sgpr_workgroup_id_x 1
		.amdhsa_system_sgpr_workgroup_id_y 1
		.amdhsa_system_sgpr_workgroup_id_z 0
		.amdhsa_system_sgpr_workgroup_info 0
		.amdhsa_system_vgpr_workitem_id 1
		.amdhsa_next_free_vgpr 34
		.amdhsa_next_free_sgpr 13
		.amdhsa_reserve_vcc 1
		.amdhsa_reserve_flat_scratch 0
		.amdhsa_float_round_mode_32 0
		.amdhsa_float_round_mode_16_64 0
		.amdhsa_float_denorm_mode_32 3
		.amdhsa_float_denorm_mode_16_64 3
		.amdhsa_dx10_clamp 1
		.amdhsa_ieee_mode 1
		.amdhsa_fp16_overflow 0
		.amdhsa_workgroup_processor_mode 1
		.amdhsa_memory_ordered 1
		.amdhsa_forward_progress 1
		.amdhsa_shared_vgpr_count 0
		.amdhsa_exception_fp_ieee_invalid_op 0
		.amdhsa_exception_fp_denorm_src 0
		.amdhsa_exception_fp_ieee_div_zero 0
		.amdhsa_exception_fp_ieee_overflow 0
		.amdhsa_exception_fp_ieee_underflow 0
		.amdhsa_exception_fp_ieee_inexact 0
		.amdhsa_exception_int_div_zero 0
	.end_amdhsa_kernel
	.section	.text._ZL13mul_mat_vec_qIfLi32ELi4E10block_q5_0Li2EXadL_ZL17vec_dot_q5_0_q8_1PKvPK10block_q8_1RKiEEEvS2_S2_PT_iii,"axG",@progbits,_ZL13mul_mat_vec_qIfLi32ELi4E10block_q5_0Li2EXadL_ZL17vec_dot_q5_0_q8_1PKvPK10block_q8_1RKiEEEvS2_S2_PT_iii,comdat
.Lfunc_end60:
	.size	_ZL13mul_mat_vec_qIfLi32ELi4E10block_q5_0Li2EXadL_ZL17vec_dot_q5_0_q8_1PKvPK10block_q8_1RKiEEEvS2_S2_PT_iii, .Lfunc_end60-_ZL13mul_mat_vec_qIfLi32ELi4E10block_q5_0Li2EXadL_ZL17vec_dot_q5_0_q8_1PKvPK10block_q8_1RKiEEEvS2_S2_PT_iii
                                        ; -- End function
	.set _ZL13mul_mat_vec_qIfLi32ELi4E10block_q5_0Li2EXadL_ZL17vec_dot_q5_0_q8_1PKvPK10block_q8_1RKiEEEvS2_S2_PT_iii.num_vgpr, 34
	.set _ZL13mul_mat_vec_qIfLi32ELi4E10block_q5_0Li2EXadL_ZL17vec_dot_q5_0_q8_1PKvPK10block_q8_1RKiEEEvS2_S2_PT_iii.num_agpr, 0
	.set _ZL13mul_mat_vec_qIfLi32ELi4E10block_q5_0Li2EXadL_ZL17vec_dot_q5_0_q8_1PKvPK10block_q8_1RKiEEEvS2_S2_PT_iii.numbered_sgpr, 13
	.set _ZL13mul_mat_vec_qIfLi32ELi4E10block_q5_0Li2EXadL_ZL17vec_dot_q5_0_q8_1PKvPK10block_q8_1RKiEEEvS2_S2_PT_iii.num_named_barrier, 0
	.set _ZL13mul_mat_vec_qIfLi32ELi4E10block_q5_0Li2EXadL_ZL17vec_dot_q5_0_q8_1PKvPK10block_q8_1RKiEEEvS2_S2_PT_iii.private_seg_size, 0
	.set _ZL13mul_mat_vec_qIfLi32ELi4E10block_q5_0Li2EXadL_ZL17vec_dot_q5_0_q8_1PKvPK10block_q8_1RKiEEEvS2_S2_PT_iii.uses_vcc, 1
	.set _ZL13mul_mat_vec_qIfLi32ELi4E10block_q5_0Li2EXadL_ZL17vec_dot_q5_0_q8_1PKvPK10block_q8_1RKiEEEvS2_S2_PT_iii.uses_flat_scratch, 0
	.set _ZL13mul_mat_vec_qIfLi32ELi4E10block_q5_0Li2EXadL_ZL17vec_dot_q5_0_q8_1PKvPK10block_q8_1RKiEEEvS2_S2_PT_iii.has_dyn_sized_stack, 0
	.set _ZL13mul_mat_vec_qIfLi32ELi4E10block_q5_0Li2EXadL_ZL17vec_dot_q5_0_q8_1PKvPK10block_q8_1RKiEEEvS2_S2_PT_iii.has_recursion, 0
	.set _ZL13mul_mat_vec_qIfLi32ELi4E10block_q5_0Li2EXadL_ZL17vec_dot_q5_0_q8_1PKvPK10block_q8_1RKiEEEvS2_S2_PT_iii.has_indirect_call, 0
	.section	.AMDGPU.csdata,"",@progbits
; Kernel info:
; codeLenInByte = 912
; TotalNumSgprs: 15
; NumVgprs: 34
; ScratchSize: 0
; MemoryBound: 0
; FloatMode: 240
; IeeeMode: 1
; LDSByteSize: 0 bytes/workgroup (compile time only)
; SGPRBlocks: 0
; VGPRBlocks: 4
; NumSGPRsForWavesPerEU: 15
; NumVGPRsForWavesPerEU: 34
; Occupancy: 16
; WaveLimiterHint : 0
; COMPUTE_PGM_RSRC2:SCRATCH_EN: 0
; COMPUTE_PGM_RSRC2:USER_SGPR: 6
; COMPUTE_PGM_RSRC2:TRAP_HANDLER: 0
; COMPUTE_PGM_RSRC2:TGID_X_EN: 1
; COMPUTE_PGM_RSRC2:TGID_Y_EN: 1
; COMPUTE_PGM_RSRC2:TGID_Z_EN: 0
; COMPUTE_PGM_RSRC2:TIDIG_COMP_CNT: 1
	.section	.text._ZL13mul_mat_vec_qIfLi32ELi4E10block_q5_1Li2EXadL_ZL17vec_dot_q5_1_q8_1PKvPK10block_q8_1RKiEEEvS2_S2_PT_iii,"axG",@progbits,_ZL13mul_mat_vec_qIfLi32ELi4E10block_q5_1Li2EXadL_ZL17vec_dot_q5_1_q8_1PKvPK10block_q8_1RKiEEEvS2_S2_PT_iii,comdat
	.globl	_ZL13mul_mat_vec_qIfLi32ELi4E10block_q5_1Li2EXadL_ZL17vec_dot_q5_1_q8_1PKvPK10block_q8_1RKiEEEvS2_S2_PT_iii ; -- Begin function _ZL13mul_mat_vec_qIfLi32ELi4E10block_q5_1Li2EXadL_ZL17vec_dot_q5_1_q8_1PKvPK10block_q8_1RKiEEEvS2_S2_PT_iii
	.p2align	8
	.type	_ZL13mul_mat_vec_qIfLi32ELi4E10block_q5_1Li2EXadL_ZL17vec_dot_q5_1_q8_1PKvPK10block_q8_1RKiEEEvS2_S2_PT_iii,@function
_ZL13mul_mat_vec_qIfLi32ELi4E10block_q5_1Li2EXadL_ZL17vec_dot_q5_1_q8_1PKvPK10block_q8_1RKiEEEvS2_S2_PT_iii: ; @_ZL13mul_mat_vec_qIfLi32ELi4E10block_q5_1Li2EXadL_ZL17vec_dot_q5_1_q8_1PKvPK10block_q8_1RKiEEEvS2_S2_PT_iii
; %bb.0:
	s_clause 0x1
	s_load_dword s8, s[4:5], 0x34
	s_load_dwordx4 s[0:3], s[4:5], 0x18
	s_waitcnt lgkmcnt(0)
	s_lshr_b32 s3, s8, 16
	s_cmp_lt_u32 s7, s2
	v_mad_u64_u32 v[1:2], null, s6, s3, v[1:2]
	s_cselect_b32 s2, -1, 0
	v_cmp_gt_u32_e32 vcc_lo, s1, v1
	s_and_b32 s2, s2, vcc_lo
	s_and_saveexec_b32 s3, s2
	s_cbranch_execz .LBB61_7
; %bb.1:
	s_load_dwordx2 s[2:3], s[4:5], 0x10
	s_ashr_i32 s6, s0, 31
	v_lshrrev_b32_e32 v2, 1, v0
	s_lshr_b32 s6, s6, 27
	v_mov_b32_e32 v3, 0
	s_add_i32 s6, s0, s6
	s_ashr_i32 s12, s6, 5
	s_mov_b32 s6, exec_lo
	v_cmpx_gt_u32_e64 s12, v2
	s_cbranch_execz .LBB61_5
; %bb.2:
	s_load_dwordx4 s[8:11], s[4:5], 0x0
	v_lshlrev_b32_e32 v3, 3, v0
	s_addk_i32 s0, 0x1ff
	v_mul_lo_u32 v5, v1, s12
	s_ashr_i32 s4, s0, 31
	s_lshr_b32 s4, s4, 23
	v_and_b32_e32 v4, 8, v3
	s_add_i32 s0, s0, s4
	v_mov_b32_e32 v3, 0
	s_ashr_i32 s0, s0, 9
	v_or_b32_e32 v6, 4, v4
	s_mul_i32 s0, s7, s0
	s_lshl_b32 s4, s0, 4
	s_mov_b32 s0, 0
.LBB61_3:                               ; =>This Inner Loop Header: Depth=1
	v_add_nc_u32_e32 v7, v5, v2
	v_add_nc_u32_e32 v11, s4, v2
	;; [unrolled: 1-line block ×3, first 2 shown]
	s_waitcnt lgkmcnt(0)
	v_mad_i64_i32 v[7:8], null, v7, 24, s[8:9]
	v_mad_i64_i32 v[11:12], null, v11, 36, s[10:11]
	v_add_co_u32 v9, vcc_lo, v7, v4
	v_add_co_ci_u32_e64 v10, null, 0, v8, vcc_lo
	v_add_co_u32 v13, vcc_lo, v11, v4
	s_clause 0x1
	global_load_dwordx2 v[7:8], v[7:8], off
	global_load_dwordx2 v[9:10], v[9:10], off offset:8
	v_add_co_ci_u32_e64 v14, null, 0, v12, vcc_lo
	s_clause 0x2
	global_load_dwordx2 v[15:16], v[13:14], off offset:4
	global_load_dwordx2 v[13:14], v[13:14], off offset:20
	global_load_dword v11, v[11:12], off
	v_mov_b32_e32 v12, 0
	v_cmp_le_u32_e32 vcc_lo, s12, v2
	s_or_b32 s0, vcc_lo, s0
	s_waitcnt vmcnt(4)
	v_ashrrev_i32_e32 v17, v4, v8
	v_ashrrev_i32_e32 v8, v6, v8
	s_waitcnt vmcnt(3)
	v_and_b32_e32 v18, 0xf0f0f0f, v9
	v_lshrrev_b32_e32 v9, 4, v9
	v_and_b32_e32 v26, 0xf0f0f0f, v10
	v_lshlrev_b32_e32 v19, 4, v17
	v_lshlrev_b32_e32 v20, 11, v17
	;; [unrolled: 1-line block ×4, first 2 shown]
	v_lshrrev_b32_e32 v23, 12, v17
	v_lshrrev_b32_e32 v24, 5, v17
	v_lshlrev_b32_e32 v25, 2, v17
	v_and_b32_e32 v19, 16, v19
	v_and_b32_e32 v20, 0x1000, v20
	v_lshlrev_b32_e32 v17, 9, v17
	v_lshlrev_b32_e32 v27, 4, v8
	;; [unrolled: 1-line block ×4, first 2 shown]
	v_and_b32_e32 v21, 0x100000, v21
	v_and_b32_e32 v22, 0x10000000, v22
	;; [unrolled: 1-line block ×5, first 2 shown]
	v_or3_b32 v18, v19, v18, v20
	v_lshlrev_b32_e32 v30, 25, v8
	v_lshrrev_b32_e32 v31, 12, v8
	v_lshrrev_b32_e32 v32, 5, v8
	v_lshlrev_b32_e32 v33, 2, v8
	v_and_b32_e32 v9, 0xf0f0f0f, v9
	v_and_b32_e32 v17, 0x10000000, v17
	v_and_b32_e32 v27, 16, v27
	v_and_b32_e32 v28, 0x1000, v28
	v_and_b32_e32 v19, 0x100000, v29
	v_or3_b32 v23, v24, v23, v25
	v_or3_b32 v18, v18, v21, v22
	v_lshrrev_b32_e32 v10, 4, v10
	v_lshlrev_b32_e32 v8, 9, v8
	v_and_b32_e32 v20, 0x10000000, v30
	v_and_b32_e32 v29, 16, v31
	;; [unrolled: 1-line block ×4, first 2 shown]
	v_or3_b32 v19, v28, v27, v19
	v_or3_b32 v9, v23, v17, v9
	s_waitcnt vmcnt(2)
	v_dot4c_i32_i8 v12, v18, v15
	v_and_b32_e32 v10, 0xf0f0f0f, v10
	v_and_b32_e32 v8, 0x10000000, v8
	v_or3_b32 v15, v21, v29, v22
	v_or3_b32 v17, v19, v20, v26
	s_waitcnt vmcnt(1)
	v_dot4c_i32_i8 v12, v9, v13
	s_waitcnt vmcnt(0)
	v_pk_mul_f16 v7, v7, v11
	v_or3_b32 v8, v15, v8, v10
	v_dot4c_i32_i8 v12, v17, v16
	v_cvt_f32_f16_sdwa v9, v7 dst_sel:DWORD dst_unused:UNUSED_PAD src0_sel:WORD_1
	v_dot4c_i32_i8 v12, v8, v14
	v_mul_f32_e32 v8, 0.5, v9
	v_cvt_f32_i32_e32 v9, v12
	v_fma_mix_f32 v7, v9, v7, v8 op_sel_hi:[0,1,0]
	v_add_f32_e32 v3, v3, v7
	s_andn2_b32 exec_lo, exec_lo, s0
	s_cbranch_execnz .LBB61_3
; %bb.4:
	s_or_b32 exec_lo, exec_lo, s0
.LBB61_5:
	s_or_b32 exec_lo, exec_lo, s6
	v_mbcnt_lo_u32_b32 v2, -1, 0
	v_xor_b32_e32 v4, 16, v2
	v_xor_b32_e32 v5, 8, v2
	v_cmp_gt_i32_e32 vcc_lo, 32, v4
	v_cndmask_b32_e32 v4, v2, v4, vcc_lo
	v_cmp_gt_i32_e32 vcc_lo, 32, v5
	v_lshlrev_b32_e32 v4, 2, v4
	v_cndmask_b32_e32 v5, v2, v5, vcc_lo
	ds_bpermute_b32 v4, v4, v3
	v_lshlrev_b32_e32 v5, 2, v5
	s_waitcnt lgkmcnt(0)
	v_add_f32_e32 v3, v3, v4
	ds_bpermute_b32 v4, v5, v3
	v_xor_b32_e32 v5, 4, v2
	v_cmp_gt_i32_e32 vcc_lo, 32, v5
	v_cndmask_b32_e32 v5, v2, v5, vcc_lo
	v_lshlrev_b32_e32 v5, 2, v5
	s_waitcnt lgkmcnt(0)
	v_add_f32_e32 v3, v3, v4
	ds_bpermute_b32 v4, v5, v3
	v_xor_b32_e32 v5, 2, v2
	v_cmp_gt_i32_e32 vcc_lo, 32, v5
	v_cndmask_b32_e32 v5, v2, v5, vcc_lo
	;; [unrolled: 7-line block ×3, first 2 shown]
	v_cmp_eq_u32_e32 vcc_lo, 0, v0
	s_waitcnt lgkmcnt(0)
	v_add_f32_e32 v2, v3, v4
	v_lshlrev_b32_e32 v3, 2, v5
	ds_bpermute_b32 v3, v3, v2
	s_and_b32 exec_lo, exec_lo, vcc_lo
	s_cbranch_execz .LBB61_7
; %bb.6:
	v_mad_u64_u32 v[0:1], null, s1, s7, v[1:2]
	v_mov_b32_e32 v1, 0
	s_waitcnt lgkmcnt(0)
	v_add_f32_e32 v2, v2, v3
	v_lshlrev_b64 v[0:1], 2, v[0:1]
	v_add_co_u32 v0, vcc_lo, s2, v0
	v_add_co_ci_u32_e64 v1, null, s3, v1, vcc_lo
	global_store_dword v[0:1], v2, off
.LBB61_7:
	s_endpgm
	.section	.rodata,"a",@progbits
	.p2align	6, 0x0
	.amdhsa_kernel _ZL13mul_mat_vec_qIfLi32ELi4E10block_q5_1Li2EXadL_ZL17vec_dot_q5_1_q8_1PKvPK10block_q8_1RKiEEEvS2_S2_PT_iii
		.amdhsa_group_segment_fixed_size 0
		.amdhsa_private_segment_fixed_size 0
		.amdhsa_kernarg_size 296
		.amdhsa_user_sgpr_count 6
		.amdhsa_user_sgpr_private_segment_buffer 1
		.amdhsa_user_sgpr_dispatch_ptr 0
		.amdhsa_user_sgpr_queue_ptr 0
		.amdhsa_user_sgpr_kernarg_segment_ptr 1
		.amdhsa_user_sgpr_dispatch_id 0
		.amdhsa_user_sgpr_flat_scratch_init 0
		.amdhsa_user_sgpr_private_segment_size 0
		.amdhsa_wavefront_size32 1
		.amdhsa_uses_dynamic_stack 0
		.amdhsa_system_sgpr_private_segment_wavefront_offset 0
		.amdhsa_system_sgpr_workgroup_id_x 1
		.amdhsa_system_sgpr_workgroup_id_y 1
		.amdhsa_system_sgpr_workgroup_id_z 0
		.amdhsa_system_sgpr_workgroup_info 0
		.amdhsa_system_vgpr_workitem_id 1
		.amdhsa_next_free_vgpr 34
		.amdhsa_next_free_sgpr 13
		.amdhsa_reserve_vcc 1
		.amdhsa_reserve_flat_scratch 0
		.amdhsa_float_round_mode_32 0
		.amdhsa_float_round_mode_16_64 0
		.amdhsa_float_denorm_mode_32 3
		.amdhsa_float_denorm_mode_16_64 3
		.amdhsa_dx10_clamp 1
		.amdhsa_ieee_mode 1
		.amdhsa_fp16_overflow 0
		.amdhsa_workgroup_processor_mode 1
		.amdhsa_memory_ordered 1
		.amdhsa_forward_progress 1
		.amdhsa_shared_vgpr_count 0
		.amdhsa_exception_fp_ieee_invalid_op 0
		.amdhsa_exception_fp_denorm_src 0
		.amdhsa_exception_fp_ieee_div_zero 0
		.amdhsa_exception_fp_ieee_overflow 0
		.amdhsa_exception_fp_ieee_underflow 0
		.amdhsa_exception_fp_ieee_inexact 0
		.amdhsa_exception_int_div_zero 0
	.end_amdhsa_kernel
	.section	.text._ZL13mul_mat_vec_qIfLi32ELi4E10block_q5_1Li2EXadL_ZL17vec_dot_q5_1_q8_1PKvPK10block_q8_1RKiEEEvS2_S2_PT_iii,"axG",@progbits,_ZL13mul_mat_vec_qIfLi32ELi4E10block_q5_1Li2EXadL_ZL17vec_dot_q5_1_q8_1PKvPK10block_q8_1RKiEEEvS2_S2_PT_iii,comdat
.Lfunc_end61:
	.size	_ZL13mul_mat_vec_qIfLi32ELi4E10block_q5_1Li2EXadL_ZL17vec_dot_q5_1_q8_1PKvPK10block_q8_1RKiEEEvS2_S2_PT_iii, .Lfunc_end61-_ZL13mul_mat_vec_qIfLi32ELi4E10block_q5_1Li2EXadL_ZL17vec_dot_q5_1_q8_1PKvPK10block_q8_1RKiEEEvS2_S2_PT_iii
                                        ; -- End function
	.set _ZL13mul_mat_vec_qIfLi32ELi4E10block_q5_1Li2EXadL_ZL17vec_dot_q5_1_q8_1PKvPK10block_q8_1RKiEEEvS2_S2_PT_iii.num_vgpr, 34
	.set _ZL13mul_mat_vec_qIfLi32ELi4E10block_q5_1Li2EXadL_ZL17vec_dot_q5_1_q8_1PKvPK10block_q8_1RKiEEEvS2_S2_PT_iii.num_agpr, 0
	.set _ZL13mul_mat_vec_qIfLi32ELi4E10block_q5_1Li2EXadL_ZL17vec_dot_q5_1_q8_1PKvPK10block_q8_1RKiEEEvS2_S2_PT_iii.numbered_sgpr, 13
	.set _ZL13mul_mat_vec_qIfLi32ELi4E10block_q5_1Li2EXadL_ZL17vec_dot_q5_1_q8_1PKvPK10block_q8_1RKiEEEvS2_S2_PT_iii.num_named_barrier, 0
	.set _ZL13mul_mat_vec_qIfLi32ELi4E10block_q5_1Li2EXadL_ZL17vec_dot_q5_1_q8_1PKvPK10block_q8_1RKiEEEvS2_S2_PT_iii.private_seg_size, 0
	.set _ZL13mul_mat_vec_qIfLi32ELi4E10block_q5_1Li2EXadL_ZL17vec_dot_q5_1_q8_1PKvPK10block_q8_1RKiEEEvS2_S2_PT_iii.uses_vcc, 1
	.set _ZL13mul_mat_vec_qIfLi32ELi4E10block_q5_1Li2EXadL_ZL17vec_dot_q5_1_q8_1PKvPK10block_q8_1RKiEEEvS2_S2_PT_iii.uses_flat_scratch, 0
	.set _ZL13mul_mat_vec_qIfLi32ELi4E10block_q5_1Li2EXadL_ZL17vec_dot_q5_1_q8_1PKvPK10block_q8_1RKiEEEvS2_S2_PT_iii.has_dyn_sized_stack, 0
	.set _ZL13mul_mat_vec_qIfLi32ELi4E10block_q5_1Li2EXadL_ZL17vec_dot_q5_1_q8_1PKvPK10block_q8_1RKiEEEvS2_S2_PT_iii.has_recursion, 0
	.set _ZL13mul_mat_vec_qIfLi32ELi4E10block_q5_1Li2EXadL_ZL17vec_dot_q5_1_q8_1PKvPK10block_q8_1RKiEEEvS2_S2_PT_iii.has_indirect_call, 0
	.section	.AMDGPU.csdata,"",@progbits
; Kernel info:
; codeLenInByte = 900
; TotalNumSgprs: 15
; NumVgprs: 34
; ScratchSize: 0
; MemoryBound: 0
; FloatMode: 240
; IeeeMode: 1
; LDSByteSize: 0 bytes/workgroup (compile time only)
; SGPRBlocks: 0
; VGPRBlocks: 4
; NumSGPRsForWavesPerEU: 15
; NumVGPRsForWavesPerEU: 34
; Occupancy: 16
; WaveLimiterHint : 0
; COMPUTE_PGM_RSRC2:SCRATCH_EN: 0
; COMPUTE_PGM_RSRC2:USER_SGPR: 6
; COMPUTE_PGM_RSRC2:TRAP_HANDLER: 0
; COMPUTE_PGM_RSRC2:TGID_X_EN: 1
; COMPUTE_PGM_RSRC2:TGID_Y_EN: 1
; COMPUTE_PGM_RSRC2:TGID_Z_EN: 0
; COMPUTE_PGM_RSRC2:TIDIG_COMP_CNT: 1
	.section	.text._ZL13mul_mat_vec_qIfLi32ELi8E10block_q8_0Li2EXadL_ZL17vec_dot_q8_0_q8_1PKvPK10block_q8_1RKiEEEvS2_S2_PT_iii,"axG",@progbits,_ZL13mul_mat_vec_qIfLi32ELi8E10block_q8_0Li2EXadL_ZL17vec_dot_q8_0_q8_1PKvPK10block_q8_1RKiEEEvS2_S2_PT_iii,comdat
	.globl	_ZL13mul_mat_vec_qIfLi32ELi8E10block_q8_0Li2EXadL_ZL17vec_dot_q8_0_q8_1PKvPK10block_q8_1RKiEEEvS2_S2_PT_iii ; -- Begin function _ZL13mul_mat_vec_qIfLi32ELi8E10block_q8_0Li2EXadL_ZL17vec_dot_q8_0_q8_1PKvPK10block_q8_1RKiEEEvS2_S2_PT_iii
	.p2align	8
	.type	_ZL13mul_mat_vec_qIfLi32ELi8E10block_q8_0Li2EXadL_ZL17vec_dot_q8_0_q8_1PKvPK10block_q8_1RKiEEEvS2_S2_PT_iii,@function
_ZL13mul_mat_vec_qIfLi32ELi8E10block_q8_0Li2EXadL_ZL17vec_dot_q8_0_q8_1PKvPK10block_q8_1RKiEEEvS2_S2_PT_iii: ; @_ZL13mul_mat_vec_qIfLi32ELi8E10block_q8_0Li2EXadL_ZL17vec_dot_q8_0_q8_1PKvPK10block_q8_1RKiEEEvS2_S2_PT_iii
; %bb.0:
	s_clause 0x1
	s_load_dword s8, s[4:5], 0x34
	s_load_dwordx4 s[0:3], s[4:5], 0x18
	s_waitcnt lgkmcnt(0)
	s_lshr_b32 s3, s8, 16
	s_cmp_lt_u32 s7, s2
	v_mad_u64_u32 v[1:2], null, s6, s3, v[1:2]
	s_cselect_b32 s2, -1, 0
	v_cmp_gt_u32_e32 vcc_lo, s1, v1
	s_and_b32 s2, s2, vcc_lo
	s_and_saveexec_b32 s3, s2
	s_cbranch_execz .LBB62_7
; %bb.1:
	s_load_dwordx2 s[2:3], s[4:5], 0x10
	s_ashr_i32 s6, s0, 31
	v_lshrrev_b32_e32 v3, 2, v0
	s_lshr_b32 s6, s6, 27
	v_mov_b32_e32 v2, 0
	s_add_i32 s6, s0, s6
	s_ashr_i32 s12, s6, 5
	s_mov_b32 s6, exec_lo
	v_cmpx_gt_u32_e64 s12, v3
	s_cbranch_execz .LBB62_5
; %bb.2:
	s_load_dwordx4 s[8:11], s[4:5], 0x0
	s_addk_i32 s0, 0x1ff
	v_lshlrev_b32_e32 v2, 3, v0
	s_ashr_i32 s4, s0, 31
	v_mul_lo_u32 v4, v1, s12
	s_lshr_b32 s4, s4, 23
	s_add_i32 s0, s0, s4
	v_and_b32_e32 v5, 24, v2
	s_ashr_i32 s0, s0, 9
	v_mov_b32_e32 v2, 0
	s_mul_i32 s0, s7, s0
	s_mov_b32 s4, 0
	s_lshl_b32 s0, s0, 4
	s_inst_prefetch 0x1
	.p2align	6
.LBB62_3:                               ; =>This Inner Loop Header: Depth=1
	v_add_nc_u32_e32 v6, v4, v3
	v_add_nc_u32_e32 v8, s0, v3
	;; [unrolled: 1-line block ×3, first 2 shown]
	s_waitcnt lgkmcnt(0)
	v_mad_i64_i32 v[6:7], null, v6, 34, s[8:9]
	v_mad_i64_i32 v[8:9], null, v8, 36, s[10:11]
	v_add_co_u32 v10, vcc_lo, v6, v5
	v_add_co_ci_u32_e64 v11, null, 0, v7, vcc_lo
	v_add_co_u32 v12, vcc_lo, v8, v5
	v_add_co_ci_u32_e64 v13, null, 0, v9, vcc_lo
	global_load_dwordx2 v[10:11], v[10:11], off offset:2
	global_load_dwordx2 v[12:13], v[12:13], off offset:4
	global_load_ushort v6, v[6:7], off
	global_load_dword v7, v[8:9], off
	v_mov_b32_e32 v8, 0
	v_cmp_le_u32_e32 vcc_lo, s12, v3
	s_or_b32 s4, vcc_lo, s4
	s_waitcnt vmcnt(2)
	v_dot4c_i32_i8 v8, v10, v12
	s_waitcnt vmcnt(1)
	v_cvt_f32_f16_e32 v6, v6
	s_waitcnt vmcnt(0)
	v_cvt_f32_f16_e32 v7, v7
	v_dot4c_i32_i8 v8, v11, v13
	v_mul_f32_e32 v6, v6, v7
	v_cvt_f32_i32_e32 v7, v8
	v_fmac_f32_e32 v2, v6, v7
	s_andn2_b32 exec_lo, exec_lo, s4
	s_cbranch_execnz .LBB62_3
; %bb.4:
	s_inst_prefetch 0x2
	s_or_b32 exec_lo, exec_lo, s4
.LBB62_5:
	s_or_b32 exec_lo, exec_lo, s6
	v_mbcnt_lo_u32_b32 v3, -1, 0
	v_xor_b32_e32 v4, 16, v3
	v_xor_b32_e32 v5, 8, v3
	v_cmp_gt_i32_e32 vcc_lo, 32, v4
	v_cndmask_b32_e32 v4, v3, v4, vcc_lo
	v_cmp_gt_i32_e32 vcc_lo, 32, v5
	v_lshlrev_b32_e32 v4, 2, v4
	v_cndmask_b32_e32 v5, v3, v5, vcc_lo
	ds_bpermute_b32 v4, v4, v2
	v_lshlrev_b32_e32 v5, 2, v5
	s_waitcnt lgkmcnt(0)
	v_add_f32_e32 v2, v2, v4
	ds_bpermute_b32 v4, v5, v2
	v_xor_b32_e32 v5, 4, v3
	v_cmp_gt_i32_e32 vcc_lo, 32, v5
	v_cndmask_b32_e32 v5, v3, v5, vcc_lo
	v_lshlrev_b32_e32 v5, 2, v5
	s_waitcnt lgkmcnt(0)
	v_add_f32_e32 v2, v2, v4
	ds_bpermute_b32 v4, v5, v2
	v_xor_b32_e32 v5, 2, v3
	v_cmp_gt_i32_e32 vcc_lo, 32, v5
	v_cndmask_b32_e32 v5, v3, v5, vcc_lo
	;; [unrolled: 7-line block ×3, first 2 shown]
	v_cmp_eq_u32_e32 vcc_lo, 0, v0
	v_lshlrev_b32_e32 v3, 2, v3
	s_waitcnt lgkmcnt(0)
	v_add_f32_e32 v2, v2, v4
	ds_bpermute_b32 v3, v3, v2
	s_and_b32 exec_lo, exec_lo, vcc_lo
	s_cbranch_execz .LBB62_7
; %bb.6:
	v_mad_u64_u32 v[0:1], null, s1, s7, v[1:2]
	v_mov_b32_e32 v1, 0
	s_waitcnt lgkmcnt(0)
	v_add_f32_e32 v2, v2, v3
	v_lshlrev_b64 v[0:1], 2, v[0:1]
	v_add_co_u32 v0, vcc_lo, s2, v0
	v_add_co_ci_u32_e64 v1, null, s3, v1, vcc_lo
	global_store_dword v[0:1], v2, off
.LBB62_7:
	s_endpgm
	.section	.rodata,"a",@progbits
	.p2align	6, 0x0
	.amdhsa_kernel _ZL13mul_mat_vec_qIfLi32ELi8E10block_q8_0Li2EXadL_ZL17vec_dot_q8_0_q8_1PKvPK10block_q8_1RKiEEEvS2_S2_PT_iii
		.amdhsa_group_segment_fixed_size 0
		.amdhsa_private_segment_fixed_size 0
		.amdhsa_kernarg_size 296
		.amdhsa_user_sgpr_count 6
		.amdhsa_user_sgpr_private_segment_buffer 1
		.amdhsa_user_sgpr_dispatch_ptr 0
		.amdhsa_user_sgpr_queue_ptr 0
		.amdhsa_user_sgpr_kernarg_segment_ptr 1
		.amdhsa_user_sgpr_dispatch_id 0
		.amdhsa_user_sgpr_flat_scratch_init 0
		.amdhsa_user_sgpr_private_segment_size 0
		.amdhsa_wavefront_size32 1
		.amdhsa_uses_dynamic_stack 0
		.amdhsa_system_sgpr_private_segment_wavefront_offset 0
		.amdhsa_system_sgpr_workgroup_id_x 1
		.amdhsa_system_sgpr_workgroup_id_y 1
		.amdhsa_system_sgpr_workgroup_id_z 0
		.amdhsa_system_sgpr_workgroup_info 0
		.amdhsa_system_vgpr_workitem_id 1
		.amdhsa_next_free_vgpr 14
		.amdhsa_next_free_sgpr 13
		.amdhsa_reserve_vcc 1
		.amdhsa_reserve_flat_scratch 0
		.amdhsa_float_round_mode_32 0
		.amdhsa_float_round_mode_16_64 0
		.amdhsa_float_denorm_mode_32 3
		.amdhsa_float_denorm_mode_16_64 3
		.amdhsa_dx10_clamp 1
		.amdhsa_ieee_mode 1
		.amdhsa_fp16_overflow 0
		.amdhsa_workgroup_processor_mode 1
		.amdhsa_memory_ordered 1
		.amdhsa_forward_progress 1
		.amdhsa_shared_vgpr_count 0
		.amdhsa_exception_fp_ieee_invalid_op 0
		.amdhsa_exception_fp_denorm_src 0
		.amdhsa_exception_fp_ieee_div_zero 0
		.amdhsa_exception_fp_ieee_overflow 0
		.amdhsa_exception_fp_ieee_underflow 0
		.amdhsa_exception_fp_ieee_inexact 0
		.amdhsa_exception_int_div_zero 0
	.end_amdhsa_kernel
	.section	.text._ZL13mul_mat_vec_qIfLi32ELi8E10block_q8_0Li2EXadL_ZL17vec_dot_q8_0_q8_1PKvPK10block_q8_1RKiEEEvS2_S2_PT_iii,"axG",@progbits,_ZL13mul_mat_vec_qIfLi32ELi8E10block_q8_0Li2EXadL_ZL17vec_dot_q8_0_q8_1PKvPK10block_q8_1RKiEEEvS2_S2_PT_iii,comdat
.Lfunc_end62:
	.size	_ZL13mul_mat_vec_qIfLi32ELi8E10block_q8_0Li2EXadL_ZL17vec_dot_q8_0_q8_1PKvPK10block_q8_1RKiEEEvS2_S2_PT_iii, .Lfunc_end62-_ZL13mul_mat_vec_qIfLi32ELi8E10block_q8_0Li2EXadL_ZL17vec_dot_q8_0_q8_1PKvPK10block_q8_1RKiEEEvS2_S2_PT_iii
                                        ; -- End function
	.set _ZL13mul_mat_vec_qIfLi32ELi8E10block_q8_0Li2EXadL_ZL17vec_dot_q8_0_q8_1PKvPK10block_q8_1RKiEEEvS2_S2_PT_iii.num_vgpr, 14
	.set _ZL13mul_mat_vec_qIfLi32ELi8E10block_q8_0Li2EXadL_ZL17vec_dot_q8_0_q8_1PKvPK10block_q8_1RKiEEEvS2_S2_PT_iii.num_agpr, 0
	.set _ZL13mul_mat_vec_qIfLi32ELi8E10block_q8_0Li2EXadL_ZL17vec_dot_q8_0_q8_1PKvPK10block_q8_1RKiEEEvS2_S2_PT_iii.numbered_sgpr, 13
	.set _ZL13mul_mat_vec_qIfLi32ELi8E10block_q8_0Li2EXadL_ZL17vec_dot_q8_0_q8_1PKvPK10block_q8_1RKiEEEvS2_S2_PT_iii.num_named_barrier, 0
	.set _ZL13mul_mat_vec_qIfLi32ELi8E10block_q8_0Li2EXadL_ZL17vec_dot_q8_0_q8_1PKvPK10block_q8_1RKiEEEvS2_S2_PT_iii.private_seg_size, 0
	.set _ZL13mul_mat_vec_qIfLi32ELi8E10block_q8_0Li2EXadL_ZL17vec_dot_q8_0_q8_1PKvPK10block_q8_1RKiEEEvS2_S2_PT_iii.uses_vcc, 1
	.set _ZL13mul_mat_vec_qIfLi32ELi8E10block_q8_0Li2EXadL_ZL17vec_dot_q8_0_q8_1PKvPK10block_q8_1RKiEEEvS2_S2_PT_iii.uses_flat_scratch, 0
	.set _ZL13mul_mat_vec_qIfLi32ELi8E10block_q8_0Li2EXadL_ZL17vec_dot_q8_0_q8_1PKvPK10block_q8_1RKiEEEvS2_S2_PT_iii.has_dyn_sized_stack, 0
	.set _ZL13mul_mat_vec_qIfLi32ELi8E10block_q8_0Li2EXadL_ZL17vec_dot_q8_0_q8_1PKvPK10block_q8_1RKiEEEvS2_S2_PT_iii.has_recursion, 0
	.set _ZL13mul_mat_vec_qIfLi32ELi8E10block_q8_0Li2EXadL_ZL17vec_dot_q8_0_q8_1PKvPK10block_q8_1RKiEEEvS2_S2_PT_iii.has_indirect_call, 0
	.section	.AMDGPU.csdata,"",@progbits
; Kernel info:
; codeLenInByte = 588
; TotalNumSgprs: 15
; NumVgprs: 14
; ScratchSize: 0
; MemoryBound: 0
; FloatMode: 240
; IeeeMode: 1
; LDSByteSize: 0 bytes/workgroup (compile time only)
; SGPRBlocks: 0
; VGPRBlocks: 1
; NumSGPRsForWavesPerEU: 15
; NumVGPRsForWavesPerEU: 14
; Occupancy: 16
; WaveLimiterHint : 0
; COMPUTE_PGM_RSRC2:SCRATCH_EN: 0
; COMPUTE_PGM_RSRC2:USER_SGPR: 6
; COMPUTE_PGM_RSRC2:TRAP_HANDLER: 0
; COMPUTE_PGM_RSRC2:TGID_X_EN: 1
; COMPUTE_PGM_RSRC2:TGID_Y_EN: 1
; COMPUTE_PGM_RSRC2:TGID_Z_EN: 0
; COMPUTE_PGM_RSRC2:TIDIG_COMP_CNT: 1
	.section	.text._ZL13mul_mat_vec_qIfLi256ELi16E10block_q2_KLi1EXadL_ZL17vec_dot_q2_K_q8_1PKvPK10block_q8_1RKiEEEvS2_S2_PT_iii,"axG",@progbits,_ZL13mul_mat_vec_qIfLi256ELi16E10block_q2_KLi1EXadL_ZL17vec_dot_q2_K_q8_1PKvPK10block_q8_1RKiEEEvS2_S2_PT_iii,comdat
	.globl	_ZL13mul_mat_vec_qIfLi256ELi16E10block_q2_KLi1EXadL_ZL17vec_dot_q2_K_q8_1PKvPK10block_q8_1RKiEEEvS2_S2_PT_iii ; -- Begin function _ZL13mul_mat_vec_qIfLi256ELi16E10block_q2_KLi1EXadL_ZL17vec_dot_q2_K_q8_1PKvPK10block_q8_1RKiEEEvS2_S2_PT_iii
	.p2align	8
	.type	_ZL13mul_mat_vec_qIfLi256ELi16E10block_q2_KLi1EXadL_ZL17vec_dot_q2_K_q8_1PKvPK10block_q8_1RKiEEEvS2_S2_PT_iii,@function
_ZL13mul_mat_vec_qIfLi256ELi16E10block_q2_KLi1EXadL_ZL17vec_dot_q2_K_q8_1PKvPK10block_q8_1RKiEEEvS2_S2_PT_iii: ; @_ZL13mul_mat_vec_qIfLi256ELi16E10block_q2_KLi1EXadL_ZL17vec_dot_q2_K_q8_1PKvPK10block_q8_1RKiEEEvS2_S2_PT_iii
; %bb.0:
	s_clause 0x1
	s_load_dword s8, s[4:5], 0x34
	s_load_dwordx4 s[0:3], s[4:5], 0x18
	s_waitcnt lgkmcnt(0)
	s_lshr_b32 s3, s8, 16
	s_cmp_lt_u32 s7, s2
	v_mad_u64_u32 v[1:2], null, s6, s3, v[1:2]
	s_cselect_b32 s2, -1, 0
	v_cmp_gt_u32_e32 vcc_lo, s1, v1
	s_and_b32 s2, s2, vcc_lo
	s_and_saveexec_b32 s3, s2
	s_cbranch_execz .LBB63_7
; %bb.1:
	s_load_dwordx2 s[2:3], s[4:5], 0x10
	s_ashr_i32 s6, s0, 31
	v_lshrrev_b32_e32 v8, 4, v0
	s_lshr_b32 s6, s6, 24
	v_mov_b32_e32 v3, 0
	s_add_i32 s6, s0, s6
	s_ashr_i32 s12, s6, 8
	s_mov_b32 s6, exec_lo
	v_cmpx_gt_u32_e64 s12, v8
	s_cbranch_execz .LBB63_5
; %bb.2:
	v_and_b32_e32 v3, 15, v0
	s_load_dwordx4 s[8:11], s[4:5], 0x0
	v_lshrrev_b32_e32 v4, 1, v0
	s_addk_i32 s0, 0x1ff
	v_lshlrev_b32_e32 v12, 3, v8
	v_sub_co_u32 v2, vcc_lo, v3, 8
	s_ashr_i32 s13, s0, 31
	v_and_b32_e32 v4, 4, v4
	s_lshr_b32 s4, s13, 23
	v_cndmask_b32_e32 v2, v2, v3, vcc_lo
	s_add_i32 s0, s0, s4
	v_lshlrev_b32_e32 v10, 2, v3
	s_ashr_i32 s0, s0, 9
	v_mul_lo_u32 v9, v1, s12
	v_sub_nc_u32_e32 v5, v3, v2
	v_cmp_lt_u32_e32 vcc_lo, 3, v2
	v_mov_b32_e32 v3, 0
	s_mul_i32 s0, s7, s0
	v_lshl_add_u32 v12, s0, 4, v12
	v_add_co_ci_u32_e64 v11, null, 0, v5, vcc_lo
	s_waitcnt lgkmcnt(0)
	v_mad_u64_u32 v[4:5], null, v4, 36, s[10:11]
	v_lshlrev_b64 v[6:7], 2, v[2:3]
	v_ashrrev_i32_e32 v2, 31, v11
	s_mov_b32 s0, 0
.LBB63_3:                               ; =>This Inner Loop Header: Depth=1
	v_add_nc_u32_e32 v15, v9, v8
	v_mad_i64_i32 v[13:14], null, v12, 36, v[4:5]
	v_mov_b32_e32 v29, 0
	v_mov_b32_e32 v30, 0
	v_mad_i64_i32 v[15:16], null, 0x54, v15, s[8:9]
	v_mov_b32_e32 v31, 0
	v_mov_b32_e32 v33, 0
	v_add_co_u32 v17, vcc_lo, v13, v6
	v_add_co_ci_u32_e64 v18, null, v14, v7, vcc_lo
	v_add_co_u32 v19, vcc_lo, v15, v10
	v_add_co_ci_u32_e64 v20, null, 0, v16, vcc_lo
	;; [unrolled: 2-line block ×3, first 2 shown]
	s_clause 0x3
	global_load_dword v23, v[13:14], off
	global_load_dword v24, v[17:18], off offset:4
	global_load_dword v25, v[17:18], off offset:40
	;; [unrolled: 1-line block ×3, first 2 shown]
	s_clause 0x4
	global_load_dword v19, v[19:20], off offset:16
	global_load_ubyte v20, v[21:22], off
	global_load_ubyte v27, v[21:22], off offset:2
	global_load_ubyte v28, v[21:22], off offset:4
	;; [unrolled: 1-line block ×3, first 2 shown]
	s_clause 0x3
	global_load_dword v17, v[17:18], off offset:112
	global_load_dword v18, v[13:14], off offset:36
	;; [unrolled: 1-line block ×5, first 2 shown]
	v_mov_b32_e32 v15, 0
	v_mov_b32_e32 v16, 0
	;; [unrolled: 1-line block ×4, first 2 shown]
	v_add_nc_u32_e32 v8, 2, v8
	v_add_nc_u32_e32 v12, 16, v12
	v_cmp_le_u32_e32 vcc_lo, s12, v8
	s_or_b32 s0, vcc_lo, s0
	s_waitcnt vmcnt(9)
	v_and_b32_e32 v35, 0x3030303, v19
	s_waitcnt vmcnt(8)
	v_and_b32_e32 v36, 15, v20
	v_lshrrev_b32_e32 v20, 4, v20
	v_lshrrev_b32_e32 v37, 2, v19
	s_waitcnt vmcnt(7)
	v_and_b32_e32 v38, 15, v27
	v_lshrrev_b32_e32 v27, 4, v27
	s_waitcnt vmcnt(5)
	v_and_b32_e32 v41, 15, v21
	v_mul_lo_u32 v20, 0x1010101, v20
	v_lshrrev_b32_e32 v21, 4, v21
	v_lshrrev_b32_e32 v39, 4, v19
	v_and_b32_e32 v40, 15, v28
	v_lshrrev_b32_e32 v28, 4, v28
	v_lshrrev_b32_e32 v19, 6, v19
	v_dot4c_i32_i8 v15, v35, v24
	v_and_b32_e32 v35, 0x3030303, v37
	v_mul_lo_u32 v27, 0x1010101, v27
	v_mul_lo_u32 v21, 0x1010101, v21
	v_dot4c_i32_i8 v16, v20, v24
	v_and_b32_e32 v37, 0x3030303, v39
	v_mul_lo_u32 v28, 0x1010101, v28
	v_and_b32_e32 v19, 0x3030303, v19
	v_mul_lo_u32 v15, v36, v15
	v_dot4c_i32_i8 v29, v35, v25
	v_dot4c_i32_i8 v30, v27, v25
	v_cvt_f32_i32_e32 v16, v16
	v_dot4c_i32_i8 v31, v37, v26
	s_waitcnt vmcnt(4)
	v_dot4c_i32_i8 v33, v19, v17
	v_dot4c_i32_i8 v34, v21, v17
	v_mul_lo_u32 v17, v38, v29
	v_dot4c_i32_i8 v32, v28, v26
	v_cvt_f32_i32_e32 v15, v15
	v_cvt_f32_i32_e32 v20, v30
	v_fma_mix_f32 v16, v23, v16, 0 op_sel_hi:[1,0,0]
	v_mul_lo_u32 v19, v40, v31
	v_cvt_f32_i32_e32 v21, v32
	v_fma_mix_f32 v15, v23, v15, 0 op_sel_hi:[1,0,0]
	v_cvt_f32_i32_e32 v17, v17
	s_waitcnt vmcnt(3)
	v_fma_mix_f32 v16, v18, v20, v16 op_sel_hi:[1,0,0]
	v_mul_lo_u32 v20, v41, v33
	v_cvt_f32_i32_e32 v23, v34
	v_cvt_f32_i32_e32 v19, v19
	v_fma_mix_f32 v15, v18, v17, v15 op_sel_hi:[1,0,0]
	s_waitcnt vmcnt(2)
	v_fma_mix_f32 v16, v22, v21, v16 op_sel_hi:[1,0,0]
	s_waitcnt vmcnt(0)
	v_cvt_f32_f16_sdwa v17, v14 dst_sel:DWORD dst_unused:UNUSED_PAD src0_sel:WORD_1
	v_cvt_f32_i32_e32 v18, v20
	v_fma_mix_f32 v15, v22, v19, v15 op_sel_hi:[1,0,0]
	v_fma_mix_f32 v16, v13, v23, v16 op_sel_hi:[1,0,0]
	;; [unrolled: 1-line block ×3, first 2 shown]
	v_mul_f32_e32 v15, v16, v17
	v_fma_mix_f32 v13, v13, v14, -v15 op_sel_hi:[0,1,0]
	v_add_f32_e32 v3, v3, v13
	s_andn2_b32 exec_lo, exec_lo, s0
	s_cbranch_execnz .LBB63_3
; %bb.4:
	s_or_b32 exec_lo, exec_lo, s0
.LBB63_5:
	s_or_b32 exec_lo, exec_lo, s6
	v_mbcnt_lo_u32_b32 v2, -1, 0
	v_xor_b32_e32 v4, 16, v2
	v_xor_b32_e32 v5, 8, v2
	v_cmp_gt_i32_e32 vcc_lo, 32, v4
	v_cndmask_b32_e32 v4, v2, v4, vcc_lo
	v_cmp_gt_i32_e32 vcc_lo, 32, v5
	v_lshlrev_b32_e32 v4, 2, v4
	v_cndmask_b32_e32 v5, v2, v5, vcc_lo
	ds_bpermute_b32 v4, v4, v3
	v_lshlrev_b32_e32 v5, 2, v5
	s_waitcnt lgkmcnt(0)
	v_add_f32_e32 v3, v3, v4
	ds_bpermute_b32 v4, v5, v3
	v_xor_b32_e32 v5, 4, v2
	v_cmp_gt_i32_e32 vcc_lo, 32, v5
	v_cndmask_b32_e32 v5, v2, v5, vcc_lo
	v_lshlrev_b32_e32 v5, 2, v5
	s_waitcnt lgkmcnt(0)
	v_add_f32_e32 v3, v3, v4
	ds_bpermute_b32 v4, v5, v3
	v_xor_b32_e32 v5, 2, v2
	v_cmp_gt_i32_e32 vcc_lo, 32, v5
	v_cndmask_b32_e32 v5, v2, v5, vcc_lo
	;; [unrolled: 7-line block ×3, first 2 shown]
	v_cmp_eq_u32_e32 vcc_lo, 0, v0
	s_waitcnt lgkmcnt(0)
	v_add_f32_e32 v2, v3, v4
	v_lshlrev_b32_e32 v3, 2, v5
	ds_bpermute_b32 v3, v3, v2
	s_and_b32 exec_lo, exec_lo, vcc_lo
	s_cbranch_execz .LBB63_7
; %bb.6:
	v_mad_u64_u32 v[0:1], null, s1, s7, v[1:2]
	v_mov_b32_e32 v1, 0
	s_waitcnt lgkmcnt(0)
	v_add_f32_e32 v2, v2, v3
	v_lshlrev_b64 v[0:1], 2, v[0:1]
	v_add_co_u32 v0, vcc_lo, s2, v0
	v_add_co_ci_u32_e64 v1, null, s3, v1, vcc_lo
	global_store_dword v[0:1], v2, off
.LBB63_7:
	s_endpgm
	.section	.rodata,"a",@progbits
	.p2align	6, 0x0
	.amdhsa_kernel _ZL13mul_mat_vec_qIfLi256ELi16E10block_q2_KLi1EXadL_ZL17vec_dot_q2_K_q8_1PKvPK10block_q8_1RKiEEEvS2_S2_PT_iii
		.amdhsa_group_segment_fixed_size 0
		.amdhsa_private_segment_fixed_size 0
		.amdhsa_kernarg_size 296
		.amdhsa_user_sgpr_count 6
		.amdhsa_user_sgpr_private_segment_buffer 1
		.amdhsa_user_sgpr_dispatch_ptr 0
		.amdhsa_user_sgpr_queue_ptr 0
		.amdhsa_user_sgpr_kernarg_segment_ptr 1
		.amdhsa_user_sgpr_dispatch_id 0
		.amdhsa_user_sgpr_flat_scratch_init 0
		.amdhsa_user_sgpr_private_segment_size 0
		.amdhsa_wavefront_size32 1
		.amdhsa_uses_dynamic_stack 0
		.amdhsa_system_sgpr_private_segment_wavefront_offset 0
		.amdhsa_system_sgpr_workgroup_id_x 1
		.amdhsa_system_sgpr_workgroup_id_y 1
		.amdhsa_system_sgpr_workgroup_id_z 0
		.amdhsa_system_sgpr_workgroup_info 0
		.amdhsa_system_vgpr_workitem_id 1
		.amdhsa_next_free_vgpr 42
		.amdhsa_next_free_sgpr 14
		.amdhsa_reserve_vcc 1
		.amdhsa_reserve_flat_scratch 0
		.amdhsa_float_round_mode_32 0
		.amdhsa_float_round_mode_16_64 0
		.amdhsa_float_denorm_mode_32 3
		.amdhsa_float_denorm_mode_16_64 3
		.amdhsa_dx10_clamp 1
		.amdhsa_ieee_mode 1
		.amdhsa_fp16_overflow 0
		.amdhsa_workgroup_processor_mode 1
		.amdhsa_memory_ordered 1
		.amdhsa_forward_progress 1
		.amdhsa_shared_vgpr_count 0
		.amdhsa_exception_fp_ieee_invalid_op 0
		.amdhsa_exception_fp_denorm_src 0
		.amdhsa_exception_fp_ieee_div_zero 0
		.amdhsa_exception_fp_ieee_overflow 0
		.amdhsa_exception_fp_ieee_underflow 0
		.amdhsa_exception_fp_ieee_inexact 0
		.amdhsa_exception_int_div_zero 0
	.end_amdhsa_kernel
	.section	.text._ZL13mul_mat_vec_qIfLi256ELi16E10block_q2_KLi1EXadL_ZL17vec_dot_q2_K_q8_1PKvPK10block_q8_1RKiEEEvS2_S2_PT_iii,"axG",@progbits,_ZL13mul_mat_vec_qIfLi256ELi16E10block_q2_KLi1EXadL_ZL17vec_dot_q2_K_q8_1PKvPK10block_q8_1RKiEEEvS2_S2_PT_iii,comdat
.Lfunc_end63:
	.size	_ZL13mul_mat_vec_qIfLi256ELi16E10block_q2_KLi1EXadL_ZL17vec_dot_q2_K_q8_1PKvPK10block_q8_1RKiEEEvS2_S2_PT_iii, .Lfunc_end63-_ZL13mul_mat_vec_qIfLi256ELi16E10block_q2_KLi1EXadL_ZL17vec_dot_q2_K_q8_1PKvPK10block_q8_1RKiEEEvS2_S2_PT_iii
                                        ; -- End function
	.set _ZL13mul_mat_vec_qIfLi256ELi16E10block_q2_KLi1EXadL_ZL17vec_dot_q2_K_q8_1PKvPK10block_q8_1RKiEEEvS2_S2_PT_iii.num_vgpr, 42
	.set _ZL13mul_mat_vec_qIfLi256ELi16E10block_q2_KLi1EXadL_ZL17vec_dot_q2_K_q8_1PKvPK10block_q8_1RKiEEEvS2_S2_PT_iii.num_agpr, 0
	.set _ZL13mul_mat_vec_qIfLi256ELi16E10block_q2_KLi1EXadL_ZL17vec_dot_q2_K_q8_1PKvPK10block_q8_1RKiEEEvS2_S2_PT_iii.numbered_sgpr, 14
	.set _ZL13mul_mat_vec_qIfLi256ELi16E10block_q2_KLi1EXadL_ZL17vec_dot_q2_K_q8_1PKvPK10block_q8_1RKiEEEvS2_S2_PT_iii.num_named_barrier, 0
	.set _ZL13mul_mat_vec_qIfLi256ELi16E10block_q2_KLi1EXadL_ZL17vec_dot_q2_K_q8_1PKvPK10block_q8_1RKiEEEvS2_S2_PT_iii.private_seg_size, 0
	.set _ZL13mul_mat_vec_qIfLi256ELi16E10block_q2_KLi1EXadL_ZL17vec_dot_q2_K_q8_1PKvPK10block_q8_1RKiEEEvS2_S2_PT_iii.uses_vcc, 1
	.set _ZL13mul_mat_vec_qIfLi256ELi16E10block_q2_KLi1EXadL_ZL17vec_dot_q2_K_q8_1PKvPK10block_q8_1RKiEEEvS2_S2_PT_iii.uses_flat_scratch, 0
	.set _ZL13mul_mat_vec_qIfLi256ELi16E10block_q2_KLi1EXadL_ZL17vec_dot_q2_K_q8_1PKvPK10block_q8_1RKiEEEvS2_S2_PT_iii.has_dyn_sized_stack, 0
	.set _ZL13mul_mat_vec_qIfLi256ELi16E10block_q2_KLi1EXadL_ZL17vec_dot_q2_K_q8_1PKvPK10block_q8_1RKiEEEvS2_S2_PT_iii.has_recursion, 0
	.set _ZL13mul_mat_vec_qIfLi256ELi16E10block_q2_KLi1EXadL_ZL17vec_dot_q2_K_q8_1PKvPK10block_q8_1RKiEEEvS2_S2_PT_iii.has_indirect_call, 0
	.section	.AMDGPU.csdata,"",@progbits
; Kernel info:
; codeLenInByte = 1064
; TotalNumSgprs: 16
; NumVgprs: 42
; ScratchSize: 0
; MemoryBound: 0
; FloatMode: 240
; IeeeMode: 1
; LDSByteSize: 0 bytes/workgroup (compile time only)
; SGPRBlocks: 0
; VGPRBlocks: 5
; NumSGPRsForWavesPerEU: 16
; NumVGPRsForWavesPerEU: 42
; Occupancy: 16
; WaveLimiterHint : 0
; COMPUTE_PGM_RSRC2:SCRATCH_EN: 0
; COMPUTE_PGM_RSRC2:USER_SGPR: 6
; COMPUTE_PGM_RSRC2:TRAP_HANDLER: 0
; COMPUTE_PGM_RSRC2:TGID_X_EN: 1
; COMPUTE_PGM_RSRC2:TGID_Y_EN: 1
; COMPUTE_PGM_RSRC2:TGID_Z_EN: 0
; COMPUTE_PGM_RSRC2:TIDIG_COMP_CNT: 1
	.section	.text._ZL13mul_mat_vec_qIfLi256ELi16E10block_q3_KLi1EXadL_ZL17vec_dot_q3_K_q8_1PKvPK10block_q8_1RKiEEEvS2_S2_PT_iii,"axG",@progbits,_ZL13mul_mat_vec_qIfLi256ELi16E10block_q3_KLi1EXadL_ZL17vec_dot_q3_K_q8_1PKvPK10block_q8_1RKiEEEvS2_S2_PT_iii,comdat
	.globl	_ZL13mul_mat_vec_qIfLi256ELi16E10block_q3_KLi1EXadL_ZL17vec_dot_q3_K_q8_1PKvPK10block_q8_1RKiEEEvS2_S2_PT_iii ; -- Begin function _ZL13mul_mat_vec_qIfLi256ELi16E10block_q3_KLi1EXadL_ZL17vec_dot_q3_K_q8_1PKvPK10block_q8_1RKiEEEvS2_S2_PT_iii
	.p2align	8
	.type	_ZL13mul_mat_vec_qIfLi256ELi16E10block_q3_KLi1EXadL_ZL17vec_dot_q3_K_q8_1PKvPK10block_q8_1RKiEEEvS2_S2_PT_iii,@function
_ZL13mul_mat_vec_qIfLi256ELi16E10block_q3_KLi1EXadL_ZL17vec_dot_q3_K_q8_1PKvPK10block_q8_1RKiEEEvS2_S2_PT_iii: ; @_ZL13mul_mat_vec_qIfLi256ELi16E10block_q3_KLi1EXadL_ZL17vec_dot_q3_K_q8_1PKvPK10block_q8_1RKiEEEvS2_S2_PT_iii
; %bb.0:
	s_clause 0x1
	s_load_dword s8, s[4:5], 0x34
	s_load_dwordx4 s[0:3], s[4:5], 0x18
	s_waitcnt lgkmcnt(0)
	s_lshr_b32 s3, s8, 16
	s_cmp_lt_u32 s7, s2
	v_mad_u64_u32 v[1:2], null, s6, s3, v[1:2]
	s_cselect_b32 s2, -1, 0
	v_cmp_gt_u32_e32 vcc_lo, s1, v1
	s_and_b32 s2, s2, vcc_lo
	s_and_saveexec_b32 s3, s2
	s_cbranch_execz .LBB64_7
; %bb.1:
	s_load_dwordx2 s[2:3], s[4:5], 0x10
	s_ashr_i32 s6, s0, 31
	v_lshrrev_b32_e32 v10, 4, v0
	s_lshr_b32 s6, s6, 24
	v_mov_b32_e32 v3, 0
	s_add_i32 s6, s0, s6
	s_ashr_i32 s12, s6, 8
	s_mov_b32 s6, exec_lo
	v_cmpx_gt_u32_e64 s12, v10
	s_cbranch_execz .LBB64_5
; %bb.2:
	v_and_b32_e32 v4, 15, v0
	v_lshrrev_b32_e32 v6, 1, v0
	v_mov_b32_e32 v3, 0
	v_mov_b32_e32 v35, 1
	;; [unrolled: 1-line block ×3, first 2 shown]
	v_sub_co_u32 v2, vcc_lo, v4, 8
	v_lshlrev_b32_e32 v13, 2, v4
	v_and_b32_e32 v12, 4, v6
	s_load_dwordx4 s[8:11], s[4:5], 0x0
	v_cndmask_b32_e32 v2, v2, v4, vcc_lo
	s_addk_i32 s0, 0x1ff
	v_mul_lo_u32 v11, v1, s12
	s_ashr_i32 s4, s0, 31
	s_lshr_b32 s4, s4, 23
	v_sub_nc_u32_e32 v5, v4, v2
	v_cmp_lt_u32_e32 vcc_lo, 3, v2
	s_add_i32 s0, s0, s4
	s_ashr_i32 s0, s0, 9
	v_add_co_ci_u32_e64 v8, null, 0, v5, vcc_lo
	s_mul_i32 s0, s7, s0
	v_bfe_i32 v5, v8, 0, 8
	v_add_nc_u16 v22, v8, 2
	v_add_nc_u16 v27, v8, 4
	v_lshrrev_b16 v4, 7, v5
	v_bfe_i32 v5, v22, 0, 8
	v_bfe_i32 v6, v27, 0, 8
	v_and_b32_e32 v7, 0xff, v4
	v_lshrrev_b16 v14, 7, v5
	v_lshlrev_b64 v[4:5], 2, v[2:3]
	v_lshrrev_b16 v2, 7, v6
	v_lshrrev_b16 v15, 5, v7
	;; [unrolled: 1-line block ×3, first 2 shown]
	v_and_b32_e32 v14, 0xff, v14
	v_and_b32_e32 v23, 0xff, v2
	s_waitcnt lgkmcnt(0)
	v_mad_u64_u32 v[6:7], null, v12, 36, s[10:11]
	v_add_nc_u16 v15, v8, v15
	v_add_nc_u16 v2, v8, v16
	v_lshrrev_b16 v16, 5, v14
	v_lshrrev_b16 v14, 6, v14
	;; [unrolled: 1-line block ×3, first 2 shown]
	v_bfe_i32 v17, v15, 0, 8
	v_and_b32_e32 v15, 0xf8, v15
	v_bfe_i32 v18, v2, 0, 8
	v_and_b32_e32 v2, 0xfc, v2
	v_add_nc_u16 v21, v22, v14
	v_add_nc_u16 v16, v22, v16
	v_sub_nc_u16 v14, v8, v15
	v_add_nc_u16 v25, v27, v25
	v_sub_nc_u16 v15, v8, v2
	v_add_nc_u16 v8, v8, 6
	v_bfe_i32 v24, v21, 0, 8
	v_and_b32_e32 v20, 0xf8, v16
	v_and_b32_e32 v26, 0xfc, v21
	v_lshrrev_b16 v29, 6, v23
	v_bfe_i32 v28, v8, 0, 8
	v_ashrrev_i16 v24, 2, v24
	v_sub_nc_u16 v20, v22, v20
	v_sub_nc_u16 v26, v22, v26
	v_add_nc_u16 v29, v27, v29
	v_lshrrev_b16 v28, 7, v28
	v_lshlrev_b32_sdwa v22, v35, sext(v24) dst_sel:DWORD dst_unused:UNUSED_PAD src0_sel:DWORD src1_sel:WORD_0
	v_bfe_i32 v24, v25, 0, 8
	v_and_b32_e32 v25, 0xf8, v25
	v_bfe_i32 v23, v26, 0, 8
	v_and_b32_e32 v28, 0xff, v28
	v_bfe_i32 v32, v29, 0, 8
	v_lshrrev_b16 v26, 3, v24
	v_sub_nc_u16 v30, v27, v25
	v_and_b32_e32 v29, 0xfc, v29
	v_lshrrev_b16 v31, 5, v28
	v_lshrrev_b16 v28, 6, v28
	v_lshlrev_b32_sdwa v25, v9, v26 dst_sel:DWORD dst_unused:UNUSED_PAD src0_sel:DWORD src1_sel:BYTE_0
	v_bfe_i32 v26, v30, 0, 8
	v_bfe_i32 v19, v16, 0, 8
	v_add_nc_u16 v30, v8, v31
	v_lshrrev_b16 v31, 2, v32
	v_add_nc_u16 v32, v8, v28
	v_sub_nc_u16 v29, v27, v29
	v_lshrrev_b16 v17, 3, v17
	v_and_b32_e32 v33, 0xf8, v30
	v_lshlrev_b32_sdwa v28, v35, v31 dst_sel:DWORD dst_unused:UNUSED_PAD src0_sel:DWORD src1_sel:BYTE_0
	v_and_b32_e32 v31, 0xfc, v32
	v_bfe_i32 v34, v30, 0, 8
	v_bfe_i32 v32, v32, 0, 8
	v_sub_nc_u16 v33, v8, v33
	v_ashrrev_i16 v18, 2, v18
	v_sub_nc_u16 v8, v8, v31
	v_bfe_i32 v2, v14, 0, 8
	v_bfe_i32 v14, v15, 0, 8
	v_lshrrev_b16 v19, 3, v19
	v_bfe_i32 v20, v20, 0, 8
	v_bfe_i32 v29, v29, 0, 8
	v_lshrrev_b16 v34, 3, v34
	v_bfe_i32 v31, v33, 0, 8
	v_lshrrev_b16 v36, 2, v32
	v_bfe_i32 v32, v8, 0, 8
	v_lshlrev_b32_e32 v8, 3, v10
	v_lshlrev_b32_sdwa v15, v9, v17 dst_sel:DWORD dst_unused:UNUSED_PAD src0_sel:DWORD src1_sel:BYTE_0
	v_lshlrev_b32_sdwa v16, v35, sext(v18) dst_sel:DWORD dst_unused:UNUSED_PAD src0_sel:DWORD src1_sel:WORD_0
	v_ashrrev_i32_e32 v17, 31, v2
	v_ashrrev_i32_e32 v18, 31, v14
	v_lshlrev_b32_sdwa v19, v9, v19 dst_sel:DWORD dst_unused:UNUSED_PAD src0_sel:DWORD src1_sel:BYTE_0
	v_ashrrev_i32_e32 v21, 31, v20
	v_ashrrev_i32_e32 v24, 31, v23
	;; [unrolled: 1-line block ×4, first 2 shown]
	v_lshlrev_b32_sdwa v33, v9, v34 dst_sel:DWORD dst_unused:UNUSED_PAD src0_sel:DWORD src1_sel:BYTE_0
	v_ashrrev_i32_e32 v34, 31, v31
	v_lshlrev_b32_sdwa v35, v35, v36 dst_sel:DWORD dst_unused:UNUSED_PAD src0_sel:DWORD src1_sel:BYTE_0
	v_ashrrev_i32_e32 v36, 31, v32
	v_lshl_add_u32 v37, s0, 4, v8
	s_mov_b32 s0, 0
.LBB64_3:                               ; =>This Inner Loop Header: Depth=1
	v_add_nc_u32_e32 v8, v11, v10
	v_mad_i64_i32 v[42:43], null, v37, 36, v[6:7]
	v_add_nc_u32_e32 v10, 2, v10
	v_add_nc_u32_e32 v37, 16, v37
	v_mad_i64_i32 v[8:9], null, 0x6e, v8, s[8:9]
	v_add_co_u32 v39, vcc_lo, v8, v13
	v_add_co_ci_u32_e64 v40, null, 0, v9, vcc_lo
	s_clause 0x1
	global_load_ushort v38, v[8:9], off offset:108
	global_load_dword v41, v[39:40], off offset:32
	v_add_co_u32 v39, vcc_lo, v8, v4
	v_add_co_ci_u32_e64 v40, null, v9, v5, vcc_lo
	global_load_dword v44, v[39:40], off
	v_add_co_u32 v39, vcc_lo, v42, v4
	v_add_co_ci_u32_e64 v40, null, v43, v5, vcc_lo
	s_clause 0x7
	global_load_dword v45, v[39:40], off offset:4
	global_load_dword v46, v[42:43], off
	global_load_dword v47, v[39:40], off offset:40
	global_load_dword v48, v[42:43], off offset:36
	;; [unrolled: 1-line block ×6, first 2 shown]
	v_add_co_u32 v43, vcc_lo, v8, v2
	s_waitcnt vmcnt(9)
	v_bfe_u32 v52, v41, 24, 2
	s_waitcnt vmcnt(8)
	v_ashrrev_i32_e32 v42, v12, v44
	v_add_co_ci_u32_e64 v44, null, v9, v17, vcc_lo
	v_not_b32_e32 v42, v42
	global_load_ubyte v43, v[43:44], off offset:96
	v_lshlrev_b32_e32 v54, 2, v42
	v_and_b32_e32 v54, 0x4040404, v54
	v_lshrrev_b32_e32 v56, 24, v54
	v_lshrrev_b16 v57, 8, v54
	v_lshrrev_b32_e32 v55, 16, v54
	v_sub_nc_u16 v52, v52, v56
	v_lshlrev_b16 v52, 8, v52
	s_waitcnt vmcnt(0)
	v_bfe_u32 v51, v43, v15, 4
	v_add_co_u32 v43, vcc_lo, v8, v14
	v_add_co_ci_u32_e64 v44, null, v9, v18, vcc_lo
	global_load_ubyte v43, v[43:44], off offset:104
	v_and_b32_e32 v44, 0x3030303, v41
	v_lshrrev_b16 v53, 8, v44
	v_sub_nc_u16 v53, v53, v57
	v_lshlrev_b16 v53, 8, v53
	s_waitcnt vmcnt(0)
	v_lshrrev_b32_e32 v43, v16, v43
	v_lshlrev_b32_e32 v43, 4, v43
	v_and_or_b32 v43, v43, 48, v51
	v_lshrrev_b32_e32 v51, 16, v44
	v_sub_nc_u16 v44, v44, v54
	v_subrev_nc_u32_e32 v43, 32, v43
	v_sub_nc_u16 v51, v51, v55
	v_or_b32_sdwa v44, v44, v53 dst_sel:DWORD dst_unused:UNUSED_PAD src0_sel:BYTE_0 src1_sel:DWORD
	v_lshlrev_b32_e32 v53, 1, v42
	v_or_b32_sdwa v51, v51, v52 dst_sel:WORD_1 dst_unused:UNUSED_PAD src0_sel:BYTE_0 src1_sel:DWORD
	v_and_b32_e32 v53, 0x4040404, v53
	v_or_b32_sdwa v44, v44, v51 dst_sel:DWORD dst_unused:UNUSED_PAD src0_sel:WORD_0 src1_sel:DWORD
	v_mov_b32_e32 v51, 0
	v_lshrrev_b32_e32 v55, 24, v53
	v_lshrrev_b16 v56, 8, v53
	v_lshrrev_b32_e32 v54, 16, v53
	v_dot4c_i32_i8 v51, v44, v45
	v_mul_lo_u32 v43, v43, v51
	v_cvt_f32_i32_e32 v43, v43
	v_fma_mix_f32 v45, v46, v43, 0 op_sel_hi:[1,0,0]
	v_add_co_u32 v43, vcc_lo, v8, v20
	v_add_co_ci_u32_e64 v44, null, v9, v21, vcc_lo
	global_load_ubyte v43, v[43:44], off offset:96
	s_waitcnt vmcnt(0)
	v_bfe_u32 v46, v43, v19, 4
	v_add_co_u32 v43, vcc_lo, v8, v23
	v_add_co_ci_u32_e64 v44, null, v9, v24, vcc_lo
	global_load_ubyte v43, v[43:44], off offset:104
	v_lshrrev_b32_e32 v44, 2, v41
	s_waitcnt vmcnt(0)
	v_lshrrev_b32_e32 v43, v22, v43
	v_lshlrev_b32_e32 v43, 4, v43
	v_and_or_b32 v43, v43, 48, v46
	v_and_b32_e32 v46, 0x3030303, v44
	v_bfe_u32 v44, v44, 24, 2
	v_subrev_nc_u32_e32 v43, 32, v43
	v_lshrrev_b16 v52, 8, v46
	v_lshrrev_b32_e32 v51, 16, v46
	v_sub_nc_u16 v44, v44, v55
	v_sub_nc_u16 v46, v46, v53
	;; [unrolled: 1-line block ×4, first 2 shown]
	v_lshlrev_b16 v44, 8, v44
	v_lshlrev_b16 v52, 8, v52
	v_or_b32_sdwa v44, v51, v44 dst_sel:WORD_1 dst_unused:UNUSED_PAD src0_sel:BYTE_0 src1_sel:DWORD
	v_and_b32_e32 v51, 0x4040404, v42
	v_lshrrev_b32_e32 v42, 1, v42
	v_or_b32_sdwa v46, v46, v52 dst_sel:DWORD dst_unused:UNUSED_PAD src0_sel:BYTE_0 src1_sel:DWORD
	v_lshrrev_b32_e32 v53, 24, v51
	v_lshrrev_b16 v54, 8, v51
	v_or_b32_sdwa v44, v46, v44 dst_sel:DWORD dst_unused:UNUSED_PAD src0_sel:WORD_0 src1_sel:DWORD
	v_mov_b32_e32 v46, 0
	v_lshrrev_b32_e32 v52, 16, v51
	v_and_b32_e32 v42, 0x4040404, v42
	v_dot4c_i32_i8 v46, v44, v47
	v_mul_lo_u32 v43, v43, v46
	v_cvt_f32_i32_e32 v43, v43
	v_fma_mix_f32 v45, v48, v43, v45 op_sel_hi:[1,0,0]
	v_add_co_u32 v43, vcc_lo, v8, v26
	v_add_co_ci_u32_e64 v44, null, v9, v27, vcc_lo
	global_load_ubyte v43, v[43:44], off offset:96
	s_waitcnt vmcnt(0)
	v_bfe_u32 v46, v43, v25, 4
	v_add_co_u32 v43, vcc_lo, v8, v29
	v_add_co_ci_u32_e64 v44, null, v9, v30, vcc_lo
	global_load_ubyte v43, v[43:44], off offset:104
	v_lshrrev_b32_e32 v44, 4, v41
	s_waitcnt vmcnt(0)
	v_lshrrev_b32_e32 v43, v28, v43
	v_lshlrev_b32_e32 v43, 4, v43
	v_and_or_b32 v43, v43, 48, v46
	v_and_b32_e32 v46, 0x3030303, v44
	v_bfe_u32 v44, v44, 24, 2
	v_subrev_nc_u32_e32 v43, 32, v43
	v_lshrrev_b16 v48, 8, v46
	v_lshrrev_b32_e32 v47, 16, v46
	v_sub_nc_u16 v44, v44, v53
	v_sub_nc_u16 v46, v46, v51
	;; [unrolled: 1-line block ×4, first 2 shown]
	v_lshlrev_b16 v44, 8, v44
	v_lshlrev_b16 v48, 8, v48
	v_or_b32_sdwa v44, v47, v44 dst_sel:WORD_1 dst_unused:UNUSED_PAD src0_sel:BYTE_0 src1_sel:DWORD
	v_lshrrev_b32_e32 v47, 24, v42
	v_or_b32_sdwa v46, v46, v48 dst_sel:DWORD dst_unused:UNUSED_PAD src0_sel:BYTE_0 src1_sel:DWORD
	v_lshrrev_b16 v48, 8, v42
	v_or_b32_sdwa v44, v46, v44 dst_sel:DWORD dst_unused:UNUSED_PAD src0_sel:WORD_0 src1_sel:DWORD
	v_mov_b32_e32 v46, 0
	v_dot4c_i32_i8 v46, v44, v49
	v_mul_lo_u32 v43, v43, v46
	v_lshrrev_b32_e32 v46, 16, v42
	v_cvt_f32_i32_e32 v43, v43
	v_fma_mix_f32 v45, v50, v43, v45 op_sel_hi:[1,0,0]
	v_add_co_u32 v43, vcc_lo, v8, v31
	v_add_co_ci_u32_e64 v44, null, v9, v34, vcc_lo
	v_add_co_u32 v8, vcc_lo, v8, v32
	v_add_co_ci_u32_e64 v9, null, v9, v36, vcc_lo
	global_load_ubyte v43, v[43:44], off offset:96
	v_cmp_le_u32_e32 vcc_lo, s12, v10
	global_load_ubyte v8, v[8:9], off offset:104
	v_lshrrev_b32_e32 v9, 6, v41
	v_lshrrev_b32_e32 v41, 30, v41
	s_or_b32 s0, vcc_lo, s0
	v_and_b32_e32 v9, 0x3030303, v9
	v_sub_nc_u16 v41, v41, v47
	v_lshrrev_b16 v44, 8, v9
	v_lshlrev_b16 v41, 8, v41
	s_waitcnt vmcnt(1)
	v_bfe_u32 v43, v43, v33, 4
	s_waitcnt vmcnt(0)
	v_lshrrev_b32_e32 v8, v35, v8
	v_lshlrev_b32_e32 v8, 4, v8
	v_and_or_b32 v8, v8, 48, v43
	v_lshrrev_b32_e32 v43, 16, v9
	v_sub_nc_u16 v9, v9, v42
	v_sub_nc_u16 v42, v44, v48
	v_subrev_nc_u32_e32 v8, 32, v8
	v_lshlrev_b16 v42, 8, v42
	v_or_b32_sdwa v9, v9, v42 dst_sel:DWORD dst_unused:UNUSED_PAD src0_sel:BYTE_0 src1_sel:DWORD
	v_sub_nc_u16 v42, v43, v46
	v_or_b32_sdwa v41, v42, v41 dst_sel:WORD_1 dst_unused:UNUSED_PAD src0_sel:BYTE_0 src1_sel:DWORD
	v_or_b32_sdwa v9, v9, v41 dst_sel:DWORD dst_unused:UNUSED_PAD src0_sel:WORD_0 src1_sel:DWORD
	v_mov_b32_e32 v41, 0
	v_dot4c_i32_i8 v41, v9, v40
	v_mul_lo_u32 v8, v8, v41
	v_cvt_f32_i32_e32 v8, v8
	v_fma_mix_f32 v8, v39, v8, v45 op_sel_hi:[1,0,0]
	v_fma_mix_f32 v3, v8, v38, v3 op_sel_hi:[0,1,0]
	s_andn2_b32 exec_lo, exec_lo, s0
	s_cbranch_execnz .LBB64_3
; %bb.4:
	s_or_b32 exec_lo, exec_lo, s0
.LBB64_5:
	s_or_b32 exec_lo, exec_lo, s6
	v_mbcnt_lo_u32_b32 v2, -1, 0
	v_xor_b32_e32 v4, 16, v2
	v_xor_b32_e32 v5, 8, v2
	v_cmp_gt_i32_e32 vcc_lo, 32, v4
	v_cndmask_b32_e32 v4, v2, v4, vcc_lo
	v_cmp_gt_i32_e32 vcc_lo, 32, v5
	v_lshlrev_b32_e32 v4, 2, v4
	v_cndmask_b32_e32 v5, v2, v5, vcc_lo
	ds_bpermute_b32 v4, v4, v3
	v_lshlrev_b32_e32 v5, 2, v5
	s_waitcnt lgkmcnt(0)
	v_add_f32_e32 v3, v3, v4
	ds_bpermute_b32 v4, v5, v3
	v_xor_b32_e32 v5, 4, v2
	v_cmp_gt_i32_e32 vcc_lo, 32, v5
	v_cndmask_b32_e32 v5, v2, v5, vcc_lo
	v_lshlrev_b32_e32 v5, 2, v5
	s_waitcnt lgkmcnt(0)
	v_add_f32_e32 v3, v3, v4
	ds_bpermute_b32 v4, v5, v3
	v_xor_b32_e32 v5, 2, v2
	v_cmp_gt_i32_e32 vcc_lo, 32, v5
	v_cndmask_b32_e32 v5, v2, v5, vcc_lo
	;; [unrolled: 7-line block ×3, first 2 shown]
	v_cmp_eq_u32_e32 vcc_lo, 0, v0
	s_waitcnt lgkmcnt(0)
	v_add_f32_e32 v2, v3, v4
	v_lshlrev_b32_e32 v3, 2, v5
	ds_bpermute_b32 v3, v3, v2
	s_and_b32 exec_lo, exec_lo, vcc_lo
	s_cbranch_execz .LBB64_7
; %bb.6:
	v_mad_u64_u32 v[0:1], null, s1, s7, v[1:2]
	v_mov_b32_e32 v1, 0
	s_waitcnt lgkmcnt(0)
	v_add_f32_e32 v2, v2, v3
	v_lshlrev_b64 v[0:1], 2, v[0:1]
	v_add_co_u32 v0, vcc_lo, s2, v0
	v_add_co_ci_u32_e64 v1, null, s3, v1, vcc_lo
	global_store_dword v[0:1], v2, off
.LBB64_7:
	s_endpgm
	.section	.rodata,"a",@progbits
	.p2align	6, 0x0
	.amdhsa_kernel _ZL13mul_mat_vec_qIfLi256ELi16E10block_q3_KLi1EXadL_ZL17vec_dot_q3_K_q8_1PKvPK10block_q8_1RKiEEEvS2_S2_PT_iii
		.amdhsa_group_segment_fixed_size 0
		.amdhsa_private_segment_fixed_size 0
		.amdhsa_kernarg_size 296
		.amdhsa_user_sgpr_count 6
		.amdhsa_user_sgpr_private_segment_buffer 1
		.amdhsa_user_sgpr_dispatch_ptr 0
		.amdhsa_user_sgpr_queue_ptr 0
		.amdhsa_user_sgpr_kernarg_segment_ptr 1
		.amdhsa_user_sgpr_dispatch_id 0
		.amdhsa_user_sgpr_flat_scratch_init 0
		.amdhsa_user_sgpr_private_segment_size 0
		.amdhsa_wavefront_size32 1
		.amdhsa_uses_dynamic_stack 0
		.amdhsa_system_sgpr_private_segment_wavefront_offset 0
		.amdhsa_system_sgpr_workgroup_id_x 1
		.amdhsa_system_sgpr_workgroup_id_y 1
		.amdhsa_system_sgpr_workgroup_id_z 0
		.amdhsa_system_sgpr_workgroup_info 0
		.amdhsa_system_vgpr_workitem_id 1
		.amdhsa_next_free_vgpr 58
		.amdhsa_next_free_sgpr 13
		.amdhsa_reserve_vcc 1
		.amdhsa_reserve_flat_scratch 0
		.amdhsa_float_round_mode_32 0
		.amdhsa_float_round_mode_16_64 0
		.amdhsa_float_denorm_mode_32 3
		.amdhsa_float_denorm_mode_16_64 3
		.amdhsa_dx10_clamp 1
		.amdhsa_ieee_mode 1
		.amdhsa_fp16_overflow 0
		.amdhsa_workgroup_processor_mode 1
		.amdhsa_memory_ordered 1
		.amdhsa_forward_progress 1
		.amdhsa_shared_vgpr_count 0
		.amdhsa_exception_fp_ieee_invalid_op 0
		.amdhsa_exception_fp_denorm_src 0
		.amdhsa_exception_fp_ieee_div_zero 0
		.amdhsa_exception_fp_ieee_overflow 0
		.amdhsa_exception_fp_ieee_underflow 0
		.amdhsa_exception_fp_ieee_inexact 0
		.amdhsa_exception_int_div_zero 0
	.end_amdhsa_kernel
	.section	.text._ZL13mul_mat_vec_qIfLi256ELi16E10block_q3_KLi1EXadL_ZL17vec_dot_q3_K_q8_1PKvPK10block_q8_1RKiEEEvS2_S2_PT_iii,"axG",@progbits,_ZL13mul_mat_vec_qIfLi256ELi16E10block_q3_KLi1EXadL_ZL17vec_dot_q3_K_q8_1PKvPK10block_q8_1RKiEEEvS2_S2_PT_iii,comdat
.Lfunc_end64:
	.size	_ZL13mul_mat_vec_qIfLi256ELi16E10block_q3_KLi1EXadL_ZL17vec_dot_q3_K_q8_1PKvPK10block_q8_1RKiEEEvS2_S2_PT_iii, .Lfunc_end64-_ZL13mul_mat_vec_qIfLi256ELi16E10block_q3_KLi1EXadL_ZL17vec_dot_q3_K_q8_1PKvPK10block_q8_1RKiEEEvS2_S2_PT_iii
                                        ; -- End function
	.set _ZL13mul_mat_vec_qIfLi256ELi16E10block_q3_KLi1EXadL_ZL17vec_dot_q3_K_q8_1PKvPK10block_q8_1RKiEEEvS2_S2_PT_iii.num_vgpr, 58
	.set _ZL13mul_mat_vec_qIfLi256ELi16E10block_q3_KLi1EXadL_ZL17vec_dot_q3_K_q8_1PKvPK10block_q8_1RKiEEEvS2_S2_PT_iii.num_agpr, 0
	.set _ZL13mul_mat_vec_qIfLi256ELi16E10block_q3_KLi1EXadL_ZL17vec_dot_q3_K_q8_1PKvPK10block_q8_1RKiEEEvS2_S2_PT_iii.numbered_sgpr, 13
	.set _ZL13mul_mat_vec_qIfLi256ELi16E10block_q3_KLi1EXadL_ZL17vec_dot_q3_K_q8_1PKvPK10block_q8_1RKiEEEvS2_S2_PT_iii.num_named_barrier, 0
	.set _ZL13mul_mat_vec_qIfLi256ELi16E10block_q3_KLi1EXadL_ZL17vec_dot_q3_K_q8_1PKvPK10block_q8_1RKiEEEvS2_S2_PT_iii.private_seg_size, 0
	.set _ZL13mul_mat_vec_qIfLi256ELi16E10block_q3_KLi1EXadL_ZL17vec_dot_q3_K_q8_1PKvPK10block_q8_1RKiEEEvS2_S2_PT_iii.uses_vcc, 1
	.set _ZL13mul_mat_vec_qIfLi256ELi16E10block_q3_KLi1EXadL_ZL17vec_dot_q3_K_q8_1PKvPK10block_q8_1RKiEEEvS2_S2_PT_iii.uses_flat_scratch, 0
	.set _ZL13mul_mat_vec_qIfLi256ELi16E10block_q3_KLi1EXadL_ZL17vec_dot_q3_K_q8_1PKvPK10block_q8_1RKiEEEvS2_S2_PT_iii.has_dyn_sized_stack, 0
	.set _ZL13mul_mat_vec_qIfLi256ELi16E10block_q3_KLi1EXadL_ZL17vec_dot_q3_K_q8_1PKvPK10block_q8_1RKiEEEvS2_S2_PT_iii.has_recursion, 0
	.set _ZL13mul_mat_vec_qIfLi256ELi16E10block_q3_KLi1EXadL_ZL17vec_dot_q3_K_q8_1PKvPK10block_q8_1RKiEEEvS2_S2_PT_iii.has_indirect_call, 0
	.section	.AMDGPU.csdata,"",@progbits
; Kernel info:
; codeLenInByte = 2320
; TotalNumSgprs: 15
; NumVgprs: 58
; ScratchSize: 0
; MemoryBound: 0
; FloatMode: 240
; IeeeMode: 1
; LDSByteSize: 0 bytes/workgroup (compile time only)
; SGPRBlocks: 0
; VGPRBlocks: 7
; NumSGPRsForWavesPerEU: 15
; NumVGPRsForWavesPerEU: 58
; Occupancy: 16
; WaveLimiterHint : 0
; COMPUTE_PGM_RSRC2:SCRATCH_EN: 0
; COMPUTE_PGM_RSRC2:USER_SGPR: 6
; COMPUTE_PGM_RSRC2:TRAP_HANDLER: 0
; COMPUTE_PGM_RSRC2:TGID_X_EN: 1
; COMPUTE_PGM_RSRC2:TGID_Y_EN: 1
; COMPUTE_PGM_RSRC2:TGID_Z_EN: 0
; COMPUTE_PGM_RSRC2:TIDIG_COMP_CNT: 1
	.section	.text._ZL13mul_mat_vec_qIfLi256ELi32E10block_q4_KLi2EXadL_ZL17vec_dot_q4_K_q8_1PKvPK10block_q8_1RKiEEEvS2_S2_PT_iii,"axG",@progbits,_ZL13mul_mat_vec_qIfLi256ELi32E10block_q4_KLi2EXadL_ZL17vec_dot_q4_K_q8_1PKvPK10block_q8_1RKiEEEvS2_S2_PT_iii,comdat
	.globl	_ZL13mul_mat_vec_qIfLi256ELi32E10block_q4_KLi2EXadL_ZL17vec_dot_q4_K_q8_1PKvPK10block_q8_1RKiEEEvS2_S2_PT_iii ; -- Begin function _ZL13mul_mat_vec_qIfLi256ELi32E10block_q4_KLi2EXadL_ZL17vec_dot_q4_K_q8_1PKvPK10block_q8_1RKiEEEvS2_S2_PT_iii
	.p2align	8
	.type	_ZL13mul_mat_vec_qIfLi256ELi32E10block_q4_KLi2EXadL_ZL17vec_dot_q4_K_q8_1PKvPK10block_q8_1RKiEEEvS2_S2_PT_iii,@function
_ZL13mul_mat_vec_qIfLi256ELi32E10block_q4_KLi2EXadL_ZL17vec_dot_q4_K_q8_1PKvPK10block_q8_1RKiEEEvS2_S2_PT_iii: ; @_ZL13mul_mat_vec_qIfLi256ELi32E10block_q4_KLi2EXadL_ZL17vec_dot_q4_K_q8_1PKvPK10block_q8_1RKiEEEvS2_S2_PT_iii
; %bb.0:
	s_clause 0x1
	s_load_dword s8, s[4:5], 0x34
	s_load_dwordx4 s[0:3], s[4:5], 0x18
	s_waitcnt lgkmcnt(0)
	s_lshr_b32 s3, s8, 16
	s_cmp_lt_u32 s7, s2
	v_mad_u64_u32 v[1:2], null, s6, s3, v[1:2]
	s_cselect_b32 s2, -1, 0
	v_cmp_gt_u32_e32 vcc_lo, s1, v1
	s_and_b32 s2, s2, vcc_lo
	s_and_saveexec_b32 s3, s2
	s_cbranch_execz .LBB65_11
; %bb.1:
	s_load_dwordx2 s[2:3], s[4:5], 0x10
	s_ashr_i32 s6, s0, 31
	v_lshrrev_b32_e32 v9, 4, v0
	s_lshr_b32 s6, s6, 24
	v_mov_b32_e32 v8, 0
	s_add_i32 s6, s0, s6
	s_ashr_i32 s12, s6, 8
	s_mov_b32 s6, exec_lo
	v_cmpx_gt_u32_e64 s12, v9
	s_cbranch_execz .LBB65_9
; %bb.2:
	s_load_dwordx4 s[8:11], s[4:5], 0x0
	v_lshlrev_b32_e32 v2, 1, v0
	s_addk_i32 s0, 0x1ff
	v_and_b32_e32 v4, 3, v0
	s_ashr_i32 s4, s0, 31
	v_lshlrev_b32_e32 v5, 3, v9
	v_bfe_u32 v6, v2, 3, 2
	s_lshr_b32 s4, s4, 23
	v_and_b32_e32 v2, 30, v2
	s_add_i32 s0, s0, s4
	v_mul_lo_u32 v10, v1, s12
	v_lshlrev_b32_e32 v3, 1, v6
	s_ashr_i32 s0, s0, 9
	v_cmp_lt_u32_e32 vcc_lo, 15, v2
	s_mul_i32 s0, s7, s0
	v_mov_b32_e32 v8, 0
	v_lshlrev_b32_e32 v11, 2, v4
	v_lshlrev_b32_e32 v12, 5, v6
	v_lshl_add_u32 v13, s0, 4, v5
	v_lshlrev_b32_e32 v14, 1, v6
	s_waitcnt lgkmcnt(0)
	v_mad_u64_u32 v[2:3], null, v3, 36, s[10:11]
	v_lshlrev_b32_e32 v15, 2, v4
	v_mov_b32_e32 v16, 0xffff
	s_mov_b32 s4, 0
	s_branch .LBB65_4
.LBB65_3:                               ;   in Loop: Header=BB65_4 Depth=1
	s_or_b32 exec_lo, exec_lo, s0
	v_mad_i64_i32 v[6:7], null, v13, 36, v[2:3]
	v_mov_b32_e32 v27, 0
	v_mov_b32_e32 v26, 0
	;; [unrolled: 1-line block ×3, first 2 shown]
	s_waitcnt vmcnt(0)
	v_and_b32_e32 v25, 0xf0f0f0f, v17
	v_and_b32_e32 v28, 0xff, v18
	v_lshrrev_b32_e32 v17, 4, v17
	v_add_co_u32 v20, s0, v6, v15
	v_add_co_ci_u32_e64 v21, null, 0, v7, s0
	v_mov_b32_e32 v29, 0
	v_bfe_u32 v31, v18, 16, 8
	v_add_nc_u32_e32 v9, 2, v9
	s_clause 0x4
	global_load_dword v22, v[20:21], off offset:4
	global_load_dword v23, v[20:21], off offset:40
	;; [unrolled: 1-line block ×4, first 2 shown]
	global_load_dword v21, v[6:7], off
	global_load_dword v4, v[4:5], off
	global_load_dword v5, v[6:7], off offset:36
	v_and_b32_e32 v7, 0xf0f0f0f, v19
	v_lshrrev_b32_e32 v19, 4, v19
	v_and_b32_sdwa v6, v16, v18 dst_sel:DWORD dst_unused:UNUSED_PAD src0_sel:DWORD src1_sel:BYTE_1
	v_lshrrev_b32_e32 v18, 24, v18
	v_cmp_le_u32_e64 s0, s12, v9
	v_add_nc_u32_e32 v13, 16, v13
	v_and_b32_e32 v19, 0xf0f0f0f, v19
	s_or_b32 s4, s0, s4
	s_waitcnt vmcnt(6)
	v_dot4c_i32_i8 v27, 0x1010101, v22
	v_dot4c_i32_i8 v26, v7, v22
	s_waitcnt vmcnt(5)
	v_dot4c_i32_i8 v30, 0x1010101, v23
	v_and_b32_e32 v7, 0xf0f0f0f, v17
	v_dot4c_i32_i8 v29, v19, v23
	s_waitcnt vmcnt(4)
	v_dot4c_i32_i8 v27, 0x1010101, v24
	v_dot4c_i32_i8 v26, v25, v24
	s_waitcnt vmcnt(3)
	v_dot4c_i32_i8 v30, 0x1010101, v20
	s_waitcnt vmcnt(1)
	v_cvt_f32_f16_sdwa v19, v4 dst_sel:DWORD dst_unused:UNUSED_PAD src0_sel:WORD_1
	v_dot4c_i32_i8 v29, v7, v20
	v_mul_lo_u32 v17, v27, v28
	v_mul_lo_u32 v7, v26, v31
	;; [unrolled: 1-line block ×4, first 2 shown]
	v_cvt_f32_i32_e32 v17, v17
	v_cvt_f32_i32_e32 v7, v7
	;; [unrolled: 1-line block ×4, first 2 shown]
	v_fma_mix_f32 v17, v21, v17, 0 op_sel_hi:[1,0,0]
	v_fma_mix_f32 v7, v21, v7, 0 op_sel_hi:[1,0,0]
	s_waitcnt vmcnt(0)
	v_fma_mix_f32 v6, v5, v6, v17 op_sel_hi:[1,0,0]
	v_fma_mix_f32 v5, v5, v18, v7 op_sel_hi:[1,0,0]
	v_mul_f32_e32 v6, v6, v19
	v_fma_mix_f32 v4, v5, v4, -v6 op_sel_hi:[0,1,0]
	v_add_f32_e32 v8, v8, v4
	s_andn2_b32 exec_lo, exec_lo, s4
	s_cbranch_execz .LBB65_8
.LBB65_4:                               ; =>This Inner Loop Header: Depth=1
	v_add_nc_u32_e32 v4, v10, v9
                                        ; implicit-def: $vgpr18
	v_mad_i64_i32 v[4:5], null, 0x90, v4, s[8:9]
	v_add_co_u32 v6, s0, v4, v12
	v_add_co_ci_u32_e64 v7, null, 0, v5, s0
	v_add_co_u32 v6, s0, v6, v11
	v_add_co_ci_u32_e64 v7, null, 0, v7, s0
	s_clause 0x1
	global_load_dword v19, v[6:7], off offset:16
	global_load_dword v17, v[6:7], off offset:32
	v_add_co_u32 v6, s0, v4, v14
	v_add_co_ci_u32_e64 v7, null, 0, v5, s0
	s_and_saveexec_b32 s0, vcc_lo
	s_xor_b32 s0, exec_lo, s0
	s_cbranch_execz .LBB65_6
; %bb.5:                                ;   in Loop: Header=BB65_4 Depth=1
	s_clause 0x1
	global_load_ushort v18, v[6:7], off offset:8
	global_load_ushort v20, v[6:7], off offset:4
	s_waitcnt vmcnt(1)
	v_mov_b32_e32 v21, v18
	global_load_short_d16_hi v21, v[6:7], off
	s_waitcnt vmcnt(1)
	v_perm_b32 v6, v18, v20, 0x5040100
	v_pk_lshrrev_b16 v6, 2, v6
	v_and_b32_e32 v6, 0xf0f3030, v6
	s_waitcnt vmcnt(0)
	v_pk_lshrrev_b16 v7, 0x20004, v21
	v_and_or_b32 v18, 0x30300f0f, v7, v6
                                        ; implicit-def: $vgpr6_vgpr7
.LBB65_6:                               ;   in Loop: Header=BB65_4 Depth=1
	s_andn2_saveexec_b32 s0, s0
	s_cbranch_execz .LBB65_3
; %bb.7:                                ;   in Loop: Header=BB65_4 Depth=1
	s_clause 0x1
	global_load_ushort v18, v[6:7], off offset:8
	global_load_short_d16_hi v18, v[6:7], off offset:4
	s_waitcnt vmcnt(0)
	v_and_b32_e32 v18, 0x3f3f3f3f, v18
	s_branch .LBB65_3
.LBB65_8:
	s_or_b32 exec_lo, exec_lo, s4
.LBB65_9:
	s_or_b32 exec_lo, exec_lo, s6
	v_mbcnt_lo_u32_b32 v2, -1, 0
	v_xor_b32_e32 v3, 16, v2
	v_xor_b32_e32 v4, 8, v2
	;; [unrolled: 1-line block ×3, first 2 shown]
	v_cmp_gt_i32_e32 vcc_lo, 32, v3
	v_cndmask_b32_e32 v3, v2, v3, vcc_lo
	v_cmp_gt_i32_e32 vcc_lo, 32, v4
	v_lshlrev_b32_e32 v3, 2, v3
	v_cndmask_b32_e32 v4, v2, v4, vcc_lo
	v_cmp_gt_i32_e32 vcc_lo, 32, v5
	ds_bpermute_b32 v3, v3, v8
	v_lshlrev_b32_e32 v4, 2, v4
	v_cndmask_b32_e32 v5, v2, v5, vcc_lo
	v_lshlrev_b32_e32 v5, 2, v5
	s_waitcnt lgkmcnt(0)
	v_add_f32_e32 v3, v8, v3
	ds_bpermute_b32 v4, v4, v3
	s_waitcnt lgkmcnt(0)
	v_add_f32_e32 v3, v3, v4
	ds_bpermute_b32 v4, v5, v3
	v_xor_b32_e32 v5, 2, v2
	v_cmp_gt_i32_e32 vcc_lo, 32, v5
	v_cndmask_b32_e32 v5, v2, v5, vcc_lo
	v_lshlrev_b32_e32 v5, 2, v5
	s_waitcnt lgkmcnt(0)
	v_add_f32_e32 v3, v3, v4
	ds_bpermute_b32 v4, v5, v3
	v_xor_b32_e32 v5, 1, v2
	v_cmp_gt_i32_e32 vcc_lo, 32, v5
	v_cndmask_b32_e32 v5, v2, v5, vcc_lo
	v_cmp_eq_u32_e32 vcc_lo, 0, v0
	s_waitcnt lgkmcnt(0)
	v_add_f32_e32 v2, v3, v4
	v_lshlrev_b32_e32 v3, 2, v5
	ds_bpermute_b32 v3, v3, v2
	s_and_b32 exec_lo, exec_lo, vcc_lo
	s_cbranch_execz .LBB65_11
; %bb.10:
	v_mad_u64_u32 v[0:1], null, s1, s7, v[1:2]
	v_mov_b32_e32 v1, 0
	s_waitcnt lgkmcnt(0)
	v_add_f32_e32 v2, v2, v3
	v_lshlrev_b64 v[0:1], 2, v[0:1]
	v_add_co_u32 v0, vcc_lo, s2, v0
	v_add_co_ci_u32_e64 v1, null, s3, v1, vcc_lo
	global_store_dword v[0:1], v2, off
.LBB65_11:
	s_endpgm
	.section	.rodata,"a",@progbits
	.p2align	6, 0x0
	.amdhsa_kernel _ZL13mul_mat_vec_qIfLi256ELi32E10block_q4_KLi2EXadL_ZL17vec_dot_q4_K_q8_1PKvPK10block_q8_1RKiEEEvS2_S2_PT_iii
		.amdhsa_group_segment_fixed_size 0
		.amdhsa_private_segment_fixed_size 0
		.amdhsa_kernarg_size 296
		.amdhsa_user_sgpr_count 6
		.amdhsa_user_sgpr_private_segment_buffer 1
		.amdhsa_user_sgpr_dispatch_ptr 0
		.amdhsa_user_sgpr_queue_ptr 0
		.amdhsa_user_sgpr_kernarg_segment_ptr 1
		.amdhsa_user_sgpr_dispatch_id 0
		.amdhsa_user_sgpr_flat_scratch_init 0
		.amdhsa_user_sgpr_private_segment_size 0
		.amdhsa_wavefront_size32 1
		.amdhsa_uses_dynamic_stack 0
		.amdhsa_system_sgpr_private_segment_wavefront_offset 0
		.amdhsa_system_sgpr_workgroup_id_x 1
		.amdhsa_system_sgpr_workgroup_id_y 1
		.amdhsa_system_sgpr_workgroup_id_z 0
		.amdhsa_system_sgpr_workgroup_info 0
		.amdhsa_system_vgpr_workitem_id 1
		.amdhsa_next_free_vgpr 32
		.amdhsa_next_free_sgpr 13
		.amdhsa_reserve_vcc 1
		.amdhsa_reserve_flat_scratch 0
		.amdhsa_float_round_mode_32 0
		.amdhsa_float_round_mode_16_64 0
		.amdhsa_float_denorm_mode_32 3
		.amdhsa_float_denorm_mode_16_64 3
		.amdhsa_dx10_clamp 1
		.amdhsa_ieee_mode 1
		.amdhsa_fp16_overflow 0
		.amdhsa_workgroup_processor_mode 1
		.amdhsa_memory_ordered 1
		.amdhsa_forward_progress 1
		.amdhsa_shared_vgpr_count 0
		.amdhsa_exception_fp_ieee_invalid_op 0
		.amdhsa_exception_fp_denorm_src 0
		.amdhsa_exception_fp_ieee_div_zero 0
		.amdhsa_exception_fp_ieee_overflow 0
		.amdhsa_exception_fp_ieee_underflow 0
		.amdhsa_exception_fp_ieee_inexact 0
		.amdhsa_exception_int_div_zero 0
	.end_amdhsa_kernel
	.section	.text._ZL13mul_mat_vec_qIfLi256ELi32E10block_q4_KLi2EXadL_ZL17vec_dot_q4_K_q8_1PKvPK10block_q8_1RKiEEEvS2_S2_PT_iii,"axG",@progbits,_ZL13mul_mat_vec_qIfLi256ELi32E10block_q4_KLi2EXadL_ZL17vec_dot_q4_K_q8_1PKvPK10block_q8_1RKiEEEvS2_S2_PT_iii,comdat
.Lfunc_end65:
	.size	_ZL13mul_mat_vec_qIfLi256ELi32E10block_q4_KLi2EXadL_ZL17vec_dot_q4_K_q8_1PKvPK10block_q8_1RKiEEEvS2_S2_PT_iii, .Lfunc_end65-_ZL13mul_mat_vec_qIfLi256ELi32E10block_q4_KLi2EXadL_ZL17vec_dot_q4_K_q8_1PKvPK10block_q8_1RKiEEEvS2_S2_PT_iii
                                        ; -- End function
	.set _ZL13mul_mat_vec_qIfLi256ELi32E10block_q4_KLi2EXadL_ZL17vec_dot_q4_K_q8_1PKvPK10block_q8_1RKiEEEvS2_S2_PT_iii.num_vgpr, 32
	.set _ZL13mul_mat_vec_qIfLi256ELi32E10block_q4_KLi2EXadL_ZL17vec_dot_q4_K_q8_1PKvPK10block_q8_1RKiEEEvS2_S2_PT_iii.num_agpr, 0
	.set _ZL13mul_mat_vec_qIfLi256ELi32E10block_q4_KLi2EXadL_ZL17vec_dot_q4_K_q8_1PKvPK10block_q8_1RKiEEEvS2_S2_PT_iii.numbered_sgpr, 13
	.set _ZL13mul_mat_vec_qIfLi256ELi32E10block_q4_KLi2EXadL_ZL17vec_dot_q4_K_q8_1PKvPK10block_q8_1RKiEEEvS2_S2_PT_iii.num_named_barrier, 0
	.set _ZL13mul_mat_vec_qIfLi256ELi32E10block_q4_KLi2EXadL_ZL17vec_dot_q4_K_q8_1PKvPK10block_q8_1RKiEEEvS2_S2_PT_iii.private_seg_size, 0
	.set _ZL13mul_mat_vec_qIfLi256ELi32E10block_q4_KLi2EXadL_ZL17vec_dot_q4_K_q8_1PKvPK10block_q8_1RKiEEEvS2_S2_PT_iii.uses_vcc, 1
	.set _ZL13mul_mat_vec_qIfLi256ELi32E10block_q4_KLi2EXadL_ZL17vec_dot_q4_K_q8_1PKvPK10block_q8_1RKiEEEvS2_S2_PT_iii.uses_flat_scratch, 0
	.set _ZL13mul_mat_vec_qIfLi256ELi32E10block_q4_KLi2EXadL_ZL17vec_dot_q4_K_q8_1PKvPK10block_q8_1RKiEEEvS2_S2_PT_iii.has_dyn_sized_stack, 0
	.set _ZL13mul_mat_vec_qIfLi256ELi32E10block_q4_KLi2EXadL_ZL17vec_dot_q4_K_q8_1PKvPK10block_q8_1RKiEEEvS2_S2_PT_iii.has_recursion, 0
	.set _ZL13mul_mat_vec_qIfLi256ELi32E10block_q4_KLi2EXadL_ZL17vec_dot_q4_K_q8_1PKvPK10block_q8_1RKiEEEvS2_S2_PT_iii.has_indirect_call, 0
	.section	.AMDGPU.csdata,"",@progbits
; Kernel info:
; codeLenInByte = 1088
; TotalNumSgprs: 15
; NumVgprs: 32
; ScratchSize: 0
; MemoryBound: 0
; FloatMode: 240
; IeeeMode: 1
; LDSByteSize: 0 bytes/workgroup (compile time only)
; SGPRBlocks: 0
; VGPRBlocks: 3
; NumSGPRsForWavesPerEU: 15
; NumVGPRsForWavesPerEU: 32
; Occupancy: 16
; WaveLimiterHint : 0
; COMPUTE_PGM_RSRC2:SCRATCH_EN: 0
; COMPUTE_PGM_RSRC2:USER_SGPR: 6
; COMPUTE_PGM_RSRC2:TRAP_HANDLER: 0
; COMPUTE_PGM_RSRC2:TGID_X_EN: 1
; COMPUTE_PGM_RSRC2:TGID_Y_EN: 1
; COMPUTE_PGM_RSRC2:TGID_Z_EN: 0
; COMPUTE_PGM_RSRC2:TIDIG_COMP_CNT: 1
	.section	.text._ZL13mul_mat_vec_qIfLi256ELi32E10block_q5_KLi2EXadL_ZL17vec_dot_q5_K_q8_1PKvPK10block_q8_1RKiEEEvS2_S2_PT_iii,"axG",@progbits,_ZL13mul_mat_vec_qIfLi256ELi32E10block_q5_KLi2EXadL_ZL17vec_dot_q5_K_q8_1PKvPK10block_q8_1RKiEEEvS2_S2_PT_iii,comdat
	.globl	_ZL13mul_mat_vec_qIfLi256ELi32E10block_q5_KLi2EXadL_ZL17vec_dot_q5_K_q8_1PKvPK10block_q8_1RKiEEEvS2_S2_PT_iii ; -- Begin function _ZL13mul_mat_vec_qIfLi256ELi32E10block_q5_KLi2EXadL_ZL17vec_dot_q5_K_q8_1PKvPK10block_q8_1RKiEEEvS2_S2_PT_iii
	.p2align	8
	.type	_ZL13mul_mat_vec_qIfLi256ELi32E10block_q5_KLi2EXadL_ZL17vec_dot_q5_K_q8_1PKvPK10block_q8_1RKiEEEvS2_S2_PT_iii,@function
_ZL13mul_mat_vec_qIfLi256ELi32E10block_q5_KLi2EXadL_ZL17vec_dot_q5_K_q8_1PKvPK10block_q8_1RKiEEEvS2_S2_PT_iii: ; @_ZL13mul_mat_vec_qIfLi256ELi32E10block_q5_KLi2EXadL_ZL17vec_dot_q5_K_q8_1PKvPK10block_q8_1RKiEEEvS2_S2_PT_iii
; %bb.0:
	s_clause 0x1
	s_load_dword s8, s[4:5], 0x34
	s_load_dwordx4 s[0:3], s[4:5], 0x18
	s_waitcnt lgkmcnt(0)
	s_lshr_b32 s3, s8, 16
	s_cmp_lt_u32 s7, s2
	v_mad_u64_u32 v[1:2], null, s6, s3, v[1:2]
	s_cselect_b32 s2, -1, 0
	v_cmp_gt_u32_e32 vcc_lo, s1, v1
	s_and_b32 s2, s2, vcc_lo
	s_and_saveexec_b32 s3, s2
	s_cbranch_execz .LBB66_11
; %bb.1:
	s_load_dwordx2 s[2:3], s[4:5], 0x10
	s_ashr_i32 s6, s0, 31
	v_lshrrev_b32_e32 v9, 4, v0
	s_lshr_b32 s6, s6, 24
	v_mov_b32_e32 v8, 0
	s_add_i32 s6, s0, s6
	s_ashr_i32 s12, s6, 8
	s_mov_b32 s6, exec_lo
	v_cmpx_gt_u32_e64 s12, v9
	s_cbranch_execz .LBB66_9
; %bb.2:
	s_load_dwordx4 s[8:11], s[4:5], 0x0
	v_lshlrev_b32_e32 v2, 1, v0
	s_addk_i32 s0, 0x1ff
	v_and_b32_e32 v4, 3, v0
	s_ashr_i32 s4, s0, 31
	v_lshlrev_b32_e32 v5, 3, v9
	v_bfe_u32 v6, v2, 3, 2
	s_lshr_b32 s4, s4, 23
	v_and_b32_e32 v2, 30, v2
	s_add_i32 s0, s0, s4
	v_mul_lo_u32 v10, v1, s12
	v_lshlrev_b32_e32 v12, 1, v6
	s_ashr_i32 s0, s0, 9
	v_cmp_lt_u32_e32 vcc_lo, 15, v2
	s_mul_i32 s0, s7, s0
	v_mov_b32_e32 v8, 0
	v_lshlrev_b32_e32 v11, 2, v4
	v_lshlrev_b32_e32 v13, 5, v6
	v_lshl_add_u32 v14, s0, 4, v5
	v_lshlrev_b32_e32 v15, 1, v6
	s_waitcnt lgkmcnt(0)
	v_mad_u64_u32 v[2:3], null, v12, 36, s[10:11]
	v_lshlrev_b32_e32 v16, 2, v4
	v_mov_b32_e32 v17, 0xffff
	s_mov_b32 s4, 0
	s_branch .LBB66_4
.LBB66_3:                               ;   in Loop: Header=BB66_4 Depth=1
	s_or_b32 exec_lo, exec_lo, s0
	v_mad_i64_i32 v[6:7], null, v14, 36, v[2:3]
	s_waitcnt vmcnt(1)
	v_ashrrev_i32_e32 v21, v12, v21
	v_and_b32_e32 v28, 0xf0f0f0f, v19
	v_mov_b32_e32 v30, 0
	v_lshrrev_b32_e32 v19, 4, v19
	v_mov_b32_e32 v29, 0
	v_mov_b32_e32 v33, 0
	v_add_co_u32 v23, s0, v6, v16
	v_add_co_ci_u32_e64 v24, null, 0, v7, s0
	v_lshlrev_b32_e32 v36, 4, v21
	v_and_b32_e32 v19, 0xf0f0f0f, v19
	v_and_b32_e32 v31, 0xff, v18
	s_clause 0x4
	global_load_dword v25, v[23:24], off offset:20
	global_load_dword v26, v[23:24], off offset:56
	global_load_dword v27, v[23:24], off offset:4
	global_load_dword v23, v[23:24], off offset:40
	global_load_dword v24, v[6:7], off
	global_load_dword v4, v[4:5], off
	global_load_dword v5, v[6:7], off offset:36
	s_waitcnt vmcnt(7)
	v_ashrrev_i32_e32 v7, v12, v22
	v_and_b32_e32 v22, 0xf0f0f0f, v20
	v_lshrrev_b32_e32 v20, 4, v20
	v_mov_b32_e32 v32, 0
	v_lshlrev_b32_e32 v21, 3, v21
	v_lshlrev_b32_e32 v35, 4, v7
	;; [unrolled: 1-line block ×3, first 2 shown]
	v_and_b32_e32 v20, 0xf0f0f0f, v20
	v_and_or_b32 v22, 0x10101010, v36, v22
	v_and_b32_sdwa v6, v17, v18 dst_sel:DWORD dst_unused:UNUSED_PAD src0_sel:DWORD src1_sel:BYTE_1
	v_and_or_b32 v28, 0x10101010, v35, v28
	v_and_or_b32 v7, 0x10101010, v7, v19
	v_bfe_u32 v34, v18, 16, 8
	v_and_or_b32 v19, 0x10101010, v21, v20
	v_lshrrev_b32_e32 v18, 24, v18
	v_add_nc_u32_e32 v9, 2, v9
	v_add_nc_u32_e32 v14, 16, v14
	v_cmp_le_u32_e64 s0, s12, v9
	s_or_b32 s4, s0, s4
	s_waitcnt vmcnt(6)
	v_dot4c_i32_i8 v30, 0x1010101, v25
	v_dot4c_i32_i8 v29, v28, v25
	s_waitcnt vmcnt(5)
	v_dot4c_i32_i8 v33, 0x1010101, v26
	v_dot4c_i32_i8 v32, v7, v26
	;; [unrolled: 3-line block ×4, first 2 shown]
	s_waitcnt vmcnt(1)
	v_cvt_f32_f16_sdwa v20, v4 dst_sel:DWORD dst_unused:UNUSED_PAD src0_sel:WORD_1
	v_mul_lo_u32 v7, v30, v31
	v_mul_lo_u32 v19, v29, v34
	;; [unrolled: 1-line block ×4, first 2 shown]
	v_cvt_f32_i32_e32 v7, v7
	v_cvt_f32_i32_e32 v19, v19
	;; [unrolled: 1-line block ×4, first 2 shown]
	v_fma_mix_f32 v7, v24, v7, 0 op_sel_hi:[1,0,0]
	v_fma_mix_f32 v19, v24, v19, 0 op_sel_hi:[1,0,0]
	s_waitcnt vmcnt(0)
	v_fma_mix_f32 v6, v5, v6, v7 op_sel_hi:[1,0,0]
	v_fma_mix_f32 v5, v5, v18, v19 op_sel_hi:[1,0,0]
	v_mul_f32_e32 v6, v6, v20
	v_fma_mix_f32 v4, v5, v4, -v6 op_sel_hi:[0,1,0]
	v_add_f32_e32 v8, v8, v4
	s_andn2_b32 exec_lo, exec_lo, s4
	s_cbranch_execz .LBB66_8
.LBB66_4:                               ; =>This Inner Loop Header: Depth=1
	v_add_nc_u32_e32 v4, v10, v9
                                        ; implicit-def: $vgpr18
	v_mad_i64_i32 v[4:5], null, 0xb0, v4, s[8:9]
	v_add_co_u32 v6, s0, v4, v13
	v_add_co_ci_u32_e64 v7, null, 0, v5, s0
	v_add_co_u32 v6, s0, v6, v11
	v_add_co_ci_u32_e64 v7, null, 0, v7, s0
	;; [unrolled: 2-line block ×3, first 2 shown]
	s_clause 0x3
	global_load_dword v20, v[6:7], off offset:48
	global_load_dword v19, v[6:7], off offset:64
	;; [unrolled: 1-line block ×4, first 2 shown]
	v_add_co_u32 v6, s0, v4, v15
	v_add_co_ci_u32_e64 v7, null, 0, v5, s0
	s_and_saveexec_b32 s0, vcc_lo
	s_xor_b32 s0, exec_lo, s0
	s_cbranch_execz .LBB66_6
; %bb.5:                                ;   in Loop: Header=BB66_4 Depth=1
	s_clause 0x1
	global_load_ushort v18, v[6:7], off offset:8
	global_load_ushort v23, v[6:7], off offset:4
	s_waitcnt vmcnt(1)
	v_mov_b32_e32 v24, v18
	global_load_short_d16_hi v24, v[6:7], off
	s_waitcnt vmcnt(1)
	v_perm_b32 v6, v18, v23, 0x5040100
	v_pk_lshrrev_b16 v6, 2, v6
	v_and_b32_e32 v6, 0xf0f3030, v6
	s_waitcnt vmcnt(0)
	v_pk_lshrrev_b16 v7, 0x20004, v24
	v_and_or_b32 v18, 0x30300f0f, v7, v6
                                        ; implicit-def: $vgpr6_vgpr7
.LBB66_6:                               ;   in Loop: Header=BB66_4 Depth=1
	s_andn2_saveexec_b32 s0, s0
	s_cbranch_execz .LBB66_3
; %bb.7:                                ;   in Loop: Header=BB66_4 Depth=1
	s_clause 0x1
	global_load_ushort v18, v[6:7], off offset:8
	global_load_short_d16_hi v18, v[6:7], off offset:4
	s_waitcnt vmcnt(0)
	v_and_b32_e32 v18, 0x3f3f3f3f, v18
	s_branch .LBB66_3
.LBB66_8:
	s_or_b32 exec_lo, exec_lo, s4
.LBB66_9:
	s_or_b32 exec_lo, exec_lo, s6
	v_mbcnt_lo_u32_b32 v2, -1, 0
	v_xor_b32_e32 v3, 16, v2
	v_xor_b32_e32 v4, 8, v2
	;; [unrolled: 1-line block ×3, first 2 shown]
	v_cmp_gt_i32_e32 vcc_lo, 32, v3
	v_cndmask_b32_e32 v3, v2, v3, vcc_lo
	v_cmp_gt_i32_e32 vcc_lo, 32, v4
	v_lshlrev_b32_e32 v3, 2, v3
	v_cndmask_b32_e32 v4, v2, v4, vcc_lo
	v_cmp_gt_i32_e32 vcc_lo, 32, v5
	ds_bpermute_b32 v3, v3, v8
	v_lshlrev_b32_e32 v4, 2, v4
	v_cndmask_b32_e32 v5, v2, v5, vcc_lo
	v_lshlrev_b32_e32 v5, 2, v5
	s_waitcnt lgkmcnt(0)
	v_add_f32_e32 v3, v8, v3
	ds_bpermute_b32 v4, v4, v3
	s_waitcnt lgkmcnt(0)
	v_add_f32_e32 v3, v3, v4
	ds_bpermute_b32 v4, v5, v3
	v_xor_b32_e32 v5, 2, v2
	v_cmp_gt_i32_e32 vcc_lo, 32, v5
	v_cndmask_b32_e32 v5, v2, v5, vcc_lo
	v_lshlrev_b32_e32 v5, 2, v5
	s_waitcnt lgkmcnt(0)
	v_add_f32_e32 v3, v3, v4
	ds_bpermute_b32 v4, v5, v3
	v_xor_b32_e32 v5, 1, v2
	v_cmp_gt_i32_e32 vcc_lo, 32, v5
	v_cndmask_b32_e32 v5, v2, v5, vcc_lo
	v_cmp_eq_u32_e32 vcc_lo, 0, v0
	s_waitcnt lgkmcnt(0)
	v_add_f32_e32 v2, v3, v4
	v_lshlrev_b32_e32 v3, 2, v5
	ds_bpermute_b32 v3, v3, v2
	s_and_b32 exec_lo, exec_lo, vcc_lo
	s_cbranch_execz .LBB66_11
; %bb.10:
	v_mad_u64_u32 v[0:1], null, s1, s7, v[1:2]
	v_mov_b32_e32 v1, 0
	s_waitcnt lgkmcnt(0)
	v_add_f32_e32 v2, v2, v3
	v_lshlrev_b64 v[0:1], 2, v[0:1]
	v_add_co_u32 v0, vcc_lo, s2, v0
	v_add_co_ci_u32_e64 v1, null, s3, v1, vcc_lo
	global_store_dword v[0:1], v2, off
.LBB66_11:
	s_endpgm
	.section	.rodata,"a",@progbits
	.p2align	6, 0x0
	.amdhsa_kernel _ZL13mul_mat_vec_qIfLi256ELi32E10block_q5_KLi2EXadL_ZL17vec_dot_q5_K_q8_1PKvPK10block_q8_1RKiEEEvS2_S2_PT_iii
		.amdhsa_group_segment_fixed_size 0
		.amdhsa_private_segment_fixed_size 0
		.amdhsa_kernarg_size 296
		.amdhsa_user_sgpr_count 6
		.amdhsa_user_sgpr_private_segment_buffer 1
		.amdhsa_user_sgpr_dispatch_ptr 0
		.amdhsa_user_sgpr_queue_ptr 0
		.amdhsa_user_sgpr_kernarg_segment_ptr 1
		.amdhsa_user_sgpr_dispatch_id 0
		.amdhsa_user_sgpr_flat_scratch_init 0
		.amdhsa_user_sgpr_private_segment_size 0
		.amdhsa_wavefront_size32 1
		.amdhsa_uses_dynamic_stack 0
		.amdhsa_system_sgpr_private_segment_wavefront_offset 0
		.amdhsa_system_sgpr_workgroup_id_x 1
		.amdhsa_system_sgpr_workgroup_id_y 1
		.amdhsa_system_sgpr_workgroup_id_z 0
		.amdhsa_system_sgpr_workgroup_info 0
		.amdhsa_system_vgpr_workitem_id 1
		.amdhsa_next_free_vgpr 37
		.amdhsa_next_free_sgpr 13
		.amdhsa_reserve_vcc 1
		.amdhsa_reserve_flat_scratch 0
		.amdhsa_float_round_mode_32 0
		.amdhsa_float_round_mode_16_64 0
		.amdhsa_float_denorm_mode_32 3
		.amdhsa_float_denorm_mode_16_64 3
		.amdhsa_dx10_clamp 1
		.amdhsa_ieee_mode 1
		.amdhsa_fp16_overflow 0
		.amdhsa_workgroup_processor_mode 1
		.amdhsa_memory_ordered 1
		.amdhsa_forward_progress 1
		.amdhsa_shared_vgpr_count 0
		.amdhsa_exception_fp_ieee_invalid_op 0
		.amdhsa_exception_fp_denorm_src 0
		.amdhsa_exception_fp_ieee_div_zero 0
		.amdhsa_exception_fp_ieee_overflow 0
		.amdhsa_exception_fp_ieee_underflow 0
		.amdhsa_exception_fp_ieee_inexact 0
		.amdhsa_exception_int_div_zero 0
	.end_amdhsa_kernel
	.section	.text._ZL13mul_mat_vec_qIfLi256ELi32E10block_q5_KLi2EXadL_ZL17vec_dot_q5_K_q8_1PKvPK10block_q8_1RKiEEEvS2_S2_PT_iii,"axG",@progbits,_ZL13mul_mat_vec_qIfLi256ELi32E10block_q5_KLi2EXadL_ZL17vec_dot_q5_K_q8_1PKvPK10block_q8_1RKiEEEvS2_S2_PT_iii,comdat
.Lfunc_end66:
	.size	_ZL13mul_mat_vec_qIfLi256ELi32E10block_q5_KLi2EXadL_ZL17vec_dot_q5_K_q8_1PKvPK10block_q8_1RKiEEEvS2_S2_PT_iii, .Lfunc_end66-_ZL13mul_mat_vec_qIfLi256ELi32E10block_q5_KLi2EXadL_ZL17vec_dot_q5_K_q8_1PKvPK10block_q8_1RKiEEEvS2_S2_PT_iii
                                        ; -- End function
	.set _ZL13mul_mat_vec_qIfLi256ELi32E10block_q5_KLi2EXadL_ZL17vec_dot_q5_K_q8_1PKvPK10block_q8_1RKiEEEvS2_S2_PT_iii.num_vgpr, 37
	.set _ZL13mul_mat_vec_qIfLi256ELi32E10block_q5_KLi2EXadL_ZL17vec_dot_q5_K_q8_1PKvPK10block_q8_1RKiEEEvS2_S2_PT_iii.num_agpr, 0
	.set _ZL13mul_mat_vec_qIfLi256ELi32E10block_q5_KLi2EXadL_ZL17vec_dot_q5_K_q8_1PKvPK10block_q8_1RKiEEEvS2_S2_PT_iii.numbered_sgpr, 13
	.set _ZL13mul_mat_vec_qIfLi256ELi32E10block_q5_KLi2EXadL_ZL17vec_dot_q5_K_q8_1PKvPK10block_q8_1RKiEEEvS2_S2_PT_iii.num_named_barrier, 0
	.set _ZL13mul_mat_vec_qIfLi256ELi32E10block_q5_KLi2EXadL_ZL17vec_dot_q5_K_q8_1PKvPK10block_q8_1RKiEEEvS2_S2_PT_iii.private_seg_size, 0
	.set _ZL13mul_mat_vec_qIfLi256ELi32E10block_q5_KLi2EXadL_ZL17vec_dot_q5_K_q8_1PKvPK10block_q8_1RKiEEEvS2_S2_PT_iii.uses_vcc, 1
	.set _ZL13mul_mat_vec_qIfLi256ELi32E10block_q5_KLi2EXadL_ZL17vec_dot_q5_K_q8_1PKvPK10block_q8_1RKiEEEvS2_S2_PT_iii.uses_flat_scratch, 0
	.set _ZL13mul_mat_vec_qIfLi256ELi32E10block_q5_KLi2EXadL_ZL17vec_dot_q5_K_q8_1PKvPK10block_q8_1RKiEEEvS2_S2_PT_iii.has_dyn_sized_stack, 0
	.set _ZL13mul_mat_vec_qIfLi256ELi32E10block_q5_KLi2EXadL_ZL17vec_dot_q5_K_q8_1PKvPK10block_q8_1RKiEEEvS2_S2_PT_iii.has_recursion, 0
	.set _ZL13mul_mat_vec_qIfLi256ELi32E10block_q5_KLi2EXadL_ZL17vec_dot_q5_K_q8_1PKvPK10block_q8_1RKiEEEvS2_S2_PT_iii.has_indirect_call, 0
	.section	.AMDGPU.csdata,"",@progbits
; Kernel info:
; codeLenInByte = 1196
; TotalNumSgprs: 15
; NumVgprs: 37
; ScratchSize: 0
; MemoryBound: 0
; FloatMode: 240
; IeeeMode: 1
; LDSByteSize: 0 bytes/workgroup (compile time only)
; SGPRBlocks: 0
; VGPRBlocks: 4
; NumSGPRsForWavesPerEU: 15
; NumVGPRsForWavesPerEU: 37
; Occupancy: 16
; WaveLimiterHint : 0
; COMPUTE_PGM_RSRC2:SCRATCH_EN: 0
; COMPUTE_PGM_RSRC2:USER_SGPR: 6
; COMPUTE_PGM_RSRC2:TRAP_HANDLER: 0
; COMPUTE_PGM_RSRC2:TGID_X_EN: 1
; COMPUTE_PGM_RSRC2:TGID_Y_EN: 1
; COMPUTE_PGM_RSRC2:TGID_Z_EN: 0
; COMPUTE_PGM_RSRC2:TIDIG_COMP_CNT: 1
	.section	.text._ZL13mul_mat_vec_qIfLi256ELi32E10block_q6_KLi1EXadL_ZL17vec_dot_q6_K_q8_1PKvPK10block_q8_1RKiEEEvS2_S2_PT_iii,"axG",@progbits,_ZL13mul_mat_vec_qIfLi256ELi32E10block_q6_KLi1EXadL_ZL17vec_dot_q6_K_q8_1PKvPK10block_q8_1RKiEEEvS2_S2_PT_iii,comdat
	.globl	_ZL13mul_mat_vec_qIfLi256ELi32E10block_q6_KLi1EXadL_ZL17vec_dot_q6_K_q8_1PKvPK10block_q8_1RKiEEEvS2_S2_PT_iii ; -- Begin function _ZL13mul_mat_vec_qIfLi256ELi32E10block_q6_KLi1EXadL_ZL17vec_dot_q6_K_q8_1PKvPK10block_q8_1RKiEEEvS2_S2_PT_iii
	.p2align	8
	.type	_ZL13mul_mat_vec_qIfLi256ELi32E10block_q6_KLi1EXadL_ZL17vec_dot_q6_K_q8_1PKvPK10block_q8_1RKiEEEvS2_S2_PT_iii,@function
_ZL13mul_mat_vec_qIfLi256ELi32E10block_q6_KLi1EXadL_ZL17vec_dot_q6_K_q8_1PKvPK10block_q8_1RKiEEEvS2_S2_PT_iii: ; @_ZL13mul_mat_vec_qIfLi256ELi32E10block_q6_KLi1EXadL_ZL17vec_dot_q6_K_q8_1PKvPK10block_q8_1RKiEEEvS2_S2_PT_iii
; %bb.0:
	s_clause 0x1
	s_load_dword s8, s[4:5], 0x34
	s_load_dwordx4 s[0:3], s[4:5], 0x18
	s_waitcnt lgkmcnt(0)
	s_lshr_b32 s3, s8, 16
	s_cmp_lt_u32 s7, s2
	v_mad_u64_u32 v[1:2], null, s6, s3, v[1:2]
	s_cselect_b32 s2, -1, 0
	v_cmp_gt_u32_e32 vcc_lo, s1, v1
	s_and_b32 s2, s2, vcc_lo
	s_and_saveexec_b32 s3, s2
	s_cbranch_execz .LBB67_7
; %bb.1:
	s_load_dwordx2 s[2:3], s[4:5], 0x10
	s_ashr_i32 s6, s0, 31
	v_lshrrev_b32_e32 v4, 5, v0
	s_lshr_b32 s6, s6, 24
	v_mov_b32_e32 v5, 0
	s_add_i32 s6, s0, s6
	s_ashr_i32 s12, s6, 8
	s_mov_b32 s6, exec_lo
	v_cmpx_gt_u32_e64 s12, v4
	s_cbranch_execz .LBB67_5
; %bb.2:
	v_and_b32_e32 v2, 31, v0
	s_load_dwordx4 s[8:11], s[4:5], 0x0
	s_addk_i32 s0, 0x1ff
	v_and_b32_e32 v9, 7, v0
	s_ashr_i32 s4, s0, 31
	v_add_nc_u32_e32 v3, 0xf0, v2
	v_cmp_gt_u32_e32 vcc_lo, 16, v2
	v_lshlrev_b32_e32 v7, 2, v2
	s_lshr_b32 s4, s4, 23
	v_lshlrev_b32_e32 v14, 3, v4
	s_add_i32 s0, s0, s4
	v_cndmask_b32_e32 v10, v3, v2, vcc_lo
	v_cmp_lt_u32_e32 vcc_lo, 15, v2
	s_ashr_i32 s0, s0, 9
	v_mul_lo_u32 v6, v1, s12
	s_mul_i32 s0, s7, s0
	v_and_b32_e32 v12, 0xf8, v10
	v_cndmask_b32_e64 v3, 0, 4, vcc_lo
	v_cndmask_b32_e64 v11, 0, 8, vcc_lo
	v_bfe_u32 v13, v10, 2, 6
	v_mov_b32_e32 v5, 0
	v_cmp_ne_u32_e32 vcc_lo, 0, v12
	s_waitcnt lgkmcnt(0)
	v_mad_u64_u32 v[2:3], null, v3, 36, s[10:11]
	v_or_b32_e32 v8, v11, v9
	v_lshlrev_b32_e32 v9, 2, v9
	v_cndmask_b32_e64 v12, 0, 1, vcc_lo
	v_cndmask_b32_e64 v10, 0, 2, vcc_lo
	v_add_nc_u32_e32 v11, v13, v11
	v_lshlrev_b32_e32 v8, 2, v8
	v_mad_u64_u32 v[2:3], null, v12, 36, v[2:3]
	v_lshl_add_u32 v12, s0, 4, v14
	s_mov_b32 s0, 0
.LBB67_3:                               ; =>This Inner Loop Header: Depth=1
	v_add_nc_u32_e32 v13, v6, v4
	v_add_nc_u32_e32 v4, 1, v4
	v_mad_i64_i32 v[13:14], null, 0xd2, v13, s[8:9]
	v_add_co_u32 v15, vcc_lo, v13, v8
	v_add_co_ci_u32_e64 v16, null, 0, v14, vcc_lo
	v_add_co_u32 v17, vcc_lo, v13, v7
	v_add_co_ci_u32_e64 v18, null, 0, v14, vcc_lo
	s_clause 0x1
	global_load_dword v21, v[15:16], off offset:128
	global_load_dword v22, v[17:18], off
	v_mad_i64_i32 v[15:16], null, v12, 36, v[2:3]
	v_add_nc_u32_e32 v12, 8, v12
	v_add_co_u32 v17, vcc_lo, v15, v9
	v_add_co_ci_u32_e64 v18, null, 0, v16, vcc_lo
	v_add_co_u32 v19, vcc_lo, v13, v11
	v_add_co_ci_u32_e64 v20, null, 0, v14, vcc_lo
	s_clause 0x1
	global_load_dword v23, v[17:18], off offset:4
	global_load_dword v17, v[17:18], off offset:76
	s_clause 0x1
	global_load_sbyte v18, v[19:20], off offset:192
	global_load_sbyte v19, v[19:20], off offset:196
	s_clause 0x1
	global_load_dword v20, v[15:16], off
	global_load_dword v15, v[15:16], off offset:72
	global_load_ushort v13, v[13:14], off offset:208
	v_cmp_le_u32_e32 vcc_lo, s12, v4
	s_or_b32 s0, vcc_lo, s0
	s_waitcnt vmcnt(8)
	v_ashrrev_i32_e32 v14, v10, v21
	s_waitcnt vmcnt(7)
	v_and_b32_e32 v16, 0xf0f0f0f, v22
	v_lshrrev_b32_e32 v21, 4, v22
	v_lshlrev_b32_e32 v22, 4, v14
	v_and_b32_e32 v21, 0xf0f0f0f, v21
	v_and_or_b32 v16, 0x30303030, v22, v16
	v_and_or_b32 v14, 0x30303030, v14, v21
	v_lshrrev_b32_e32 v21, 16, v16
	v_and_b32_e32 v25, 0x3f00, v16
	v_lshrrev_b32_e32 v22, 16, v14
	v_lshlrev_b16 v16, 8, v16
	v_lshlrev_b16 v27, 8, v14
	;; [unrolled: 1-line block ×3, first 2 shown]
	v_and_b32_e32 v21, 0x3f00, v21
	v_lshlrev_b16 v26, 8, v22
	v_add_nc_u16 v16, 0xe000, v16
	v_and_b32_e32 v22, 0x3f00, v22
	v_add_nc_u16 v24, 0xe000, v24
	v_and_b32_e32 v14, 0x3f00, v14
	v_add_nc_u16 v26, 0xe000, v26
	v_or_b32_sdwa v16, v25, v16 dst_sel:DWORD dst_unused:UNUSED_PAD src0_sel:DWORD src1_sel:BYTE_1
	v_or_b32_sdwa v21, v21, v24 dst_sel:DWORD dst_unused:UNUSED_PAD src0_sel:DWORD src1_sel:BYTE_1
	v_add_nc_u16 v24, 0xe000, v27
	v_or_b32_sdwa v22, v22, v26 dst_sel:DWORD dst_unused:UNUSED_PAD src0_sel:DWORD src1_sel:BYTE_1
	v_add_nc_u16 v16, 0xe000, v16
	v_add_nc_u16 v21, 0xe000, v21
	v_or_b32_sdwa v14, v14, v24 dst_sel:DWORD dst_unused:UNUSED_PAD src0_sel:DWORD src1_sel:BYTE_1
	v_add_nc_u16 v22, 0xe000, v22
	v_mov_b32_e32 v24, 0
	v_lshlrev_b32_e32 v21, 16, v21
	v_add_nc_u16 v14, 0xe000, v14
	v_lshlrev_b32_e32 v22, 16, v22
	v_or_b32_sdwa v16, v16, v21 dst_sel:DWORD dst_unused:UNUSED_PAD src0_sel:WORD_0 src1_sel:DWORD
	v_mov_b32_e32 v21, 0
	v_or_b32_sdwa v14, v14, v22 dst_sel:DWORD dst_unused:UNUSED_PAD src0_sel:WORD_0 src1_sel:DWORD
	s_waitcnt vmcnt(6)
	v_dot4c_i32_i8 v24, v16, v23
	s_waitcnt vmcnt(5)
	v_dot4c_i32_i8 v21, v14, v17
	s_waitcnt vmcnt(4)
	v_mul_lo_u32 v14, v24, v18
	s_waitcnt vmcnt(3)
	v_mul_lo_u32 v16, v21, v19
	v_cvt_f32_i32_e32 v14, v14
	v_cvt_f32_i32_e32 v16, v16
	s_waitcnt vmcnt(2)
	v_fma_mix_f32 v14, v20, v14, 0 op_sel_hi:[1,0,0]
	s_waitcnt vmcnt(1)
	v_fma_mix_f32 v14, v15, v16, v14 op_sel_hi:[1,0,0]
	;; [unrolled: 2-line block ×3, first 2 shown]
	s_andn2_b32 exec_lo, exec_lo, s0
	s_cbranch_execnz .LBB67_3
; %bb.4:
	s_or_b32 exec_lo, exec_lo, s0
.LBB67_5:
	s_or_b32 exec_lo, exec_lo, s6
	v_mbcnt_lo_u32_b32 v2, -1, 0
	v_xor_b32_e32 v3, 16, v2
	v_xor_b32_e32 v4, 8, v2
	v_cmp_gt_i32_e32 vcc_lo, 32, v3
	v_cndmask_b32_e32 v3, v2, v3, vcc_lo
	v_cmp_gt_i32_e32 vcc_lo, 32, v4
	v_lshlrev_b32_e32 v3, 2, v3
	v_cndmask_b32_e32 v4, v2, v4, vcc_lo
	ds_bpermute_b32 v3, v3, v5
	v_lshlrev_b32_e32 v4, 2, v4
	s_waitcnt lgkmcnt(0)
	v_add_f32_e32 v3, v5, v3
	v_xor_b32_e32 v5, 4, v2
	ds_bpermute_b32 v4, v4, v3
	v_cmp_gt_i32_e32 vcc_lo, 32, v5
	v_cndmask_b32_e32 v5, v2, v5, vcc_lo
	v_lshlrev_b32_e32 v5, 2, v5
	s_waitcnt lgkmcnt(0)
	v_add_f32_e32 v3, v3, v4
	ds_bpermute_b32 v4, v5, v3
	v_xor_b32_e32 v5, 2, v2
	v_cmp_gt_i32_e32 vcc_lo, 32, v5
	v_cndmask_b32_e32 v5, v2, v5, vcc_lo
	v_lshlrev_b32_e32 v5, 2, v5
	s_waitcnt lgkmcnt(0)
	v_add_f32_e32 v3, v3, v4
	ds_bpermute_b32 v4, v5, v3
	v_xor_b32_e32 v5, 1, v2
	v_cmp_gt_i32_e32 vcc_lo, 32, v5
	v_cndmask_b32_e32 v5, v2, v5, vcc_lo
	v_cmp_eq_u32_e32 vcc_lo, 0, v0
	s_waitcnt lgkmcnt(0)
	v_add_f32_e32 v2, v3, v4
	v_lshlrev_b32_e32 v3, 2, v5
	ds_bpermute_b32 v3, v3, v2
	s_and_b32 exec_lo, exec_lo, vcc_lo
	s_cbranch_execz .LBB67_7
; %bb.6:
	v_mad_u64_u32 v[0:1], null, s1, s7, v[1:2]
	v_mov_b32_e32 v1, 0
	s_waitcnt lgkmcnt(0)
	v_add_f32_e32 v2, v2, v3
	v_lshlrev_b64 v[0:1], 2, v[0:1]
	v_add_co_u32 v0, vcc_lo, s2, v0
	v_add_co_ci_u32_e64 v1, null, s3, v1, vcc_lo
	global_store_dword v[0:1], v2, off
.LBB67_7:
	s_endpgm
	.section	.rodata,"a",@progbits
	.p2align	6, 0x0
	.amdhsa_kernel _ZL13mul_mat_vec_qIfLi256ELi32E10block_q6_KLi1EXadL_ZL17vec_dot_q6_K_q8_1PKvPK10block_q8_1RKiEEEvS2_S2_PT_iii
		.amdhsa_group_segment_fixed_size 0
		.amdhsa_private_segment_fixed_size 0
		.amdhsa_kernarg_size 296
		.amdhsa_user_sgpr_count 6
		.amdhsa_user_sgpr_private_segment_buffer 1
		.amdhsa_user_sgpr_dispatch_ptr 0
		.amdhsa_user_sgpr_queue_ptr 0
		.amdhsa_user_sgpr_kernarg_segment_ptr 1
		.amdhsa_user_sgpr_dispatch_id 0
		.amdhsa_user_sgpr_flat_scratch_init 0
		.amdhsa_user_sgpr_private_segment_size 0
		.amdhsa_wavefront_size32 1
		.amdhsa_uses_dynamic_stack 0
		.amdhsa_system_sgpr_private_segment_wavefront_offset 0
		.amdhsa_system_sgpr_workgroup_id_x 1
		.amdhsa_system_sgpr_workgroup_id_y 1
		.amdhsa_system_sgpr_workgroup_id_z 0
		.amdhsa_system_sgpr_workgroup_info 0
		.amdhsa_system_vgpr_workitem_id 1
		.amdhsa_next_free_vgpr 28
		.amdhsa_next_free_sgpr 13
		.amdhsa_reserve_vcc 1
		.amdhsa_reserve_flat_scratch 0
		.amdhsa_float_round_mode_32 0
		.amdhsa_float_round_mode_16_64 0
		.amdhsa_float_denorm_mode_32 3
		.amdhsa_float_denorm_mode_16_64 3
		.amdhsa_dx10_clamp 1
		.amdhsa_ieee_mode 1
		.amdhsa_fp16_overflow 0
		.amdhsa_workgroup_processor_mode 1
		.amdhsa_memory_ordered 1
		.amdhsa_forward_progress 1
		.amdhsa_shared_vgpr_count 0
		.amdhsa_exception_fp_ieee_invalid_op 0
		.amdhsa_exception_fp_denorm_src 0
		.amdhsa_exception_fp_ieee_div_zero 0
		.amdhsa_exception_fp_ieee_overflow 0
		.amdhsa_exception_fp_ieee_underflow 0
		.amdhsa_exception_fp_ieee_inexact 0
		.amdhsa_exception_int_div_zero 0
	.end_amdhsa_kernel
	.section	.text._ZL13mul_mat_vec_qIfLi256ELi32E10block_q6_KLi1EXadL_ZL17vec_dot_q6_K_q8_1PKvPK10block_q8_1RKiEEEvS2_S2_PT_iii,"axG",@progbits,_ZL13mul_mat_vec_qIfLi256ELi32E10block_q6_KLi1EXadL_ZL17vec_dot_q6_K_q8_1PKvPK10block_q8_1RKiEEEvS2_S2_PT_iii,comdat
.Lfunc_end67:
	.size	_ZL13mul_mat_vec_qIfLi256ELi32E10block_q6_KLi1EXadL_ZL17vec_dot_q6_K_q8_1PKvPK10block_q8_1RKiEEEvS2_S2_PT_iii, .Lfunc_end67-_ZL13mul_mat_vec_qIfLi256ELi32E10block_q6_KLi1EXadL_ZL17vec_dot_q6_K_q8_1PKvPK10block_q8_1RKiEEEvS2_S2_PT_iii
                                        ; -- End function
	.set _ZL13mul_mat_vec_qIfLi256ELi32E10block_q6_KLi1EXadL_ZL17vec_dot_q6_K_q8_1PKvPK10block_q8_1RKiEEEvS2_S2_PT_iii.num_vgpr, 28
	.set _ZL13mul_mat_vec_qIfLi256ELi32E10block_q6_KLi1EXadL_ZL17vec_dot_q6_K_q8_1PKvPK10block_q8_1RKiEEEvS2_S2_PT_iii.num_agpr, 0
	.set _ZL13mul_mat_vec_qIfLi256ELi32E10block_q6_KLi1EXadL_ZL17vec_dot_q6_K_q8_1PKvPK10block_q8_1RKiEEEvS2_S2_PT_iii.numbered_sgpr, 13
	.set _ZL13mul_mat_vec_qIfLi256ELi32E10block_q6_KLi1EXadL_ZL17vec_dot_q6_K_q8_1PKvPK10block_q8_1RKiEEEvS2_S2_PT_iii.num_named_barrier, 0
	.set _ZL13mul_mat_vec_qIfLi256ELi32E10block_q6_KLi1EXadL_ZL17vec_dot_q6_K_q8_1PKvPK10block_q8_1RKiEEEvS2_S2_PT_iii.private_seg_size, 0
	.set _ZL13mul_mat_vec_qIfLi256ELi32E10block_q6_KLi1EXadL_ZL17vec_dot_q6_K_q8_1PKvPK10block_q8_1RKiEEEvS2_S2_PT_iii.uses_vcc, 1
	.set _ZL13mul_mat_vec_qIfLi256ELi32E10block_q6_KLi1EXadL_ZL17vec_dot_q6_K_q8_1PKvPK10block_q8_1RKiEEEvS2_S2_PT_iii.uses_flat_scratch, 0
	.set _ZL13mul_mat_vec_qIfLi256ELi32E10block_q6_KLi1EXadL_ZL17vec_dot_q6_K_q8_1PKvPK10block_q8_1RKiEEEvS2_S2_PT_iii.has_dyn_sized_stack, 0
	.set _ZL13mul_mat_vec_qIfLi256ELi32E10block_q6_KLi1EXadL_ZL17vec_dot_q6_K_q8_1PKvPK10block_q8_1RKiEEEvS2_S2_PT_iii.has_recursion, 0
	.set _ZL13mul_mat_vec_qIfLi256ELi32E10block_q6_KLi1EXadL_ZL17vec_dot_q6_K_q8_1PKvPK10block_q8_1RKiEEEvS2_S2_PT_iii.has_indirect_call, 0
	.section	.AMDGPU.csdata,"",@progbits
; Kernel info:
; codeLenInByte = 1100
; TotalNumSgprs: 15
; NumVgprs: 28
; ScratchSize: 0
; MemoryBound: 0
; FloatMode: 240
; IeeeMode: 1
; LDSByteSize: 0 bytes/workgroup (compile time only)
; SGPRBlocks: 0
; VGPRBlocks: 3
; NumSGPRsForWavesPerEU: 15
; NumVGPRsForWavesPerEU: 28
; Occupancy: 16
; WaveLimiterHint : 0
; COMPUTE_PGM_RSRC2:SCRATCH_EN: 0
; COMPUTE_PGM_RSRC2:USER_SGPR: 6
; COMPUTE_PGM_RSRC2:TRAP_HANDLER: 0
; COMPUTE_PGM_RSRC2:TGID_X_EN: 1
; COMPUTE_PGM_RSRC2:TGID_Y_EN: 1
; COMPUTE_PGM_RSRC2:TGID_Z_EN: 0
; COMPUTE_PGM_RSRC2:TIDIG_COMP_CNT: 1
	.section	.text._ZL13mul_mat_vec_qIfLi256ELi8E13block_iq2_xxsLi1EXadL_ZL20vec_dot_iq2_xxs_q8_1PKvPK10block_q8_1RKiEEEvS2_S2_PT_iii,"axG",@progbits,_ZL13mul_mat_vec_qIfLi256ELi8E13block_iq2_xxsLi1EXadL_ZL20vec_dot_iq2_xxs_q8_1PKvPK10block_q8_1RKiEEEvS2_S2_PT_iii,comdat
	.globl	_ZL13mul_mat_vec_qIfLi256ELi8E13block_iq2_xxsLi1EXadL_ZL20vec_dot_iq2_xxs_q8_1PKvPK10block_q8_1RKiEEEvS2_S2_PT_iii ; -- Begin function _ZL13mul_mat_vec_qIfLi256ELi8E13block_iq2_xxsLi1EXadL_ZL20vec_dot_iq2_xxs_q8_1PKvPK10block_q8_1RKiEEEvS2_S2_PT_iii
	.p2align	8
	.type	_ZL13mul_mat_vec_qIfLi256ELi8E13block_iq2_xxsLi1EXadL_ZL20vec_dot_iq2_xxs_q8_1PKvPK10block_q8_1RKiEEEvS2_S2_PT_iii,@function
_ZL13mul_mat_vec_qIfLi256ELi8E13block_iq2_xxsLi1EXadL_ZL20vec_dot_iq2_xxs_q8_1PKvPK10block_q8_1RKiEEEvS2_S2_PT_iii: ; @_ZL13mul_mat_vec_qIfLi256ELi8E13block_iq2_xxsLi1EXadL_ZL20vec_dot_iq2_xxs_q8_1PKvPK10block_q8_1RKiEEEvS2_S2_PT_iii
; %bb.0:
	s_clause 0x1
	s_load_dword s0, s[4:5], 0x34
	s_load_dwordx4 s[8:11], s[4:5], 0x18
	s_waitcnt lgkmcnt(0)
	s_lshr_b32 s0, s0, 16
	s_cmp_lt_u32 s7, s10
	v_mad_u64_u32 v[1:2], null, s6, s0, v[1:2]
	s_cselect_b32 s0, -1, 0
	v_cmp_gt_u32_e32 vcc_lo, s9, v1
	s_and_b32 s0, s0, vcc_lo
	s_and_saveexec_b32 s1, s0
	s_cbranch_execz .LBB68_7
; %bb.1:
	s_load_dwordx2 s[10:11], s[4:5], 0x10
	s_ashr_i32 s0, s8, 31
	v_lshrrev_b32_e32 v4, 3, v0
	s_lshr_b32 s0, s0, 24
	v_mov_b32_e32 v5, 0
	s_add_i32 s0, s8, s0
	s_mov_b32 s16, exec_lo
	s_ashr_i32 s17, s0, 8
	v_cmpx_gt_u32_e64 s17, v4
	s_cbranch_execz .LBB68_5
; %bb.2:
	s_load_dwordx4 s[12:15], s[4:5], 0x0
	s_add_i32 s0, s8, 0x1ff
	v_and_b32_e32 v2, 7, v0
	s_ashr_i32 s1, s0, 31
	v_lshlrev_b32_e32 v7, 3, v4
	s_lshr_b32 s1, s1, 23
	v_mul_lo_u32 v6, v1, s17
	s_add_i32 s0, s0, s1
	v_lshlrev_b32_e32 v8, 2, v2
	s_ashr_i32 s0, s0, 9
	v_mov_b32_e32 v5, 0
	s_mul_i32 s0, s7, s0
	v_mov_b32_e32 v9, 3
	v_lshl_add_u32 v7, s0, 4, v7
	v_lshlrev_b32_e32 v8, 1, v8
	s_waitcnt lgkmcnt(0)
	v_mad_u64_u32 v[2:3], null, v2, 36, s[14:15]
	s_mov_b32 s14, 0
.LBB68_3:                               ; =>This Inner Loop Header: Depth=1
	v_add_nc_u32_e32 v10, v6, v4
	v_mad_i64_i32 v[20:21], null, v7, 36, v[2:3]
	s_getpc_b64 s[0:1]
	s_add_u32 s0, s0, _ZL11iq2xxs_grid@rel32@lo+4
	s_addc_u32 s1, s1, _ZL11iq2xxs_grid@rel32@hi+12
	s_getpc_b64 s[2:3]
	s_add_u32 s2, s2, _ZL12ksigns_iq2xs@rel32@lo+4
	s_addc_u32 s3, s3, _ZL12ksigns_iq2xs@rel32@hi+12
	v_mad_i64_i32 v[18:19], null, 0x42, v10, s[12:13]
	v_add_nc_u32_e32 v4, 4, v4
	v_add_nc_u32_e32 v7, 32, v7
	v_add_co_u32 v10, vcc_lo, v18, v8
	v_add_co_ci_u32_e64 v11, null, 0, v19, vcc_lo
	s_clause 0x1
	global_load_dword v22, v[10:11], off offset:2
	global_load_dword v28, v[10:11], off offset:6
	s_clause 0x1
	global_load_dwordx4 v[10:13], v[20:21], off offset:4
	global_load_dwordx4 v[14:17], v[20:21], off offset:20
	global_load_ushort v29, v[18:19], off
	s_waitcnt vmcnt(4)
	v_lshlrev_b32_sdwa v18, v9, v22 dst_sel:DWORD dst_unused:UNUSED_PAD src0_sel:DWORD src1_sel:BYTE_0
	s_waitcnt vmcnt(3)
	v_and_b32_e32 v30, 0x7f, v28
	v_bfe_u32 v31, v28, 7, 7
	v_lshlrev_b32_sdwa v23, v9, v22 dst_sel:DWORD dst_unused:UNUSED_PAD src0_sel:DWORD src1_sel:BYTE_1
	v_lshlrev_b32_sdwa v24, v9, v22 dst_sel:DWORD dst_unused:UNUSED_PAD src0_sel:DWORD src1_sel:BYTE_2
	v_bfe_u32 v32, v28, 14, 7
	v_lshlrev_b32_sdwa v26, v9, v22 dst_sel:DWORD dst_unused:UNUSED_PAD src0_sel:DWORD src1_sel:BYTE_3
	v_bfe_u32 v33, v28, 21, 7
	global_load_sbyte v34, v30, s[2:3]
	global_load_dwordx2 v[18:19], v18, s[0:1]
	global_load_sbyte v35, v31, s[2:3]
	global_load_dwordx2 v[22:23], v23, s[0:1]
	;; [unrolled: 2-line block ×4, first 2 shown]
	global_load_ushort v20, v[20:21], off
	v_lshrrev_b32_e32 v21, 28, v28
	s_waitcnt vmcnt(9)
	v_cvt_f32_f16_e32 v28, v29
	v_cvt_f32_ubyte0_e32 v21, v21
	v_add_f32_e32 v21, 0.5, v21
	v_mul_f32_e32 v21, v21, v28
	s_waitcnt vmcnt(8)
	v_and_b32_e32 v29, 1, v34
	s_waitcnt vmcnt(7)
	v_mul_i32_i24_sdwa v28, v18, sext(v10) dst_sel:DWORD dst_unused:UNUSED_PAD src0_sel:BYTE_0 src1_sel:BYTE_0
	v_mul_i32_i24_sdwa v38, v18, sext(v10) dst_sel:DWORD dst_unused:UNUSED_PAD src0_sel:BYTE_1 src1_sel:BYTE_1
	v_and_b32_e32 v39, 2, v34
	v_mul_i32_i24_sdwa v40, v18, sext(v10) dst_sel:DWORD dst_unused:UNUSED_PAD src0_sel:BYTE_2 src1_sel:BYTE_2
	v_and_b32_e32 v41, 4, v34
	v_mul_i32_i24_sdwa v10, v18, sext(v10) dst_sel:DWORD dst_unused:UNUSED_PAD src0_sel:BYTE_3 src1_sel:BYTE_3
	v_and_b32_e32 v18, 8, v34
	v_sub_nc_u32_e32 v61, 0, v28
	v_cmp_eq_u16_e32 vcc_lo, 0, v29
	v_sub_nc_u32_e32 v29, 0, v38
	v_cmp_eq_u16_e64 s0, 0, v39
	v_sub_nc_u32_e32 v39, 0, v40
	v_cmp_eq_u16_e64 s1, 0, v41
	;; [unrolled: 2-line block ×3, first 2 shown]
	v_cndmask_b32_e32 v28, v61, v28, vcc_lo
	v_cndmask_b32_e64 v29, v29, v38, s0
	v_mul_i32_i24_sdwa v42, v19, sext(v11) dst_sel:DWORD dst_unused:UNUSED_PAD src0_sel:BYTE_0 src1_sel:BYTE_0
	v_and_b32_e32 v43, 16, v34
	v_mul_i32_i24_sdwa v44, v19, sext(v11) dst_sel:DWORD dst_unused:UNUSED_PAD src0_sel:BYTE_1 src1_sel:BYTE_1
	v_mul_i32_i24_sdwa v45, v19, sext(v11) dst_sel:DWORD dst_unused:UNUSED_PAD src0_sel:BYTE_2 src1_sel:BYTE_2
	v_mul_i32_i24_sdwa v11, v19, sext(v11) dst_sel:DWORD dst_unused:UNUSED_PAD src0_sel:BYTE_3 src1_sel:BYTE_3
	s_waitcnt vmcnt(5)
	v_mul_i32_i24_sdwa v19, v22, sext(v12) dst_sel:DWORD dst_unused:UNUSED_PAD src0_sel:BYTE_0 src1_sel:BYTE_0
	v_mul_i32_i24_sdwa v46, v22, sext(v12) dst_sel:DWORD dst_unused:UNUSED_PAD src0_sel:BYTE_1 src1_sel:BYTE_1
	v_mul_i32_i24_sdwa v47, v22, sext(v12) dst_sel:DWORD dst_unused:UNUSED_PAD src0_sel:BYTE_2 src1_sel:BYTE_2
	v_mul_i32_i24_sdwa v12, v22, sext(v12) dst_sel:DWORD dst_unused:UNUSED_PAD src0_sel:BYTE_3 src1_sel:BYTE_3
	v_mul_i32_i24_sdwa v22, v23, sext(v13) dst_sel:DWORD dst_unused:UNUSED_PAD src0_sel:BYTE_0 src1_sel:BYTE_0
	v_mul_i32_i24_sdwa v48, v23, sext(v13) dst_sel:DWORD dst_unused:UNUSED_PAD src0_sel:BYTE_1 src1_sel:BYTE_1
	v_mul_i32_i24_sdwa v49, v23, sext(v13) dst_sel:DWORD dst_unused:UNUSED_PAD src0_sel:BYTE_2 src1_sel:BYTE_2
	v_mul_i32_i24_sdwa v13, v23, sext(v13) dst_sel:DWORD dst_unused:UNUSED_PAD src0_sel:BYTE_3 src1_sel:BYTE_3
	s_waitcnt vmcnt(3)
	v_mul_i32_i24_sdwa v23, v24, sext(v14) dst_sel:DWORD dst_unused:UNUSED_PAD src0_sel:BYTE_0 src1_sel:BYTE_0
	v_mul_i32_i24_sdwa v50, v24, sext(v14) dst_sel:DWORD dst_unused:UNUSED_PAD src0_sel:BYTE_1 src1_sel:BYTE_1
	v_mul_i32_i24_sdwa v51, v24, sext(v14) dst_sel:DWORD dst_unused:UNUSED_PAD src0_sel:BYTE_2 src1_sel:BYTE_2
	v_mul_i32_i24_sdwa v14, v24, sext(v14) dst_sel:DWORD dst_unused:UNUSED_PAD src0_sel:BYTE_3 src1_sel:BYTE_3
	v_mul_i32_i24_sdwa v24, v25, sext(v15) dst_sel:DWORD dst_unused:UNUSED_PAD src0_sel:BYTE_0 src1_sel:BYTE_0
	;; [unrolled: 9-line block ×3, first 2 shown]
	v_mul_i32_i24_sdwa v56, v27, sext(v17) dst_sel:DWORD dst_unused:UNUSED_PAD src0_sel:BYTE_1 src1_sel:BYTE_1
	v_mul_i32_i24_sdwa v57, v27, sext(v17) dst_sel:DWORD dst_unused:UNUSED_PAD src0_sel:BYTE_2 src1_sel:BYTE_2
	v_mul_i32_i24_sdwa v17, v27, sext(v17) dst_sel:DWORD dst_unused:UNUSED_PAD src0_sel:BYTE_3 src1_sel:BYTE_3
	v_and_b32_e32 v27, 32, v34
	v_cndmask_b32_e64 v39, v39, v40, s1
	v_cndmask_b32_e64 v10, v41, v10, s2
	v_add_nc_u32_e32 v28, v29, v28
	v_cmp_eq_u16_e32 vcc_lo, 0, v43
	v_sub_nc_u32_e32 v43, 0, v44
	v_cmp_eq_u16_e64 s0, 0, v27
	v_and_b32_e32 v58, 1, v35
	v_add3_u32 v10, v28, v39, v10
	v_sub_nc_u32_e32 v39, 0, v42
	v_and_b32_e32 v59, 2, v35
	v_cndmask_b32_e64 v43, v43, v44, s0
	v_cmp_gt_i16_e64 s0, 0, v34
	v_and_b32_e32 v60, 4, v35
	v_cndmask_b32_e32 v39, v39, v42, vcc_lo
	v_cmp_gt_u32_e32 vcc_lo, 64, v30
	v_sub_nc_u32_e32 v30, 0, v11
	v_and_b32_e32 v18, 8, v35
	v_and_b32_e32 v61, 16, v35
	v_add3_u32 v10, v10, v39, v43
	v_sub_nc_u32_e32 v43, 0, v45
	v_cndmask_b32_e64 v11, v11, v30, s0
	v_cmp_eq_u16_e64 s0, 0, v59
	v_and_b32_e32 v38, 32, v35
	v_and_b32_e32 v41, 2, v36
	v_cndmask_b32_e32 v43, v43, v45, vcc_lo
	v_cmp_eq_u16_e32 vcc_lo, 0, v58
	v_sub_nc_u32_e32 v58, 0, v46
	v_sub_nc_u32_e32 v59, 0, v47
	v_cmp_eq_u16_e64 s1, 0, v60
	v_add3_u32 v10, v10, v43, v11
	v_sub_nc_u32_e32 v43, 0, v19
	v_sub_nc_u32_e32 v60, 0, v12
	v_cmp_eq_u16_e64 s2, 0, v18
	v_cndmask_b32_e64 v46, v58, v46, s0
	v_sub_nc_u32_e32 v18, 0, v48
	v_cndmask_b32_e32 v19, v43, v19, vcc_lo
	v_cmp_eq_u16_e64 s3, 0, v38
	v_cmp_eq_u16_e64 s5, 0, v41
	v_sub_nc_u32_e32 v41, 0, v22
	v_cndmask_b32_e64 v47, v59, v47, s1
	v_add3_u32 v10, v10, v19, v46
	v_cndmask_b32_e64 v12, v60, v12, s2
	v_cmp_eq_u16_e64 s1, 0, v61
	v_and_b32_e32 v40, 1, v36
	v_sub_nc_u32_e32 v38, 0, v13
	v_cmp_gt_i16_e64 s4, 0, v35
	v_sub_nc_u32_e32 v43, 0, v49
	v_cndmask_b32_e64 v22, v41, v22, s1
	v_cndmask_b32_e64 v18, v18, v48, s3
	v_add3_u32 v10, v10, v47, v12
	v_cmp_gt_u32_e64 s1, 64, v31
	v_and_b32_e32 v29, 4, v36
	v_and_b32_e32 v28, 8, v36
	v_sub_nc_u32_e32 v35, 0, v50
	v_sub_nc_u32_e32 v58, 0, v23
	v_cndmask_b32_e64 v31, v43, v49, s1
	v_cndmask_b32_e64 v13, v13, v38, s4
	v_add3_u32 v10, v10, v22, v18
	v_cmp_eq_u16_e64 s1, 0, v40
	v_and_b32_e32 v27, 16, v36
	v_and_b32_e32 v42, 32, v36
	;; [unrolled: 1-line block ×3, first 2 shown]
	v_sub_nc_u32_e32 v19, 0, v51
	v_sub_nc_u32_e32 v46, 0, v14
	v_cmp_eq_u16_e32 vcc_lo, 0, v28
	v_cndmask_b32_e64 v22, v58, v23, s1
	v_cndmask_b32_e64 v23, v35, v50, s5
	v_add3_u32 v10, v10, v31, v13
	v_cmp_eq_u16_e64 s2, 0, v29
	v_sub_nc_u32_e32 v28, 0, v52
	v_cmp_eq_u16_e64 s0, 0, v42
	v_cmp_eq_u16_e64 s8, 0, v39
	v_sub_nc_u32_e32 v39, 0, v24
	v_cndmask_b32_e64 v13, v19, v51, s2
	v_cndmask_b32_e32 v14, v46, v14, vcc_lo
	v_add3_u32 v10, v10, v22, v23
	v_cmp_eq_u16_e32 vcc_lo, 0, v27
	v_and_b32_e32 v44, 1, v37
	v_sub_nc_u32_e32 v42, 0, v15
	v_cmp_gt_i16_e64 s6, 0, v36
	v_sub_nc_u32_e32 v59, 0, v53
	v_cndmask_b32_e32 v22, v39, v24, vcc_lo
	v_cndmask_b32_e64 v23, v28, v52, s0
	v_add3_u32 v10, v10, v13, v14
	v_cmp_gt_u32_e32 vcc_lo, 64, v32
	v_and_b32_e32 v34, 4, v37
	v_and_b32_e32 v45, 8, v37
	;; [unrolled: 1-line block ×3, first 2 shown]
	v_sub_nc_u32_e32 v36, 0, v54
	v_sub_nc_u32_e32 v60, 0, v25
	v_cndmask_b32_e32 v14, v59, v53, vcc_lo
	v_cndmask_b32_e64 v15, v15, v42, s6
	v_add3_u32 v10, v10, v22, v23
	v_cmp_eq_u16_e64 s0, 0, v44
	v_and_b32_e32 v30, 16, v37
	v_sub_nc_u32_e32 v12, 0, v55
	v_sub_nc_u32_e32 v18, 0, v16
	v_cmp_eq_u16_e64 s1, 0, v45
	v_cmp_eq_u16_e32 vcc_lo, 0, v11
	v_cndmask_b32_e64 v11, v60, v25, s0
	v_cndmask_b32_e64 v22, v36, v54, s8
	v_add3_u32 v10, v10, v14, v15
	v_cmp_eq_u16_e64 s0, 0, v34
	v_sub_nc_u32_e32 v19, 0, v26
	v_sub_nc_u32_e32 v13, 0, v56
	v_cndmask_b32_e64 v15, v18, v16, s1
	v_add3_u32 v10, v10, v11, v22
	v_cndmask_b32_e64 v12, v12, v55, s0
	v_cmp_eq_u16_e64 s0, 0, v30
	v_sub_nc_u32_e32 v14, 0, v57
	v_sub_nc_u32_e32 v11, 0, v17
	v_cndmask_b32_e32 v13, v13, v56, vcc_lo
	v_add3_u32 v10, v10, v12, v15
	v_cndmask_b32_e64 v16, v19, v26, s0
	v_cmp_gt_i16_e32 vcc_lo, 0, v37
	v_cmp_gt_u32_e64 s0, 64, v33
	s_waitcnt vmcnt(0)
	v_cvt_f32_f16_e32 v20, v20
	v_add3_u32 v10, v10, v16, v13
	v_cndmask_b32_e32 v11, v17, v11, vcc_lo
	v_cndmask_b32_e64 v12, v14, v57, s0
	v_mul_f32_e32 v13, v21, v20
	v_cmp_le_u32_e32 vcc_lo, s17, v4
	v_add3_u32 v10, v10, v12, v11
	v_mul_f32_e32 v11, 0x3e800000, v13
	s_or_b32 s14, vcc_lo, s14
	v_cvt_f32_i32_e32 v10, v10
	v_fmac_f32_e32 v5, v11, v10
	s_andn2_b32 exec_lo, exec_lo, s14
	s_cbranch_execnz .LBB68_3
; %bb.4:
	s_or_b32 exec_lo, exec_lo, s14
.LBB68_5:
	s_or_b32 exec_lo, exec_lo, s16
	v_mbcnt_lo_u32_b32 v2, -1, 0
	v_xor_b32_e32 v3, 16, v2
	v_xor_b32_e32 v4, 8, v2
	v_cmp_gt_i32_e32 vcc_lo, 32, v3
	v_cndmask_b32_e32 v3, v2, v3, vcc_lo
	v_cmp_gt_i32_e32 vcc_lo, 32, v4
	v_lshlrev_b32_e32 v3, 2, v3
	v_cndmask_b32_e32 v4, v2, v4, vcc_lo
	ds_bpermute_b32 v3, v3, v5
	v_lshlrev_b32_e32 v4, 2, v4
	s_waitcnt lgkmcnt(0)
	v_add_f32_e32 v3, v5, v3
	v_xor_b32_e32 v5, 4, v2
	ds_bpermute_b32 v4, v4, v3
	v_cmp_gt_i32_e32 vcc_lo, 32, v5
	v_cndmask_b32_e32 v5, v2, v5, vcc_lo
	v_lshlrev_b32_e32 v5, 2, v5
	s_waitcnt lgkmcnt(0)
	v_add_f32_e32 v3, v3, v4
	ds_bpermute_b32 v4, v5, v3
	v_xor_b32_e32 v5, 2, v2
	v_cmp_gt_i32_e32 vcc_lo, 32, v5
	v_cndmask_b32_e32 v5, v2, v5, vcc_lo
	v_lshlrev_b32_e32 v5, 2, v5
	s_waitcnt lgkmcnt(0)
	v_add_f32_e32 v3, v3, v4
	ds_bpermute_b32 v4, v5, v3
	v_xor_b32_e32 v5, 1, v2
	v_cmp_gt_i32_e32 vcc_lo, 32, v5
	v_cndmask_b32_e32 v5, v2, v5, vcc_lo
	v_cmp_eq_u32_e32 vcc_lo, 0, v0
	s_waitcnt lgkmcnt(0)
	v_add_f32_e32 v2, v3, v4
	v_lshlrev_b32_e32 v3, 2, v5
	ds_bpermute_b32 v3, v3, v2
	s_and_b32 exec_lo, exec_lo, vcc_lo
	s_cbranch_execz .LBB68_7
; %bb.6:
	v_mad_u64_u32 v[0:1], null, s9, s7, v[1:2]
	v_mov_b32_e32 v1, 0
	s_waitcnt lgkmcnt(0)
	v_add_f32_e32 v2, v2, v3
	v_lshlrev_b64 v[0:1], 2, v[0:1]
	v_add_co_u32 v0, vcc_lo, s10, v0
	v_add_co_ci_u32_e64 v1, null, s11, v1, vcc_lo
	global_store_dword v[0:1], v2, off
.LBB68_7:
	s_endpgm
	.section	.rodata,"a",@progbits
	.p2align	6, 0x0
	.amdhsa_kernel _ZL13mul_mat_vec_qIfLi256ELi8E13block_iq2_xxsLi1EXadL_ZL20vec_dot_iq2_xxs_q8_1PKvPK10block_q8_1RKiEEEvS2_S2_PT_iii
		.amdhsa_group_segment_fixed_size 0
		.amdhsa_private_segment_fixed_size 0
		.amdhsa_kernarg_size 296
		.amdhsa_user_sgpr_count 6
		.amdhsa_user_sgpr_private_segment_buffer 1
		.amdhsa_user_sgpr_dispatch_ptr 0
		.amdhsa_user_sgpr_queue_ptr 0
		.amdhsa_user_sgpr_kernarg_segment_ptr 1
		.amdhsa_user_sgpr_dispatch_id 0
		.amdhsa_user_sgpr_flat_scratch_init 0
		.amdhsa_user_sgpr_private_segment_size 0
		.amdhsa_wavefront_size32 1
		.amdhsa_uses_dynamic_stack 0
		.amdhsa_system_sgpr_private_segment_wavefront_offset 0
		.amdhsa_system_sgpr_workgroup_id_x 1
		.amdhsa_system_sgpr_workgroup_id_y 1
		.amdhsa_system_sgpr_workgroup_id_z 0
		.amdhsa_system_sgpr_workgroup_info 0
		.amdhsa_system_vgpr_workitem_id 1
		.amdhsa_next_free_vgpr 62
		.amdhsa_next_free_sgpr 18
		.amdhsa_reserve_vcc 1
		.amdhsa_reserve_flat_scratch 0
		.amdhsa_float_round_mode_32 0
		.amdhsa_float_round_mode_16_64 0
		.amdhsa_float_denorm_mode_32 3
		.amdhsa_float_denorm_mode_16_64 3
		.amdhsa_dx10_clamp 1
		.amdhsa_ieee_mode 1
		.amdhsa_fp16_overflow 0
		.amdhsa_workgroup_processor_mode 1
		.amdhsa_memory_ordered 1
		.amdhsa_forward_progress 1
		.amdhsa_shared_vgpr_count 0
		.amdhsa_exception_fp_ieee_invalid_op 0
		.amdhsa_exception_fp_denorm_src 0
		.amdhsa_exception_fp_ieee_div_zero 0
		.amdhsa_exception_fp_ieee_overflow 0
		.amdhsa_exception_fp_ieee_underflow 0
		.amdhsa_exception_fp_ieee_inexact 0
		.amdhsa_exception_int_div_zero 0
	.end_amdhsa_kernel
	.section	.text._ZL13mul_mat_vec_qIfLi256ELi8E13block_iq2_xxsLi1EXadL_ZL20vec_dot_iq2_xxs_q8_1PKvPK10block_q8_1RKiEEEvS2_S2_PT_iii,"axG",@progbits,_ZL13mul_mat_vec_qIfLi256ELi8E13block_iq2_xxsLi1EXadL_ZL20vec_dot_iq2_xxs_q8_1PKvPK10block_q8_1RKiEEEvS2_S2_PT_iii,comdat
.Lfunc_end68:
	.size	_ZL13mul_mat_vec_qIfLi256ELi8E13block_iq2_xxsLi1EXadL_ZL20vec_dot_iq2_xxs_q8_1PKvPK10block_q8_1RKiEEEvS2_S2_PT_iii, .Lfunc_end68-_ZL13mul_mat_vec_qIfLi256ELi8E13block_iq2_xxsLi1EXadL_ZL20vec_dot_iq2_xxs_q8_1PKvPK10block_q8_1RKiEEEvS2_S2_PT_iii
                                        ; -- End function
	.set _ZL13mul_mat_vec_qIfLi256ELi8E13block_iq2_xxsLi1EXadL_ZL20vec_dot_iq2_xxs_q8_1PKvPK10block_q8_1RKiEEEvS2_S2_PT_iii.num_vgpr, 62
	.set _ZL13mul_mat_vec_qIfLi256ELi8E13block_iq2_xxsLi1EXadL_ZL20vec_dot_iq2_xxs_q8_1PKvPK10block_q8_1RKiEEEvS2_S2_PT_iii.num_agpr, 0
	.set _ZL13mul_mat_vec_qIfLi256ELi8E13block_iq2_xxsLi1EXadL_ZL20vec_dot_iq2_xxs_q8_1PKvPK10block_q8_1RKiEEEvS2_S2_PT_iii.numbered_sgpr, 18
	.set _ZL13mul_mat_vec_qIfLi256ELi8E13block_iq2_xxsLi1EXadL_ZL20vec_dot_iq2_xxs_q8_1PKvPK10block_q8_1RKiEEEvS2_S2_PT_iii.num_named_barrier, 0
	.set _ZL13mul_mat_vec_qIfLi256ELi8E13block_iq2_xxsLi1EXadL_ZL20vec_dot_iq2_xxs_q8_1PKvPK10block_q8_1RKiEEEvS2_S2_PT_iii.private_seg_size, 0
	.set _ZL13mul_mat_vec_qIfLi256ELi8E13block_iq2_xxsLi1EXadL_ZL20vec_dot_iq2_xxs_q8_1PKvPK10block_q8_1RKiEEEvS2_S2_PT_iii.uses_vcc, 1
	.set _ZL13mul_mat_vec_qIfLi256ELi8E13block_iq2_xxsLi1EXadL_ZL20vec_dot_iq2_xxs_q8_1PKvPK10block_q8_1RKiEEEvS2_S2_PT_iii.uses_flat_scratch, 0
	.set _ZL13mul_mat_vec_qIfLi256ELi8E13block_iq2_xxsLi1EXadL_ZL20vec_dot_iq2_xxs_q8_1PKvPK10block_q8_1RKiEEEvS2_S2_PT_iii.has_dyn_sized_stack, 0
	.set _ZL13mul_mat_vec_qIfLi256ELi8E13block_iq2_xxsLi1EXadL_ZL20vec_dot_iq2_xxs_q8_1PKvPK10block_q8_1RKiEEEvS2_S2_PT_iii.has_recursion, 0
	.set _ZL13mul_mat_vec_qIfLi256ELi8E13block_iq2_xxsLi1EXadL_ZL20vec_dot_iq2_xxs_q8_1PKvPK10block_q8_1RKiEEEvS2_S2_PT_iii.has_indirect_call, 0
	.section	.AMDGPU.csdata,"",@progbits
; Kernel info:
; codeLenInByte = 1848
; TotalNumSgprs: 20
; NumVgprs: 62
; ScratchSize: 0
; MemoryBound: 0
; FloatMode: 240
; IeeeMode: 1
; LDSByteSize: 0 bytes/workgroup (compile time only)
; SGPRBlocks: 0
; VGPRBlocks: 7
; NumSGPRsForWavesPerEU: 20
; NumVGPRsForWavesPerEU: 62
; Occupancy: 16
; WaveLimiterHint : 0
; COMPUTE_PGM_RSRC2:SCRATCH_EN: 0
; COMPUTE_PGM_RSRC2:USER_SGPR: 6
; COMPUTE_PGM_RSRC2:TRAP_HANDLER: 0
; COMPUTE_PGM_RSRC2:TGID_X_EN: 1
; COMPUTE_PGM_RSRC2:TGID_Y_EN: 1
; COMPUTE_PGM_RSRC2:TGID_Z_EN: 0
; COMPUTE_PGM_RSRC2:TIDIG_COMP_CNT: 1
	.section	.text._ZL13mul_mat_vec_qIfLi256ELi8E12block_iq2_xsLi1EXadL_ZL19vec_dot_iq2_xs_q8_1PKvPK10block_q8_1RKiEEEvS2_S2_PT_iii,"axG",@progbits,_ZL13mul_mat_vec_qIfLi256ELi8E12block_iq2_xsLi1EXadL_ZL19vec_dot_iq2_xs_q8_1PKvPK10block_q8_1RKiEEEvS2_S2_PT_iii,comdat
	.globl	_ZL13mul_mat_vec_qIfLi256ELi8E12block_iq2_xsLi1EXadL_ZL19vec_dot_iq2_xs_q8_1PKvPK10block_q8_1RKiEEEvS2_S2_PT_iii ; -- Begin function _ZL13mul_mat_vec_qIfLi256ELi8E12block_iq2_xsLi1EXadL_ZL19vec_dot_iq2_xs_q8_1PKvPK10block_q8_1RKiEEEvS2_S2_PT_iii
	.p2align	8
	.type	_ZL13mul_mat_vec_qIfLi256ELi8E12block_iq2_xsLi1EXadL_ZL19vec_dot_iq2_xs_q8_1PKvPK10block_q8_1RKiEEEvS2_S2_PT_iii,@function
_ZL13mul_mat_vec_qIfLi256ELi8E12block_iq2_xsLi1EXadL_ZL19vec_dot_iq2_xs_q8_1PKvPK10block_q8_1RKiEEEvS2_S2_PT_iii: ; @_ZL13mul_mat_vec_qIfLi256ELi8E12block_iq2_xsLi1EXadL_ZL19vec_dot_iq2_xs_q8_1PKvPK10block_q8_1RKiEEEvS2_S2_PT_iii
; %bb.0:
	s_clause 0x1
	s_load_dword s8, s[4:5], 0x34
	s_load_dwordx4 s[0:3], s[4:5], 0x18
	s_waitcnt lgkmcnt(0)
	s_lshr_b32 s3, s8, 16
	s_cmp_lt_u32 s7, s2
	v_mad_u64_u32 v[1:2], null, s6, s3, v[1:2]
	s_cselect_b32 s2, -1, 0
	v_cmp_gt_u32_e32 vcc_lo, s1, v1
	s_and_b32 s2, s2, vcc_lo
	s_and_saveexec_b32 s3, s2
	s_cbranch_execz .LBB69_7
; %bb.1:
	s_load_dwordx2 s[2:3], s[4:5], 0x10
	s_ashr_i32 s6, s0, 31
	v_lshrrev_b32_e32 v10, 3, v0
	s_lshr_b32 s6, s6, 24
	v_mov_b32_e32 v11, 0
	s_add_i32 s6, s0, s6
	s_ashr_i32 s12, s6, 8
	s_mov_b32 s6, exec_lo
	v_cmpx_gt_u32_e64 s12, v10
	s_cbranch_execz .LBB69_5
; %bb.2:
	s_load_dwordx4 s[8:11], s[4:5], 0x0
	s_addk_i32 s0, 0x1ff
	v_and_b32_e32 v12, 7, v0
	s_ashr_i32 s4, s0, 31
	v_lshlrev_b32_e32 v4, 3, v10
	s_lshr_b32 s4, s4, 23
	v_mul_lo_u32 v13, v1, s12
	s_add_i32 s0, s0, s4
	v_lshlrev_b32_e32 v5, 2, v12
	s_ashr_i32 s0, s0, 9
	v_mov_b32_e32 v14, 0
	s_mul_i32 s0, s7, s0
	v_mov_b32_e32 v11, 0
	v_lshl_add_u32 v15, s0, 4, v4
	v_lshlrev_b32_e32 v16, 1, v5
	s_mov_b32 s0, 0
	s_getpc_b64 s[4:5]
	s_add_u32 s4, s4, _ZL10iq2xs_grid@rel32@lo+4
	s_addc_u32 s5, s5, _ZL10iq2xs_grid@rel32@hi+12
	s_waitcnt lgkmcnt(0)
	v_mad_u64_u32 v[2:3], null, v12, 36, s[10:11]
.LBB69_3:                               ; =>This Inner Loop Header: Depth=1
	v_add_nc_u32_e32 v4, v13, v10
	s_getpc_b64 s[10:11]
	s_add_u32 s10, s10, _ZL12ksigns_iq2xs@rel32@lo+4
	s_addc_u32 s11, s11, _ZL12ksigns_iq2xs@rel32@hi+12
	v_add_nc_u32_e32 v10, 4, v10
	v_mad_i64_i32 v[6:7], null, 0x4a, v4, s[8:9]
	v_mad_i64_i32 v[4:5], null, v15, 36, v[2:3]
	v_add_nc_u32_e32 v15, 32, v15
	v_add_co_u32 v8, vcc_lo, v6, v16
	v_add_co_ci_u32_e64 v9, null, 0, v7, vcc_lo
	v_add_co_u32 v17, vcc_lo, v6, v12
	v_add_co_ci_u32_e64 v18, null, 0, v7, vcc_lo
	s_clause 0x1
	global_load_ubyte v17, v[17:18], off offset:66
	global_load_dwordx2 v[8:9], v[8:9], off offset:2
	s_waitcnt vmcnt(0)
	v_and_b32_e32 v18, 0x1ff, v8
	v_lshlrev_b32_e32 v22, 3, v18
	v_bfe_u32 v18, v8, 9, 7
	global_load_sbyte v24, v18, s[10:11]
	global_load_dwordx4 v[18:21], v[4:5], off offset:4
	global_load_dwordx2 v[22:23], v22, s[4:5]
	s_waitcnt vmcnt(2)
	v_and_b32_e32 v26, 1, v24
	v_and_b32_e32 v27, 2, v24
	s_waitcnt vmcnt(0)
	v_mul_i32_i24_sdwa v25, v22, sext(v18) dst_sel:DWORD dst_unused:UNUSED_PAD src0_sel:BYTE_0 src1_sel:BYTE_0
	v_cmp_eq_u16_e32 vcc_lo, 0, v26
	v_sub_nc_u32_e32 v26, 0, v25
	v_cndmask_b32_e32 v25, v26, v25, vcc_lo
	v_mul_i32_i24_sdwa v26, v22, sext(v18) dst_sel:DWORD dst_unused:UNUSED_PAD src0_sel:BYTE_1 src1_sel:BYTE_1
	v_cmp_eq_u16_e32 vcc_lo, 0, v27
	v_sub_nc_u32_e32 v27, 0, v26
	v_cndmask_b32_e32 v26, v27, v26, vcc_lo
	v_and_b32_e32 v27, 4, v24
	v_add_nc_u32_e32 v25, v26, v25
	v_mul_i32_i24_sdwa v26, v22, sext(v18) dst_sel:DWORD dst_unused:UNUSED_PAD src0_sel:BYTE_2 src1_sel:BYTE_2
	v_cmp_eq_u16_e32 vcc_lo, 0, v27
	v_mul_i32_i24_sdwa v18, v22, sext(v18) dst_sel:DWORD dst_unused:UNUSED_PAD src0_sel:BYTE_3 src1_sel:BYTE_3
	v_and_b32_e32 v22, 8, v24
	v_sub_nc_u32_e32 v27, 0, v26
	v_cndmask_b32_e32 v26, v27, v26, vcc_lo
	v_cmp_eq_u16_e32 vcc_lo, 0, v22
	v_sub_nc_u32_e32 v22, 0, v18
	v_cndmask_b32_e32 v18, v22, v18, vcc_lo
	v_mul_i32_i24_sdwa v22, v23, sext(v19) dst_sel:DWORD dst_unused:UNUSED_PAD src0_sel:BYTE_0 src1_sel:BYTE_0
	v_add3_u32 v18, v25, v26, v18
	v_and_b32_e32 v25, 16, v24
	v_and_b32_e32 v26, 32, v24
	v_cmp_eq_u16_e32 vcc_lo, 0, v25
	v_sub_nc_u32_e32 v25, 0, v22
	v_cndmask_b32_e32 v22, v25, v22, vcc_lo
	v_mul_i32_i24_sdwa v25, v23, sext(v19) dst_sel:DWORD dst_unused:UNUSED_PAD src0_sel:BYTE_1 src1_sel:BYTE_1
	v_cmp_eq_u16_e32 vcc_lo, 0, v26
	v_sub_nc_u32_e32 v26, 0, v25
	v_cndmask_b32_e32 v25, v26, v25, vcc_lo
	v_cmp_gt_i16_e32 vcc_lo, 0, v8
	v_add3_u32 v18, v18, v22, v25
	v_mul_i32_i24_sdwa v22, v23, sext(v19) dst_sel:DWORD dst_unused:UNUSED_PAD src0_sel:BYTE_2 src1_sel:BYTE_2
	v_mul_i32_i24_sdwa v19, v23, sext(v19) dst_sel:DWORD dst_unused:UNUSED_PAD src0_sel:BYTE_3 src1_sel:BYTE_3
	v_sub_nc_u32_e32 v25, 0, v22
	v_sub_nc_u32_e32 v23, 0, v19
	v_cndmask_b32_e32 v22, v22, v25, vcc_lo
	v_cmp_gt_i16_e32 vcc_lo, 0, v24
	v_cndmask_b32_e32 v19, v19, v23, vcc_lo
	v_add3_u32 v24, v18, v22, v19
	v_lshrrev_b32_e32 v18, 13, v8
	v_lshrrev_b32_e32 v19, 25, v8
	v_and_b32_e32 v18, 0xff8, v18
	global_load_sbyte v22, v19, s[10:11]
	global_load_dwordx2 v[18:19], v18, s[4:5]
	s_waitcnt vmcnt(1)
	v_and_b32_e32 v25, 1, v22
	s_waitcnt vmcnt(0)
	v_mul_i32_i24_sdwa v23, v18, sext(v20) dst_sel:DWORD dst_unused:UNUSED_PAD src0_sel:BYTE_0 src1_sel:BYTE_0
	v_and_b32_e32 v26, 2, v22
	v_and_b32_e32 v27, 4, v22
	v_cmp_eq_u16_e32 vcc_lo, 0, v25
	v_sub_nc_u32_e32 v25, 0, v23
	v_cndmask_b32_e32 v25, v25, v23, vcc_lo
	v_mul_i32_i24_sdwa v23, v18, sext(v20) dst_sel:DWORD dst_unused:UNUSED_PAD src0_sel:BYTE_1 src1_sel:BYTE_1
	v_cmp_eq_u16_e32 vcc_lo, 0, v26
	v_sub_nc_u32_e32 v26, 0, v23
	v_cndmask_b32_e32 v26, v26, v23, vcc_lo
	v_mul_i32_i24_sdwa v23, v18, sext(v20) dst_sel:DWORD dst_unused:UNUSED_PAD src0_sel:BYTE_2 src1_sel:BYTE_2
	v_cmp_eq_u16_e32 vcc_lo, 0, v27
	v_mul_i32_i24_sdwa v18, v18, sext(v20) dst_sel:DWORD dst_unused:UNUSED_PAD src0_sel:BYTE_3 src1_sel:BYTE_3
	v_and_b32_e32 v20, 8, v22
	v_sub_nc_u32_e32 v27, 0, v23
	v_cndmask_b32_e32 v27, v27, v23, vcc_lo
	v_cmp_eq_u16_e32 vcc_lo, 0, v20
	v_sub_nc_u32_e32 v20, 0, v18
	v_cndmask_b32_e32 v28, v20, v18, vcc_lo
	v_mul_i32_i24_sdwa v18, v19, sext(v21) dst_sel:DWORD dst_unused:UNUSED_PAD src0_sel:BYTE_0 src1_sel:BYTE_0
	v_and_b32_e32 v20, 16, v22
	v_cmp_eq_u16_e32 vcc_lo, 0, v20
	v_sub_nc_u32_e32 v20, 0, v18
	v_cndmask_b32_e32 v29, v20, v18, vcc_lo
	v_mul_i32_i24_sdwa v18, v19, sext(v21) dst_sel:DWORD dst_unused:UNUSED_PAD src0_sel:BYTE_1 src1_sel:BYTE_1
	v_and_b32_e32 v20, 32, v22
	v_cmp_eq_u16_e32 vcc_lo, 0, v20
	v_sub_nc_u32_e32 v20, 0, v18
	v_cndmask_b32_e32 v30, v20, v18, vcc_lo
	v_mul_i32_i24_sdwa v18, v19, sext(v21) dst_sel:DWORD dst_unused:UNUSED_PAD src0_sel:BYTE_2 src1_sel:BYTE_2
	v_cmp_lt_i16_sdwa vcc_lo, v8, v14 src0_sel:WORD_1 src1_sel:DWORD
	v_mul_i32_i24_sdwa v8, v19, sext(v21) dst_sel:DWORD dst_unused:UNUSED_PAD src0_sel:BYTE_3 src1_sel:BYTE_3
	v_sub_nc_u32_e32 v20, 0, v18
	v_cndmask_b32_e32 v31, v18, v20, vcc_lo
	v_sub_nc_u32_e32 v18, 0, v8
	v_cmp_gt_i16_e32 vcc_lo, 0, v22
	v_cndmask_b32_e32 v32, v8, v18, vcc_lo
	v_and_b32_e32 v8, 0x1ff, v9
	v_bfe_u32 v18, v9, 9, 7
	v_lshlrev_b32_e32 v8, 3, v8
	global_load_sbyte v33, v18, s[10:11]
	global_load_dwordx4 v[18:21], v[4:5], off offset:20
	global_load_dwordx2 v[22:23], v8, s[4:5]
	s_waitcnt vmcnt(2)
	v_and_b32_e32 v34, 1, v33
	v_and_b32_e32 v35, 2, v33
	s_waitcnt vmcnt(0)
	v_mul_i32_i24_sdwa v8, v22, sext(v18) dst_sel:DWORD dst_unused:UNUSED_PAD src0_sel:BYTE_0 src1_sel:BYTE_0
	v_cmp_eq_u16_e32 vcc_lo, 0, v34
	v_sub_nc_u32_e32 v34, 0, v8
	v_cndmask_b32_e32 v8, v34, v8, vcc_lo
	v_mul_i32_i24_sdwa v34, v22, sext(v18) dst_sel:DWORD dst_unused:UNUSED_PAD src0_sel:BYTE_1 src1_sel:BYTE_1
	v_cmp_eq_u16_e32 vcc_lo, 0, v35
	v_sub_nc_u32_e32 v35, 0, v34
	v_cndmask_b32_e32 v34, v35, v34, vcc_lo
	v_and_b32_e32 v35, 4, v33
	v_add_nc_u32_e32 v8, v34, v8
	v_mul_i32_i24_sdwa v34, v22, sext(v18) dst_sel:DWORD dst_unused:UNUSED_PAD src0_sel:BYTE_2 src1_sel:BYTE_2
	v_cmp_eq_u16_e32 vcc_lo, 0, v35
	v_mul_i32_i24_sdwa v18, v22, sext(v18) dst_sel:DWORD dst_unused:UNUSED_PAD src0_sel:BYTE_3 src1_sel:BYTE_3
	v_and_b32_e32 v22, 8, v33
	v_sub_nc_u32_e32 v35, 0, v34
	v_cndmask_b32_e32 v34, v35, v34, vcc_lo
	v_cmp_eq_u16_e32 vcc_lo, 0, v22
	v_sub_nc_u32_e32 v22, 0, v18
	v_cndmask_b32_e32 v18, v22, v18, vcc_lo
	v_and_b32_e32 v22, 16, v33
	v_add3_u32 v8, v8, v34, v18
	v_mul_i32_i24_sdwa v18, v23, sext(v19) dst_sel:DWORD dst_unused:UNUSED_PAD src0_sel:BYTE_0 src1_sel:BYTE_0
	v_cmp_eq_u16_e32 vcc_lo, 0, v22
	v_and_b32_e32 v34, 32, v33
	v_sub_nc_u32_e32 v22, 0, v18
	v_cndmask_b32_e32 v18, v22, v18, vcc_lo
	v_mul_i32_i24_sdwa v22, v23, sext(v19) dst_sel:DWORD dst_unused:UNUSED_PAD src0_sel:BYTE_1 src1_sel:BYTE_1
	v_cmp_eq_u16_e32 vcc_lo, 0, v34
	v_sub_nc_u32_e32 v34, 0, v22
	v_cndmask_b32_e32 v22, v34, v22, vcc_lo
	v_cmp_gt_i16_e32 vcc_lo, 0, v9
	v_add3_u32 v8, v8, v18, v22
	v_mul_i32_i24_sdwa v18, v23, sext(v19) dst_sel:DWORD dst_unused:UNUSED_PAD src0_sel:BYTE_2 src1_sel:BYTE_2
	v_mul_i32_i24_sdwa v19, v23, sext(v19) dst_sel:DWORD dst_unused:UNUSED_PAD src0_sel:BYTE_3 src1_sel:BYTE_3
	v_sub_nc_u32_e32 v22, 0, v18
	v_cndmask_b32_e32 v18, v18, v22, vcc_lo
	v_sub_nc_u32_e32 v22, 0, v19
	v_cmp_gt_i16_e32 vcc_lo, 0, v33
	v_cndmask_b32_e32 v19, v19, v22, vcc_lo
	v_add3_u32 v8, v8, v18, v19
	v_lshrrev_b32_e32 v18, 13, v9
	v_lshrrev_b32_e32 v19, 25, v9
	v_and_b32_e32 v18, 0xff8, v18
	global_load_sbyte v22, v19, s[10:11]
	global_load_dwordx2 v[18:19], v18, s[4:5]
	global_load_ushort v6, v[6:7], off
	global_load_ushort v4, v[4:5], off
	s_waitcnt vmcnt(3)
	v_and_b32_e32 v33, 1, v22
	s_waitcnt vmcnt(2)
	v_mul_i32_i24_sdwa v23, v18, sext(v20) dst_sel:DWORD dst_unused:UNUSED_PAD src0_sel:BYTE_0 src1_sel:BYTE_0
	v_and_b32_e32 v34, 2, v22
	s_waitcnt vmcnt(1)
	v_cvt_f32_f16_e32 v6, v6
	s_waitcnt vmcnt(0)
	v_cvt_f32_f16_e32 v4, v4
	v_cmp_eq_u16_e32 vcc_lo, 0, v33
	v_sub_nc_u32_e32 v33, 0, v23
	v_mul_f32_e32 v4, v6, v4
	v_cndmask_b32_e32 v23, v33, v23, vcc_lo
	v_mul_i32_i24_sdwa v33, v18, sext(v20) dst_sel:DWORD dst_unused:UNUSED_PAD src0_sel:BYTE_1 src1_sel:BYTE_1
	v_cmp_eq_u16_e32 vcc_lo, 0, v34
	v_mul_f32_e32 v4, 0x3e800000, v4
	v_sub_nc_u32_e32 v34, 0, v33
	v_cndmask_b32_e32 v33, v34, v33, vcc_lo
	v_add3_u32 v8, v8, v23, v33
	v_mul_i32_i24_sdwa v23, v18, sext(v20) dst_sel:DWORD dst_unused:UNUSED_PAD src0_sel:BYTE_2 src1_sel:BYTE_2
	v_and_b32_e32 v33, 4, v22
	v_mul_i32_i24_sdwa v18, v18, sext(v20) dst_sel:DWORD dst_unused:UNUSED_PAD src0_sel:BYTE_3 src1_sel:BYTE_3
	v_and_b32_e32 v20, 8, v22
	v_cmp_eq_u16_e32 vcc_lo, 0, v33
	v_sub_nc_u32_e32 v33, 0, v23
	v_cndmask_b32_e32 v23, v33, v23, vcc_lo
	v_cmp_eq_u16_e32 vcc_lo, 0, v20
	v_sub_nc_u32_e32 v20, 0, v18
	v_cndmask_b32_e32 v18, v20, v18, vcc_lo
	v_and_b32_e32 v20, 16, v22
	v_add3_u32 v8, v8, v23, v18
	v_mul_i32_i24_sdwa v18, v19, sext(v21) dst_sel:DWORD dst_unused:UNUSED_PAD src0_sel:BYTE_0 src1_sel:BYTE_0
	v_cmp_eq_u16_e32 vcc_lo, 0, v20
	v_and_b32_e32 v23, 32, v22
	v_sub_nc_u32_e32 v20, 0, v18
	v_cndmask_b32_e32 v18, v20, v18, vcc_lo
	v_mul_i32_i24_sdwa v20, v19, sext(v21) dst_sel:DWORD dst_unused:UNUSED_PAD src0_sel:BYTE_1 src1_sel:BYTE_1
	v_cmp_eq_u16_e32 vcc_lo, 0, v23
	v_sub_nc_u32_e32 v23, 0, v20
	v_cndmask_b32_e32 v20, v23, v20, vcc_lo
	v_cmp_lt_i16_sdwa vcc_lo, v9, v14 src0_sel:WORD_1 src1_sel:DWORD
	v_add3_u32 v8, v8, v18, v20
	v_mul_i32_i24_sdwa v18, v19, sext(v21) dst_sel:DWORD dst_unused:UNUSED_PAD src0_sel:BYTE_2 src1_sel:BYTE_2
	v_sub_nc_u32_e32 v20, 0, v18
	v_cndmask_b32_e32 v9, v18, v20, vcc_lo
	v_mul_i32_i24_sdwa v18, v19, sext(v21) dst_sel:DWORD dst_unused:UNUSED_PAD src0_sel:BYTE_3 src1_sel:BYTE_3
	v_cmp_gt_i16_e32 vcc_lo, 0, v22
	v_sub_nc_u32_e32 v19, 0, v18
	v_cndmask_b32_e32 v18, v18, v19, vcc_lo
	v_cmp_le_u32_e32 vcc_lo, s12, v10
	v_add3_u32 v8, v8, v9, v18
	v_add3_u32 v9, v24, v25, v26
	s_or_b32 s0, vcc_lo, s0
	v_cvt_f32_i32_e32 v8, v8
	v_add3_u32 v9, v9, v27, v28
	v_add3_u32 v9, v9, v29, v30
	;; [unrolled: 1-line block ×3, first 2 shown]
	v_lshrrev_b16 v9, 4, v17
	v_and_b32_e32 v17, 15, v17
	v_cvt_f32_i32_e32 v6, v18
	v_cvt_f32_ubyte0_e32 v7, v9
	v_cvt_f32_ubyte0_e32 v5, v17
	v_add_f32_e32 v7, 0.5, v7
	v_add_f32_e32 v5, 0.5, v5
	v_mul_f32_e32 v7, v7, v8
	v_fmac_f32_e32 v7, v5, v6
	v_fmac_f32_e32 v11, v4, v7
	s_andn2_b32 exec_lo, exec_lo, s0
	s_cbranch_execnz .LBB69_3
; %bb.4:
	s_or_b32 exec_lo, exec_lo, s0
.LBB69_5:
	s_or_b32 exec_lo, exec_lo, s6
	v_mbcnt_lo_u32_b32 v2, -1, 0
	v_xor_b32_e32 v3, 16, v2
	v_xor_b32_e32 v4, 8, v2
	;; [unrolled: 1-line block ×3, first 2 shown]
	v_cmp_gt_i32_e32 vcc_lo, 32, v3
	v_cndmask_b32_e32 v3, v2, v3, vcc_lo
	v_cmp_gt_i32_e32 vcc_lo, 32, v4
	v_lshlrev_b32_e32 v3, 2, v3
	v_cndmask_b32_e32 v4, v2, v4, vcc_lo
	v_cmp_gt_i32_e32 vcc_lo, 32, v5
	ds_bpermute_b32 v3, v3, v11
	v_lshlrev_b32_e32 v4, 2, v4
	v_cndmask_b32_e32 v5, v2, v5, vcc_lo
	v_lshlrev_b32_e32 v5, 2, v5
	s_waitcnt lgkmcnt(0)
	v_add_f32_e32 v3, v11, v3
	ds_bpermute_b32 v4, v4, v3
	s_waitcnt lgkmcnt(0)
	v_add_f32_e32 v3, v3, v4
	ds_bpermute_b32 v4, v5, v3
	v_xor_b32_e32 v5, 2, v2
	v_cmp_gt_i32_e32 vcc_lo, 32, v5
	v_cndmask_b32_e32 v5, v2, v5, vcc_lo
	v_lshlrev_b32_e32 v5, 2, v5
	s_waitcnt lgkmcnt(0)
	v_add_f32_e32 v3, v3, v4
	ds_bpermute_b32 v4, v5, v3
	v_xor_b32_e32 v5, 1, v2
	v_cmp_gt_i32_e32 vcc_lo, 32, v5
	v_cndmask_b32_e32 v5, v2, v5, vcc_lo
	v_cmp_eq_u32_e32 vcc_lo, 0, v0
	s_waitcnt lgkmcnt(0)
	v_add_f32_e32 v2, v3, v4
	v_lshlrev_b32_e32 v3, 2, v5
	ds_bpermute_b32 v3, v3, v2
	s_and_b32 exec_lo, exec_lo, vcc_lo
	s_cbranch_execz .LBB69_7
; %bb.6:
	v_mad_u64_u32 v[0:1], null, s1, s7, v[1:2]
	v_mov_b32_e32 v1, 0
	s_waitcnt lgkmcnt(0)
	v_add_f32_e32 v2, v2, v3
	v_lshlrev_b64 v[0:1], 2, v[0:1]
	v_add_co_u32 v0, vcc_lo, s2, v0
	v_add_co_ci_u32_e64 v1, null, s3, v1, vcc_lo
	global_store_dword v[0:1], v2, off
.LBB69_7:
	s_endpgm
	.section	.rodata,"a",@progbits
	.p2align	6, 0x0
	.amdhsa_kernel _ZL13mul_mat_vec_qIfLi256ELi8E12block_iq2_xsLi1EXadL_ZL19vec_dot_iq2_xs_q8_1PKvPK10block_q8_1RKiEEEvS2_S2_PT_iii
		.amdhsa_group_segment_fixed_size 0
		.amdhsa_private_segment_fixed_size 0
		.amdhsa_kernarg_size 296
		.amdhsa_user_sgpr_count 6
		.amdhsa_user_sgpr_private_segment_buffer 1
		.amdhsa_user_sgpr_dispatch_ptr 0
		.amdhsa_user_sgpr_queue_ptr 0
		.amdhsa_user_sgpr_kernarg_segment_ptr 1
		.amdhsa_user_sgpr_dispatch_id 0
		.amdhsa_user_sgpr_flat_scratch_init 0
		.amdhsa_user_sgpr_private_segment_size 0
		.amdhsa_wavefront_size32 1
		.amdhsa_uses_dynamic_stack 0
		.amdhsa_system_sgpr_private_segment_wavefront_offset 0
		.amdhsa_system_sgpr_workgroup_id_x 1
		.amdhsa_system_sgpr_workgroup_id_y 1
		.amdhsa_system_sgpr_workgroup_id_z 0
		.amdhsa_system_sgpr_workgroup_info 0
		.amdhsa_system_vgpr_workitem_id 1
		.amdhsa_next_free_vgpr 36
		.amdhsa_next_free_sgpr 13
		.amdhsa_reserve_vcc 1
		.amdhsa_reserve_flat_scratch 0
		.amdhsa_float_round_mode_32 0
		.amdhsa_float_round_mode_16_64 0
		.amdhsa_float_denorm_mode_32 3
		.amdhsa_float_denorm_mode_16_64 3
		.amdhsa_dx10_clamp 1
		.amdhsa_ieee_mode 1
		.amdhsa_fp16_overflow 0
		.amdhsa_workgroup_processor_mode 1
		.amdhsa_memory_ordered 1
		.amdhsa_forward_progress 1
		.amdhsa_shared_vgpr_count 0
		.amdhsa_exception_fp_ieee_invalid_op 0
		.amdhsa_exception_fp_denorm_src 0
		.amdhsa_exception_fp_ieee_div_zero 0
		.amdhsa_exception_fp_ieee_overflow 0
		.amdhsa_exception_fp_ieee_underflow 0
		.amdhsa_exception_fp_ieee_inexact 0
		.amdhsa_exception_int_div_zero 0
	.end_amdhsa_kernel
	.section	.text._ZL13mul_mat_vec_qIfLi256ELi8E12block_iq2_xsLi1EXadL_ZL19vec_dot_iq2_xs_q8_1PKvPK10block_q8_1RKiEEEvS2_S2_PT_iii,"axG",@progbits,_ZL13mul_mat_vec_qIfLi256ELi8E12block_iq2_xsLi1EXadL_ZL19vec_dot_iq2_xs_q8_1PKvPK10block_q8_1RKiEEEvS2_S2_PT_iii,comdat
.Lfunc_end69:
	.size	_ZL13mul_mat_vec_qIfLi256ELi8E12block_iq2_xsLi1EXadL_ZL19vec_dot_iq2_xs_q8_1PKvPK10block_q8_1RKiEEEvS2_S2_PT_iii, .Lfunc_end69-_ZL13mul_mat_vec_qIfLi256ELi8E12block_iq2_xsLi1EXadL_ZL19vec_dot_iq2_xs_q8_1PKvPK10block_q8_1RKiEEEvS2_S2_PT_iii
                                        ; -- End function
	.set _ZL13mul_mat_vec_qIfLi256ELi8E12block_iq2_xsLi1EXadL_ZL19vec_dot_iq2_xs_q8_1PKvPK10block_q8_1RKiEEEvS2_S2_PT_iii.num_vgpr, 36
	.set _ZL13mul_mat_vec_qIfLi256ELi8E12block_iq2_xsLi1EXadL_ZL19vec_dot_iq2_xs_q8_1PKvPK10block_q8_1RKiEEEvS2_S2_PT_iii.num_agpr, 0
	.set _ZL13mul_mat_vec_qIfLi256ELi8E12block_iq2_xsLi1EXadL_ZL19vec_dot_iq2_xs_q8_1PKvPK10block_q8_1RKiEEEvS2_S2_PT_iii.numbered_sgpr, 13
	.set _ZL13mul_mat_vec_qIfLi256ELi8E12block_iq2_xsLi1EXadL_ZL19vec_dot_iq2_xs_q8_1PKvPK10block_q8_1RKiEEEvS2_S2_PT_iii.num_named_barrier, 0
	.set _ZL13mul_mat_vec_qIfLi256ELi8E12block_iq2_xsLi1EXadL_ZL19vec_dot_iq2_xs_q8_1PKvPK10block_q8_1RKiEEEvS2_S2_PT_iii.private_seg_size, 0
	.set _ZL13mul_mat_vec_qIfLi256ELi8E12block_iq2_xsLi1EXadL_ZL19vec_dot_iq2_xs_q8_1PKvPK10block_q8_1RKiEEEvS2_S2_PT_iii.uses_vcc, 1
	.set _ZL13mul_mat_vec_qIfLi256ELi8E12block_iq2_xsLi1EXadL_ZL19vec_dot_iq2_xs_q8_1PKvPK10block_q8_1RKiEEEvS2_S2_PT_iii.uses_flat_scratch, 0
	.set _ZL13mul_mat_vec_qIfLi256ELi8E12block_iq2_xsLi1EXadL_ZL19vec_dot_iq2_xs_q8_1PKvPK10block_q8_1RKiEEEvS2_S2_PT_iii.has_dyn_sized_stack, 0
	.set _ZL13mul_mat_vec_qIfLi256ELi8E12block_iq2_xsLi1EXadL_ZL19vec_dot_iq2_xs_q8_1PKvPK10block_q8_1RKiEEEvS2_S2_PT_iii.has_recursion, 0
	.set _ZL13mul_mat_vec_qIfLi256ELi8E12block_iq2_xsLi1EXadL_ZL19vec_dot_iq2_xs_q8_1PKvPK10block_q8_1RKiEEEvS2_S2_PT_iii.has_indirect_call, 0
	.section	.AMDGPU.csdata,"",@progbits
; Kernel info:
; codeLenInByte = 1716
; TotalNumSgprs: 15
; NumVgprs: 36
; ScratchSize: 0
; MemoryBound: 0
; FloatMode: 240
; IeeeMode: 1
; LDSByteSize: 0 bytes/workgroup (compile time only)
; SGPRBlocks: 0
; VGPRBlocks: 4
; NumSGPRsForWavesPerEU: 15
; NumVGPRsForWavesPerEU: 36
; Occupancy: 16
; WaveLimiterHint : 0
; COMPUTE_PGM_RSRC2:SCRATCH_EN: 0
; COMPUTE_PGM_RSRC2:USER_SGPR: 6
; COMPUTE_PGM_RSRC2:TRAP_HANDLER: 0
; COMPUTE_PGM_RSRC2:TGID_X_EN: 1
; COMPUTE_PGM_RSRC2:TGID_Y_EN: 1
; COMPUTE_PGM_RSRC2:TGID_Z_EN: 0
; COMPUTE_PGM_RSRC2:TIDIG_COMP_CNT: 1
	.section	.text._ZL13mul_mat_vec_qIfLi256ELi8E13block_iq3_xxsLi1EXadL_ZL20vec_dot_iq3_xxs_q8_1PKvPK10block_q8_1RKiEEEvS2_S2_PT_iii,"axG",@progbits,_ZL13mul_mat_vec_qIfLi256ELi8E13block_iq3_xxsLi1EXadL_ZL20vec_dot_iq3_xxs_q8_1PKvPK10block_q8_1RKiEEEvS2_S2_PT_iii,comdat
	.globl	_ZL13mul_mat_vec_qIfLi256ELi8E13block_iq3_xxsLi1EXadL_ZL20vec_dot_iq3_xxs_q8_1PKvPK10block_q8_1RKiEEEvS2_S2_PT_iii ; -- Begin function _ZL13mul_mat_vec_qIfLi256ELi8E13block_iq3_xxsLi1EXadL_ZL20vec_dot_iq3_xxs_q8_1PKvPK10block_q8_1RKiEEEvS2_S2_PT_iii
	.p2align	8
	.type	_ZL13mul_mat_vec_qIfLi256ELi8E13block_iq3_xxsLi1EXadL_ZL20vec_dot_iq3_xxs_q8_1PKvPK10block_q8_1RKiEEEvS2_S2_PT_iii,@function
_ZL13mul_mat_vec_qIfLi256ELi8E13block_iq3_xxsLi1EXadL_ZL20vec_dot_iq3_xxs_q8_1PKvPK10block_q8_1RKiEEEvS2_S2_PT_iii: ; @_ZL13mul_mat_vec_qIfLi256ELi8E13block_iq3_xxsLi1EXadL_ZL20vec_dot_iq3_xxs_q8_1PKvPK10block_q8_1RKiEEEvS2_S2_PT_iii
; %bb.0:
	s_clause 0x1
	s_load_dword s8, s[4:5], 0x34
	s_load_dwordx4 s[0:3], s[4:5], 0x18
	s_waitcnt lgkmcnt(0)
	s_lshr_b32 s3, s8, 16
	s_cmp_lt_u32 s7, s2
	v_mad_u64_u32 v[5:6], null, s6, s3, v[1:2]
	s_cselect_b32 s2, -1, 0
	v_cmp_gt_u32_e32 vcc_lo, s1, v5
	s_and_b32 s2, s2, vcc_lo
	s_and_saveexec_b32 s3, s2
	s_cbranch_execz .LBB70_7
; %bb.1:
	s_load_dwordx2 s[2:3], s[4:5], 0x10
	s_ashr_i32 s6, s0, 31
	v_lshrrev_b32_e32 v8, 3, v0
	s_lshr_b32 s6, s6, 24
	v_mov_b32_e32 v9, 0
	s_add_i32 s6, s0, s6
	s_ashr_i32 s12, s6, 8
	s_mov_b32 s6, exec_lo
	v_cmpx_gt_u32_e64 s12, v8
	s_cbranch_execz .LBB70_5
; %bb.2:
	s_load_dwordx4 s[8:11], s[4:5], 0x0
	s_addk_i32 s0, 0x1ff
	v_and_b32_e32 v1, 7, v0
	s_ashr_i32 s4, s0, 31
	v_lshlrev_b32_e32 v2, 3, v8
	s_lshr_b32 s4, s4, 23
	v_mul_lo_u32 v10, v5, s12
	s_add_i32 s0, s0, s4
	v_lshlrev_b32_e32 v3, 1, v1
	s_ashr_i32 s0, s0, 9
	v_lshlrev_b32_e32 v11, 3, v1
	s_mul_i32 s0, s7, s0
	v_mov_b32_e32 v9, 0
	v_lshl_add_u32 v12, s0, 4, v2
	v_lshlrev_b32_e32 v13, 1, v3
	v_mov_b32_e32 v14, 2
	s_mov_b32 s0, 0
	s_getpc_b64 s[4:5]
	s_add_u32 s4, s4, _ZL11iq3xxs_grid@rel32@lo+4
	s_addc_u32 s5, s5, _ZL11iq3xxs_grid@rel32@hi+12
	s_waitcnt lgkmcnt(0)
	v_mad_u64_u32 v[6:7], null, v1, 36, s[10:11]
.LBB70_3:                               ; =>This Inner Loop Header: Depth=1
	v_add_nc_u32_e32 v1, v10, v8
	v_mad_i64_i32 v[23:24], null, v12, 36, v[6:7]
	s_getpc_b64 s[10:11]
	s_add_u32 s10, s10, _ZL8ksigns64@rel32@lo+4
	s_addc_u32 s11, s11, _ZL8ksigns64@rel32@hi+12
	v_add_nc_u32_e32 v8, 4, v8
	v_mad_i64_i32 v[19:20], null, 0x62, v1, s[8:9]
	v_add_nc_u32_e32 v12, 32, v12
	v_add_co_u32 v1, vcc_lo, v19, v13
	v_add_co_ci_u32_e64 v2, null, 0, v20, vcc_lo
	v_add_co_u32 v3, vcc_lo, v19, v11
	v_add_co_ci_u32_e64 v4, null, 0, v20, vcc_lo
	s_clause 0x1
	global_load_dword v29, v[1:2], off offset:66
	global_load_dwordx2 v[21:22], v[3:4], off offset:2
	s_clause 0x1
	global_load_dwordx4 v[15:18], v[23:24], off
	global_load_dwordx4 v[1:4], v[23:24], off offset:16
	global_load_ushort v30, v[19:20], off
	v_cmp_le_u32_e32 vcc_lo, s12, v8
	s_or_b32 s0, vcc_lo, s0
	s_waitcnt vmcnt(4)
	v_and_b32_e32 v25, 0x7f, v29
	s_waitcnt vmcnt(3)
	v_lshlrev_b32_sdwa v19, v14, v21 dst_sel:DWORD dst_unused:UNUSED_PAD src0_sel:DWORD src1_sel:BYTE_0
	v_lshlrev_b32_sdwa v20, v14, v21 dst_sel:DWORD dst_unused:UNUSED_PAD src0_sel:DWORD src1_sel:BYTE_1
	v_lshrrev_b32_e32 v27, 4, v29
	v_lshlrev_b32_sdwa v26, v14, v21 dst_sel:DWORD dst_unused:UNUSED_PAD src0_sel:DWORD src1_sel:BYTE_2
	v_lshrrev_b32_e32 v32, 11, v29
	v_lshlrev_b32_sdwa v21, v14, v21 dst_sel:DWORD dst_unused:UNUSED_PAD src0_sel:DWORD src1_sel:BYTE_3
	v_lshlrev_b32_sdwa v28, v14, v22 dst_sel:DWORD dst_unused:UNUSED_PAD src0_sel:DWORD src1_sel:BYTE_0
	v_lshlrev_b32_sdwa v31, v14, v22 dst_sel:DWORD dst_unused:UNUSED_PAD src0_sel:DWORD src1_sel:BYTE_1
	v_lshlrev_b32_sdwa v33, v14, v22 dst_sel:DWORD dst_unused:UNUSED_PAD src0_sel:DWORD src1_sel:BYTE_2
	v_lshlrev_b32_sdwa v34, v14, v22 dst_sel:DWORD dst_unused:UNUSED_PAD src0_sel:DWORD src1_sel:BYTE_3
	v_lshrrev_b32_e32 v22, 18, v29
	v_lshlrev_b32_e32 v25, 3, v25
	s_clause 0x1
	global_load_dword v35, v19, s[4:5]
	global_load_dword v36, v20, s[4:5]
	v_and_b32_e32 v27, 0x3f8, v27
	s_clause 0x1
	global_load_dword v37, v26, s[4:5]
	global_load_dword v38, v21, s[4:5]
	v_and_b32_e32 v26, 0x3f8, v32
	s_clause 0x1
	global_load_dword v32, v28, s[4:5]
	global_load_dword v31, v31, s[4:5]
	v_and_b32_e32 v28, 0x3f8, v22
	global_load_dword v33, v33, s[4:5]
	s_clause 0x3
	global_load_dwordx2 v[19:20], v25, s[10:11]
	global_load_dwordx2 v[21:22], v27, s[10:11]
	;; [unrolled: 1-line block ×4, first 2 shown]
	global_load_dword v34, v34, s[4:5]
	global_load_dword v23, v[23:24], off offset:32
	v_mov_b32_e32 v24, 0
	v_lshrrev_b32_e32 v29, 28, v29
	s_waitcnt vmcnt(13)
	v_cvt_f32_f16_e32 v30, v30
	v_cvt_f32_ubyte0_e32 v29, v29
	v_add_f32_e32 v29, 0.5, v29
	s_waitcnt vmcnt(5)
	v_and_b32_e32 v39, 0xff000000, v19
	v_xor_b32_e32 v35, v19, v35
	v_and_b32_e32 v40, 0xff0000, v19
	v_and_b32_e32 v41, 0xff00, v19
	v_xor_b32_e32 v36, v20, v36
	v_and_b32_e32 v42, 0xff000000, v20
	v_and_b32_e32 v43, 0xff0000, v20
	;; [unrolled: 1-line block ×3, first 2 shown]
	v_sub_nc_u32_e32 v39, v35, v39
	v_sub_nc_u32_e32 v40, v35, v40
	;; [unrolled: 1-line block ×4, first 2 shown]
	s_waitcnt vmcnt(4)
	v_xor_b32_e32 v37, v21, v37
	v_and_b32_e32 v45, 0xff000000, v21
	v_and_b32_e32 v46, 0xff0000, v21
	;; [unrolled: 1-line block ×3, first 2 shown]
	v_xor_b32_e32 v38, v22, v38
	v_and_b32_e32 v48, 0xff000000, v22
	v_and_b32_e32 v49, 0xff0000, v22
	;; [unrolled: 1-line block ×3, first 2 shown]
	s_waitcnt vmcnt(3)
	v_xor_b32_e32 v32, v25, v32
	v_and_b32_e32 v51, 0xff000000, v25
	v_and_b32_e32 v52, 0xff0000, v25
	;; [unrolled: 1-line block ×3, first 2 shown]
	v_xor_b32_e32 v31, v26, v31
	v_and_b32_e32 v54, 0xff000000, v26
	v_and_b32_e32 v55, 0xff0000, v26
	;; [unrolled: 1-line block ×3, first 2 shown]
	s_waitcnt vmcnt(2)
	v_xor_b32_e32 v33, v27, v33
	v_and_b32_e32 v57, 0xff000000, v27
	v_and_b32_e32 v58, 0xff0000, v27
	;; [unrolled: 1-line block ×3, first 2 shown]
	s_waitcnt vmcnt(1)
	v_xor_b32_e32 v34, v28, v34
	v_and_b32_e32 v60, 0xff000000, v28
	v_and_b32_e32 v61, 0xff0000, v28
	v_sub_nc_u32_e32 v20, v36, v20
	v_and_b32_e32 v35, 0xff00, v28
	v_sub_nc_u32_e32 v42, v36, v42
	v_sub_nc_u32_e32 v43, v36, v43
	;; [unrolled: 1-line block ×3, first 2 shown]
	v_and_b32_e32 v39, 0xff000000, v39
	v_and_b32_e32 v41, 0xff00, v41
	v_perm_b32 v19, v40, v19, 0xc060c00
	v_sub_nc_u32_e32 v44, v37, v45
	v_sub_nc_u32_e32 v45, v37, v46
	;; [unrolled: 1-line block ×24, first 2 shown]
	v_and_b32_e32 v34, 0xff000000, v42
	v_and_b32_e32 v36, 0xff00, v36
	v_perm_b32 v20, v43, v20, 0xc060c00
	v_or3_b32 v19, v19, v39, v41
	v_and_b32_e32 v39, 0xff000000, v44
	v_and_b32_e32 v40, 0xff00, v46
	v_perm_b32 v21, v45, v21, 0xc060c00
	v_or3_b32 v20, v20, v34, v36
	v_dot4c_i32_i8 v24, v19, v16
	v_and_b32_e32 v16, 0xff000000, v37
	v_and_b32_e32 v19, 0xff00, v48
	v_perm_b32 v22, v47, v22, 0xc060c00
	v_or3_b32 v21, v21, v39, v40
	v_dot4c_i32_i8 v24, v20, v17
	;; [unrolled: 5-line block ×6, first 2 shown]
	v_cvt_f32_f16_e32 v3, v15
	v_mul_f32_e32 v15, v29, v30
	v_or3_b32 v2, v19, v2, v17
	v_dot4c_i32_i8 v24, v1, v4
	v_mul_f32_e32 v1, v15, v3
	s_waitcnt vmcnt(0)
	v_dot4c_i32_i8 v24, v2, v23
	v_mul_f32_e32 v1, 0.5, v1
	v_cvt_f32_i32_e32 v2, v24
	v_fmac_f32_e32 v9, v1, v2
	s_andn2_b32 exec_lo, exec_lo, s0
	s_cbranch_execnz .LBB70_3
; %bb.4:
	s_or_b32 exec_lo, exec_lo, s0
.LBB70_5:
	s_or_b32 exec_lo, exec_lo, s6
	v_mbcnt_lo_u32_b32 v1, -1, 0
	v_xor_b32_e32 v2, 16, v1
	v_xor_b32_e32 v3, 8, v1
	;; [unrolled: 1-line block ×3, first 2 shown]
	v_cmp_gt_i32_e32 vcc_lo, 32, v2
	v_cndmask_b32_e32 v2, v1, v2, vcc_lo
	v_cmp_gt_i32_e32 vcc_lo, 32, v3
	v_lshlrev_b32_e32 v2, 2, v2
	v_cndmask_b32_e32 v3, v1, v3, vcc_lo
	v_cmp_gt_i32_e32 vcc_lo, 32, v4
	ds_bpermute_b32 v2, v2, v9
	v_lshlrev_b32_e32 v3, 2, v3
	v_cndmask_b32_e32 v4, v1, v4, vcc_lo
	v_lshlrev_b32_e32 v4, 2, v4
	s_waitcnt lgkmcnt(0)
	v_add_f32_e32 v2, v9, v2
	ds_bpermute_b32 v3, v3, v2
	s_waitcnt lgkmcnt(0)
	v_add_f32_e32 v2, v2, v3
	ds_bpermute_b32 v3, v4, v2
	v_xor_b32_e32 v4, 2, v1
	v_cmp_gt_i32_e32 vcc_lo, 32, v4
	v_cndmask_b32_e32 v4, v1, v4, vcc_lo
	v_lshlrev_b32_e32 v4, 2, v4
	s_waitcnt lgkmcnt(0)
	v_add_f32_e32 v2, v2, v3
	ds_bpermute_b32 v3, v4, v2
	v_xor_b32_e32 v4, 1, v1
	v_cmp_gt_i32_e32 vcc_lo, 32, v4
	v_cndmask_b32_e32 v4, v1, v4, vcc_lo
	v_cmp_eq_u32_e32 vcc_lo, 0, v0
	s_waitcnt lgkmcnt(0)
	v_add_f32_e32 v1, v2, v3
	v_lshlrev_b32_e32 v2, 2, v4
	ds_bpermute_b32 v2, v2, v1
	s_and_b32 exec_lo, exec_lo, vcc_lo
	s_cbranch_execz .LBB70_7
; %bb.6:
	v_mad_u64_u32 v[3:4], null, s1, s7, v[5:6]
	v_mov_b32_e32 v4, 0
	s_waitcnt lgkmcnt(0)
	v_add_f32_e32 v2, v1, v2
	v_lshlrev_b64 v[3:4], 2, v[3:4]
	v_add_co_u32 v0, vcc_lo, s2, v3
	v_add_co_ci_u32_e64 v1, null, s3, v4, vcc_lo
	global_store_dword v[0:1], v2, off
.LBB70_7:
	s_endpgm
	.section	.rodata,"a",@progbits
	.p2align	6, 0x0
	.amdhsa_kernel _ZL13mul_mat_vec_qIfLi256ELi8E13block_iq3_xxsLi1EXadL_ZL20vec_dot_iq3_xxs_q8_1PKvPK10block_q8_1RKiEEEvS2_S2_PT_iii
		.amdhsa_group_segment_fixed_size 0
		.amdhsa_private_segment_fixed_size 0
		.amdhsa_kernarg_size 296
		.amdhsa_user_sgpr_count 6
		.amdhsa_user_sgpr_private_segment_buffer 1
		.amdhsa_user_sgpr_dispatch_ptr 0
		.amdhsa_user_sgpr_queue_ptr 0
		.amdhsa_user_sgpr_kernarg_segment_ptr 1
		.amdhsa_user_sgpr_dispatch_id 0
		.amdhsa_user_sgpr_flat_scratch_init 0
		.amdhsa_user_sgpr_private_segment_size 0
		.amdhsa_wavefront_size32 1
		.amdhsa_uses_dynamic_stack 0
		.amdhsa_system_sgpr_private_segment_wavefront_offset 0
		.amdhsa_system_sgpr_workgroup_id_x 1
		.amdhsa_system_sgpr_workgroup_id_y 1
		.amdhsa_system_sgpr_workgroup_id_z 0
		.amdhsa_system_sgpr_workgroup_info 0
		.amdhsa_system_vgpr_workitem_id 1
		.amdhsa_next_free_vgpr 62
		.amdhsa_next_free_sgpr 13
		.amdhsa_reserve_vcc 1
		.amdhsa_reserve_flat_scratch 0
		.amdhsa_float_round_mode_32 0
		.amdhsa_float_round_mode_16_64 0
		.amdhsa_float_denorm_mode_32 3
		.amdhsa_float_denorm_mode_16_64 3
		.amdhsa_dx10_clamp 1
		.amdhsa_ieee_mode 1
		.amdhsa_fp16_overflow 0
		.amdhsa_workgroup_processor_mode 1
		.amdhsa_memory_ordered 1
		.amdhsa_forward_progress 1
		.amdhsa_shared_vgpr_count 0
		.amdhsa_exception_fp_ieee_invalid_op 0
		.amdhsa_exception_fp_denorm_src 0
		.amdhsa_exception_fp_ieee_div_zero 0
		.amdhsa_exception_fp_ieee_overflow 0
		.amdhsa_exception_fp_ieee_underflow 0
		.amdhsa_exception_fp_ieee_inexact 0
		.amdhsa_exception_int_div_zero 0
	.end_amdhsa_kernel
	.section	.text._ZL13mul_mat_vec_qIfLi256ELi8E13block_iq3_xxsLi1EXadL_ZL20vec_dot_iq3_xxs_q8_1PKvPK10block_q8_1RKiEEEvS2_S2_PT_iii,"axG",@progbits,_ZL13mul_mat_vec_qIfLi256ELi8E13block_iq3_xxsLi1EXadL_ZL20vec_dot_iq3_xxs_q8_1PKvPK10block_q8_1RKiEEEvS2_S2_PT_iii,comdat
.Lfunc_end70:
	.size	_ZL13mul_mat_vec_qIfLi256ELi8E13block_iq3_xxsLi1EXadL_ZL20vec_dot_iq3_xxs_q8_1PKvPK10block_q8_1RKiEEEvS2_S2_PT_iii, .Lfunc_end70-_ZL13mul_mat_vec_qIfLi256ELi8E13block_iq3_xxsLi1EXadL_ZL20vec_dot_iq3_xxs_q8_1PKvPK10block_q8_1RKiEEEvS2_S2_PT_iii
                                        ; -- End function
	.set _ZL13mul_mat_vec_qIfLi256ELi8E13block_iq3_xxsLi1EXadL_ZL20vec_dot_iq3_xxs_q8_1PKvPK10block_q8_1RKiEEEvS2_S2_PT_iii.num_vgpr, 62
	.set _ZL13mul_mat_vec_qIfLi256ELi8E13block_iq3_xxsLi1EXadL_ZL20vec_dot_iq3_xxs_q8_1PKvPK10block_q8_1RKiEEEvS2_S2_PT_iii.num_agpr, 0
	.set _ZL13mul_mat_vec_qIfLi256ELi8E13block_iq3_xxsLi1EXadL_ZL20vec_dot_iq3_xxs_q8_1PKvPK10block_q8_1RKiEEEvS2_S2_PT_iii.numbered_sgpr, 13
	.set _ZL13mul_mat_vec_qIfLi256ELi8E13block_iq3_xxsLi1EXadL_ZL20vec_dot_iq3_xxs_q8_1PKvPK10block_q8_1RKiEEEvS2_S2_PT_iii.num_named_barrier, 0
	.set _ZL13mul_mat_vec_qIfLi256ELi8E13block_iq3_xxsLi1EXadL_ZL20vec_dot_iq3_xxs_q8_1PKvPK10block_q8_1RKiEEEvS2_S2_PT_iii.private_seg_size, 0
	.set _ZL13mul_mat_vec_qIfLi256ELi8E13block_iq3_xxsLi1EXadL_ZL20vec_dot_iq3_xxs_q8_1PKvPK10block_q8_1RKiEEEvS2_S2_PT_iii.uses_vcc, 1
	.set _ZL13mul_mat_vec_qIfLi256ELi8E13block_iq3_xxsLi1EXadL_ZL20vec_dot_iq3_xxs_q8_1PKvPK10block_q8_1RKiEEEvS2_S2_PT_iii.uses_flat_scratch, 0
	.set _ZL13mul_mat_vec_qIfLi256ELi8E13block_iq3_xxsLi1EXadL_ZL20vec_dot_iq3_xxs_q8_1PKvPK10block_q8_1RKiEEEvS2_S2_PT_iii.has_dyn_sized_stack, 0
	.set _ZL13mul_mat_vec_qIfLi256ELi8E13block_iq3_xxsLi1EXadL_ZL20vec_dot_iq3_xxs_q8_1PKvPK10block_q8_1RKiEEEvS2_S2_PT_iii.has_recursion, 0
	.set _ZL13mul_mat_vec_qIfLi256ELi8E13block_iq3_xxsLi1EXadL_ZL20vec_dot_iq3_xxs_q8_1PKvPK10block_q8_1RKiEEEvS2_S2_PT_iii.has_indirect_call, 0
	.section	.AMDGPU.csdata,"",@progbits
; Kernel info:
; codeLenInByte = 1588
; TotalNumSgprs: 15
; NumVgprs: 62
; ScratchSize: 0
; MemoryBound: 0
; FloatMode: 240
; IeeeMode: 1
; LDSByteSize: 0 bytes/workgroup (compile time only)
; SGPRBlocks: 0
; VGPRBlocks: 7
; NumSGPRsForWavesPerEU: 15
; NumVGPRsForWavesPerEU: 62
; Occupancy: 16
; WaveLimiterHint : 0
; COMPUTE_PGM_RSRC2:SCRATCH_EN: 0
; COMPUTE_PGM_RSRC2:USER_SGPR: 6
; COMPUTE_PGM_RSRC2:TRAP_HANDLER: 0
; COMPUTE_PGM_RSRC2:TGID_X_EN: 1
; COMPUTE_PGM_RSRC2:TGID_Y_EN: 1
; COMPUTE_PGM_RSRC2:TGID_Z_EN: 0
; COMPUTE_PGM_RSRC2:TIDIG_COMP_CNT: 1
	.section	.text._ZL13mul_mat_vec_qIfLi256ELi8E11block_iq1_sLi1EXadL_ZL18vec_dot_iq1_s_q8_1PKvPK10block_q8_1RKiEEEvS2_S2_PT_iii,"axG",@progbits,_ZL13mul_mat_vec_qIfLi256ELi8E11block_iq1_sLi1EXadL_ZL18vec_dot_iq1_s_q8_1PKvPK10block_q8_1RKiEEEvS2_S2_PT_iii,comdat
	.globl	_ZL13mul_mat_vec_qIfLi256ELi8E11block_iq1_sLi1EXadL_ZL18vec_dot_iq1_s_q8_1PKvPK10block_q8_1RKiEEEvS2_S2_PT_iii ; -- Begin function _ZL13mul_mat_vec_qIfLi256ELi8E11block_iq1_sLi1EXadL_ZL18vec_dot_iq1_s_q8_1PKvPK10block_q8_1RKiEEEvS2_S2_PT_iii
	.p2align	8
	.type	_ZL13mul_mat_vec_qIfLi256ELi8E11block_iq1_sLi1EXadL_ZL18vec_dot_iq1_s_q8_1PKvPK10block_q8_1RKiEEEvS2_S2_PT_iii,@function
_ZL13mul_mat_vec_qIfLi256ELi8E11block_iq1_sLi1EXadL_ZL18vec_dot_iq1_s_q8_1PKvPK10block_q8_1RKiEEEvS2_S2_PT_iii: ; @_ZL13mul_mat_vec_qIfLi256ELi8E11block_iq1_sLi1EXadL_ZL18vec_dot_iq1_s_q8_1PKvPK10block_q8_1RKiEEEvS2_S2_PT_iii
; %bb.0:
	s_clause 0x1
	s_load_dword s8, s[4:5], 0x34
	s_load_dwordx4 s[0:3], s[4:5], 0x18
	s_waitcnt lgkmcnt(0)
	s_lshr_b32 s3, s8, 16
	s_cmp_lt_u32 s7, s2
	v_mad_u64_u32 v[1:2], null, s6, s3, v[1:2]
	s_cselect_b32 s2, -1, 0
	v_cmp_gt_u32_e32 vcc_lo, s1, v1
	s_and_b32 s2, s2, vcc_lo
	s_and_saveexec_b32 s3, s2
	s_cbranch_execz .LBB71_7
; %bb.1:
	s_load_dwordx2 s[2:3], s[4:5], 0x10
	s_ashr_i32 s6, s0, 31
	v_lshrrev_b32_e32 v4, 3, v0
	s_lshr_b32 s6, s6, 24
	v_mov_b32_e32 v5, 0
	s_add_i32 s6, s0, s6
	s_ashr_i32 s12, s6, 8
	s_mov_b32 s6, exec_lo
	v_cmpx_gt_u32_e64 s12, v4
	s_cbranch_execz .LBB71_5
; %bb.2:
	s_load_dwordx4 s[8:11], s[4:5], 0x0
	s_addk_i32 s0, 0x1ff
	v_and_b32_e32 v9, 7, v0
	s_ashr_i32 s4, s0, 31
	v_lshlrev_b32_e32 v7, 3, v4
	s_lshr_b32 s4, s4, 23
	v_mul_lo_u32 v6, v1, s12
	s_add_i32 s0, s0, s4
	v_lshlrev_b32_e32 v8, 1, v9
	s_ashr_i32 s0, s0, 9
	v_mov_b32_e32 v5, 0
	s_mul_i32 s0, s7, s0
	s_mov_b32 s4, 0xb7000000
	v_lshl_add_u32 v7, s0, 4, v7
	v_lshlrev_b32_e32 v8, 1, v8
	s_mov_b32 s0, 0
	s_waitcnt lgkmcnt(0)
	v_mad_u64_u32 v[2:3], null, v9, 36, s[10:11]
	v_lshlrev_b32_e32 v9, 1, v9
.LBB71_3:                               ; =>This Inner Loop Header: Depth=1
	v_add_nc_u32_e32 v10, v6, v4
	v_mad_i64_i32 v[18:19], null, v7, 36, v[2:3]
	s_getpc_b64 s[10:11]
	s_add_u32 s10, s10, _ZL13iq1s_grid_gpu@rel32@lo+4
	s_addc_u32 s11, s11, _ZL13iq1s_grid_gpu@rel32@hi+12
	v_add_nc_u32_e32 v4, 4, v4
	v_mad_i64_i32 v[10:11], null, v10, 50, s[8:9]
	v_add_nc_u32_e32 v7, 32, v7
	v_add_co_u32 v12, vcc_lo, v10, v8
	v_add_co_ci_u32_e64 v13, null, 0, v11, vcc_lo
	v_add_co_u32 v14, vcc_lo, v10, v9
	v_add_co_ci_u32_e64 v15, null, 0, v11, vcc_lo
	s_clause 0x2
	global_load_dword v16, v[12:13], off offset:2
	global_load_ushort v20, v[14:15], off offset:34
	global_load_ushort v21, v[10:11], off
	v_cmp_le_u32_e32 vcc_lo, s12, v4
	s_or_b32 s0, vcc_lo, s0
	s_waitcnt vmcnt(2)
	v_and_b32_e32 v10, 0xff, v16
	s_waitcnt vmcnt(1)
	v_lshlrev_b32_e32 v11, 8, v20
	v_bfe_u32 v14, v16, 8, 8
	v_lshlrev_b32_e32 v15, 5, v20
	v_lshrrev_b32_e32 v24, 24, v16
	v_lshrrev_b32_e32 v25, 1, v20
	v_and_or_b32 v10, 0x700, v11, v10
	v_and_or_b32 v14, 0x700, v15, v14
	v_bfe_u32 v15, v16, 16, 8
	v_and_or_b32 v24, 0x700, v25, v24
	v_lshlrev_b32_e32 v17, 3, v10
	global_load_dwordx4 v[10:13], v[18:19], off
	v_lshlrev_b32_e32 v14, 3, v14
	v_lshlrev_b32_e32 v24, 3, v24
	s_clause 0x1
	global_load_dword v22, v17, s[10:11]
	global_load_dword v23, v14, s[10:11]
	v_lshlrev_b32_e32 v17, 2, v20
	v_and_or_b32 v15, 0x700, v17, v15
	v_lshlrev_b32_e32 v26, 3, v15
	global_load_dwordx4 v[14:17], v[18:19], off offset:16
	s_clause 0x1
	global_load_dword v25, v26, s[10:11]
	global_load_dword v24, v24, s[10:11]
	global_load_dword v18, v[18:19], off offset:32
	v_mov_b32_e32 v19, 0
	s_waitcnt vmcnt(5)
	v_lshrrev_b32_e32 v26, 4, v22
	v_and_b32_e32 v22, 0xf0f0f0f, v22
	v_and_b32_e32 v26, 0xf0f0f0f, v26
	v_dot4c_i32_i8 v19, v22, v11
	s_waitcnt vmcnt(4)
	v_and_b32_e32 v11, 0xf0f0f0f, v23
	v_lshrrev_b32_e32 v22, 4, v23
	v_dot4c_i32_i8 v19, v26, v12
	v_and_b32_e32 v12, 0xf0f0f0f, v22
	v_dot4c_i32_i8 v19, v11, v13
	s_waitcnt vmcnt(2)
	v_and_b32_e32 v11, 0xf0f0f0f, v25
	v_lshrrev_b32_e32 v13, 4, v25
	v_dot4c_i32_i8 v19, v12, v14
	s_waitcnt vmcnt(1)
	v_lshrrev_b32_e32 v14, 4, v24
	v_and_b32_e32 v12, 0xf0f0f0f, v13
	v_and_b32_e32 v13, 0xf0f0f0f, v24
	v_dot4c_i32_i8 v19, v11, v15
	v_and_b32_e32 v11, 0x8000, v20
	v_and_b32_e32 v14, 0xf0f0f0f, v14
	v_dot4c_i32_i8 v19, v12, v16
	v_lshrrev_b32_e32 v12, 11, v20
	v_cvt_f32_u32_e32 v11, v11
	v_dot4c_i32_i8 v19, v13, v17
	v_cvt_f32_f16_sdwa v13, v10 dst_sel:DWORD dst_unused:UNUSED_PAD src0_sel:WORD_1
	v_and_or_b32 v12, v12, 14, 1
	v_fmaak_f32 v11, s4, v11, 0xbf600000
	s_waitcnt vmcnt(0)
	v_dot4c_i32_i8 v19, v14, v18
	v_cvt_f32_f16_e32 v14, v21
	v_cvt_f32_ubyte0_e32 v12, v12
	v_mul_f32_e32 v11, v11, v13
	v_cvt_f32_i32_e32 v13, v19
	v_mul_f32_e32 v12, v12, v14
	v_fma_mix_f32 v10, v13, v10, v11 op_sel_hi:[0,1,0]
	v_fmac_f32_e32 v5, v12, v10
	s_andn2_b32 exec_lo, exec_lo, s0
	s_cbranch_execnz .LBB71_3
; %bb.4:
	s_or_b32 exec_lo, exec_lo, s0
.LBB71_5:
	s_or_b32 exec_lo, exec_lo, s6
	v_mbcnt_lo_u32_b32 v2, -1, 0
	v_xor_b32_e32 v3, 16, v2
	v_xor_b32_e32 v4, 8, v2
	v_cmp_gt_i32_e32 vcc_lo, 32, v3
	v_cndmask_b32_e32 v3, v2, v3, vcc_lo
	v_cmp_gt_i32_e32 vcc_lo, 32, v4
	v_lshlrev_b32_e32 v3, 2, v3
	v_cndmask_b32_e32 v4, v2, v4, vcc_lo
	ds_bpermute_b32 v3, v3, v5
	v_lshlrev_b32_e32 v4, 2, v4
	s_waitcnt lgkmcnt(0)
	v_add_f32_e32 v3, v5, v3
	v_xor_b32_e32 v5, 4, v2
	ds_bpermute_b32 v4, v4, v3
	v_cmp_gt_i32_e32 vcc_lo, 32, v5
	v_cndmask_b32_e32 v5, v2, v5, vcc_lo
	v_lshlrev_b32_e32 v5, 2, v5
	s_waitcnt lgkmcnt(0)
	v_add_f32_e32 v3, v3, v4
	ds_bpermute_b32 v4, v5, v3
	v_xor_b32_e32 v5, 2, v2
	v_cmp_gt_i32_e32 vcc_lo, 32, v5
	v_cndmask_b32_e32 v5, v2, v5, vcc_lo
	v_lshlrev_b32_e32 v5, 2, v5
	s_waitcnt lgkmcnt(0)
	v_add_f32_e32 v3, v3, v4
	ds_bpermute_b32 v4, v5, v3
	v_xor_b32_e32 v5, 1, v2
	v_cmp_gt_i32_e32 vcc_lo, 32, v5
	v_cndmask_b32_e32 v5, v2, v5, vcc_lo
	v_cmp_eq_u32_e32 vcc_lo, 0, v0
	s_waitcnt lgkmcnt(0)
	v_add_f32_e32 v2, v3, v4
	v_lshlrev_b32_e32 v3, 2, v5
	ds_bpermute_b32 v3, v3, v2
	s_and_b32 exec_lo, exec_lo, vcc_lo
	s_cbranch_execz .LBB71_7
; %bb.6:
	v_mad_u64_u32 v[0:1], null, s1, s7, v[1:2]
	v_mov_b32_e32 v1, 0
	s_waitcnt lgkmcnt(0)
	v_add_f32_e32 v2, v2, v3
	v_lshlrev_b64 v[0:1], 2, v[0:1]
	v_add_co_u32 v0, vcc_lo, s2, v0
	v_add_co_ci_u32_e64 v1, null, s3, v1, vcc_lo
	global_store_dword v[0:1], v2, off
.LBB71_7:
	s_endpgm
	.section	.rodata,"a",@progbits
	.p2align	6, 0x0
	.amdhsa_kernel _ZL13mul_mat_vec_qIfLi256ELi8E11block_iq1_sLi1EXadL_ZL18vec_dot_iq1_s_q8_1PKvPK10block_q8_1RKiEEEvS2_S2_PT_iii
		.amdhsa_group_segment_fixed_size 0
		.amdhsa_private_segment_fixed_size 0
		.amdhsa_kernarg_size 296
		.amdhsa_user_sgpr_count 6
		.amdhsa_user_sgpr_private_segment_buffer 1
		.amdhsa_user_sgpr_dispatch_ptr 0
		.amdhsa_user_sgpr_queue_ptr 0
		.amdhsa_user_sgpr_kernarg_segment_ptr 1
		.amdhsa_user_sgpr_dispatch_id 0
		.amdhsa_user_sgpr_flat_scratch_init 0
		.amdhsa_user_sgpr_private_segment_size 0
		.amdhsa_wavefront_size32 1
		.amdhsa_uses_dynamic_stack 0
		.amdhsa_system_sgpr_private_segment_wavefront_offset 0
		.amdhsa_system_sgpr_workgroup_id_x 1
		.amdhsa_system_sgpr_workgroup_id_y 1
		.amdhsa_system_sgpr_workgroup_id_z 0
		.amdhsa_system_sgpr_workgroup_info 0
		.amdhsa_system_vgpr_workitem_id 1
		.amdhsa_next_free_vgpr 27
		.amdhsa_next_free_sgpr 13
		.amdhsa_reserve_vcc 1
		.amdhsa_reserve_flat_scratch 0
		.amdhsa_float_round_mode_32 0
		.amdhsa_float_round_mode_16_64 0
		.amdhsa_float_denorm_mode_32 3
		.amdhsa_float_denorm_mode_16_64 3
		.amdhsa_dx10_clamp 1
		.amdhsa_ieee_mode 1
		.amdhsa_fp16_overflow 0
		.amdhsa_workgroup_processor_mode 1
		.amdhsa_memory_ordered 1
		.amdhsa_forward_progress 1
		.amdhsa_shared_vgpr_count 0
		.amdhsa_exception_fp_ieee_invalid_op 0
		.amdhsa_exception_fp_denorm_src 0
		.amdhsa_exception_fp_ieee_div_zero 0
		.amdhsa_exception_fp_ieee_overflow 0
		.amdhsa_exception_fp_ieee_underflow 0
		.amdhsa_exception_fp_ieee_inexact 0
		.amdhsa_exception_int_div_zero 0
	.end_amdhsa_kernel
	.section	.text._ZL13mul_mat_vec_qIfLi256ELi8E11block_iq1_sLi1EXadL_ZL18vec_dot_iq1_s_q8_1PKvPK10block_q8_1RKiEEEvS2_S2_PT_iii,"axG",@progbits,_ZL13mul_mat_vec_qIfLi256ELi8E11block_iq1_sLi1EXadL_ZL18vec_dot_iq1_s_q8_1PKvPK10block_q8_1RKiEEEvS2_S2_PT_iii,comdat
.Lfunc_end71:
	.size	_ZL13mul_mat_vec_qIfLi256ELi8E11block_iq1_sLi1EXadL_ZL18vec_dot_iq1_s_q8_1PKvPK10block_q8_1RKiEEEvS2_S2_PT_iii, .Lfunc_end71-_ZL13mul_mat_vec_qIfLi256ELi8E11block_iq1_sLi1EXadL_ZL18vec_dot_iq1_s_q8_1PKvPK10block_q8_1RKiEEEvS2_S2_PT_iii
                                        ; -- End function
	.set _ZL13mul_mat_vec_qIfLi256ELi8E11block_iq1_sLi1EXadL_ZL18vec_dot_iq1_s_q8_1PKvPK10block_q8_1RKiEEEvS2_S2_PT_iii.num_vgpr, 27
	.set _ZL13mul_mat_vec_qIfLi256ELi8E11block_iq1_sLi1EXadL_ZL18vec_dot_iq1_s_q8_1PKvPK10block_q8_1RKiEEEvS2_S2_PT_iii.num_agpr, 0
	.set _ZL13mul_mat_vec_qIfLi256ELi8E11block_iq1_sLi1EXadL_ZL18vec_dot_iq1_s_q8_1PKvPK10block_q8_1RKiEEEvS2_S2_PT_iii.numbered_sgpr, 13
	.set _ZL13mul_mat_vec_qIfLi256ELi8E11block_iq1_sLi1EXadL_ZL18vec_dot_iq1_s_q8_1PKvPK10block_q8_1RKiEEEvS2_S2_PT_iii.num_named_barrier, 0
	.set _ZL13mul_mat_vec_qIfLi256ELi8E11block_iq1_sLi1EXadL_ZL18vec_dot_iq1_s_q8_1PKvPK10block_q8_1RKiEEEvS2_S2_PT_iii.private_seg_size, 0
	.set _ZL13mul_mat_vec_qIfLi256ELi8E11block_iq1_sLi1EXadL_ZL18vec_dot_iq1_s_q8_1PKvPK10block_q8_1RKiEEEvS2_S2_PT_iii.uses_vcc, 1
	.set _ZL13mul_mat_vec_qIfLi256ELi8E11block_iq1_sLi1EXadL_ZL18vec_dot_iq1_s_q8_1PKvPK10block_q8_1RKiEEEvS2_S2_PT_iii.uses_flat_scratch, 0
	.set _ZL13mul_mat_vec_qIfLi256ELi8E11block_iq1_sLi1EXadL_ZL18vec_dot_iq1_s_q8_1PKvPK10block_q8_1RKiEEEvS2_S2_PT_iii.has_dyn_sized_stack, 0
	.set _ZL13mul_mat_vec_qIfLi256ELi8E11block_iq1_sLi1EXadL_ZL18vec_dot_iq1_s_q8_1PKvPK10block_q8_1RKiEEEvS2_S2_PT_iii.has_recursion, 0
	.set _ZL13mul_mat_vec_qIfLi256ELi8E11block_iq1_sLi1EXadL_ZL18vec_dot_iq1_s_q8_1PKvPK10block_q8_1RKiEEEvS2_S2_PT_iii.has_indirect_call, 0
	.section	.AMDGPU.csdata,"",@progbits
; Kernel info:
; codeLenInByte = 952
; TotalNumSgprs: 15
; NumVgprs: 27
; ScratchSize: 0
; MemoryBound: 0
; FloatMode: 240
; IeeeMode: 1
; LDSByteSize: 0 bytes/workgroup (compile time only)
; SGPRBlocks: 0
; VGPRBlocks: 3
; NumSGPRsForWavesPerEU: 15
; NumVGPRsForWavesPerEU: 27
; Occupancy: 16
; WaveLimiterHint : 0
; COMPUTE_PGM_RSRC2:SCRATCH_EN: 0
; COMPUTE_PGM_RSRC2:USER_SGPR: 6
; COMPUTE_PGM_RSRC2:TRAP_HANDLER: 0
; COMPUTE_PGM_RSRC2:TGID_X_EN: 1
; COMPUTE_PGM_RSRC2:TGID_Y_EN: 1
; COMPUTE_PGM_RSRC2:TGID_Z_EN: 0
; COMPUTE_PGM_RSRC2:TIDIG_COMP_CNT: 1
	.section	.text._ZL13mul_mat_vec_qIfLi32ELi4E12block_iq4_nlLi2EXadL_ZL19vec_dot_iq4_nl_q8_1PKvPK10block_q8_1RKiEEEvS2_S2_PT_iii,"axG",@progbits,_ZL13mul_mat_vec_qIfLi32ELi4E12block_iq4_nlLi2EXadL_ZL19vec_dot_iq4_nl_q8_1PKvPK10block_q8_1RKiEEEvS2_S2_PT_iii,comdat
	.globl	_ZL13mul_mat_vec_qIfLi32ELi4E12block_iq4_nlLi2EXadL_ZL19vec_dot_iq4_nl_q8_1PKvPK10block_q8_1RKiEEEvS2_S2_PT_iii ; -- Begin function _ZL13mul_mat_vec_qIfLi32ELi4E12block_iq4_nlLi2EXadL_ZL19vec_dot_iq4_nl_q8_1PKvPK10block_q8_1RKiEEEvS2_S2_PT_iii
	.p2align	8
	.type	_ZL13mul_mat_vec_qIfLi32ELi4E12block_iq4_nlLi2EXadL_ZL19vec_dot_iq4_nl_q8_1PKvPK10block_q8_1RKiEEEvS2_S2_PT_iii,@function
_ZL13mul_mat_vec_qIfLi32ELi4E12block_iq4_nlLi2EXadL_ZL19vec_dot_iq4_nl_q8_1PKvPK10block_q8_1RKiEEEvS2_S2_PT_iii: ; @_ZL13mul_mat_vec_qIfLi32ELi4E12block_iq4_nlLi2EXadL_ZL19vec_dot_iq4_nl_q8_1PKvPK10block_q8_1RKiEEEvS2_S2_PT_iii
; %bb.0:
	s_clause 0x1
	s_load_dword s8, s[4:5], 0x34
	s_load_dwordx4 s[0:3], s[4:5], 0x18
	s_waitcnt lgkmcnt(0)
	s_lshr_b32 s3, s8, 16
	s_cmp_lt_u32 s7, s2
	v_mad_u64_u32 v[1:2], null, s6, s3, v[1:2]
	s_cselect_b32 s2, -1, 0
	v_cmp_gt_u32_e32 vcc_lo, s1, v1
	s_and_b32 s2, s2, vcc_lo
	s_and_saveexec_b32 s3, s2
	s_cbranch_execz .LBB72_7
; %bb.1:
	s_load_dwordx2 s[2:3], s[4:5], 0x10
	s_ashr_i32 s6, s0, 31
	v_lshrrev_b32_e32 v2, 1, v0
	s_lshr_b32 s6, s6, 27
	v_mov_b32_e32 v3, 0
	s_add_i32 s6, s0, s6
	s_ashr_i32 s12, s6, 5
	s_mov_b32 s6, exec_lo
	v_cmpx_gt_u32_e64 s12, v2
	s_cbranch_execz .LBB72_5
; %bb.2:
	v_lshlrev_b32_e32 v3, 1, v0
	s_load_dwordx4 s[8:11], s[4:5], 0x0
	s_addk_i32 s0, 0x1ff
	v_mul_lo_u32 v4, v1, s12
	s_ashr_i32 s4, s0, 31
	v_and_b32_e32 v6, 2, v3
	s_lshr_b32 s4, s4, 23
	v_mov_b32_e32 v3, 0
	s_add_i32 s0, s0, s4
	s_ashr_i32 s0, s0, 9
	v_lshlrev_b32_e32 v5, 1, v6
	v_lshlrev_b32_e32 v6, 2, v6
	s_mul_i32 s0, s7, s0
	s_lshl_b32 s4, s0, 4
	v_lshlrev_b32_e32 v5, 1, v5
	s_mov_b32 s0, 0
	s_getpc_b64 s[14:15]
	s_add_u32 s14, s14, _ZL13kvalues_iq4nl@rel32@lo+4
	s_addc_u32 s15, s15, _ZL13kvalues_iq4nl@rel32@hi+12
.LBB72_3:                               ; =>This Inner Loop Header: Depth=1
	v_add_nc_u32_e32 v7, v4, v2
	v_add_nc_u32_e32 v11, s4, v2
	;; [unrolled: 1-line block ×3, first 2 shown]
	s_waitcnt lgkmcnt(0)
	v_mad_i64_i32 v[7:8], null, v7, 18, s[8:9]
	v_mad_i64_i32 v[11:12], null, v11, 36, s[10:11]
	v_add_co_u32 v9, vcc_lo, v7, v5
	v_add_co_ci_u32_e64 v10, null, 0, v8, vcc_lo
	v_add_co_u32 v13, vcc_lo, v11, v6
	v_add_co_ci_u32_e64 v14, null, 0, v12, vcc_lo
	global_load_dwordx2 v[9:10], v[9:10], off offset:2
	v_cmp_le_u32_e32 vcc_lo, s12, v2
	s_or_b32 s0, vcc_lo, s0
	s_waitcnt vmcnt(0)
	v_and_b32_e32 v16, 15, v9
	v_bfe_u32 v17, v9, 8, 4
	v_bfe_u32 v18, v9, 16, 4
	;; [unrolled: 1-line block ×5, first 2 shown]
	v_lshrrev_b32_e32 v21, 28, v9
	v_bfe_u32 v9, v9, 4, 4
	v_bfe_u32 v22, v10, 24, 4
	v_and_b32_e32 v23, 15, v10
	v_bfe_u32 v24, v10, 8, 4
	v_bfe_u32 v25, v10, 16, 4
	;; [unrolled: 1-line block ×4, first 2 shown]
	v_lshrrev_b32_e32 v28, 28, v10
	v_bfe_u32 v10, v10, 4, 4
	s_clause 0xf
	global_load_ubyte v16, v16, s[14:15]
	global_load_ubyte v17, v17, s[14:15]
	;; [unrolled: 1-line block ×16, first 2 shown]
	s_clause 0x1
	global_load_dwordx2 v[9:10], v[13:14], off offset:4
	global_load_dwordx2 v[13:14], v[13:14], off offset:20
	global_load_ushort v7, v[7:8], off
	global_load_dword v8, v[11:12], off
	v_mov_b32_e32 v11, 0
	v_mov_b32_e32 v12, 0
	s_waitcnt vmcnt(18)
	v_lshl_or_b32 v16, v17, 8, v16
	s_waitcnt vmcnt(17)
	v_lshlrev_b32_e32 v18, 16, v18
	s_waitcnt vmcnt(15)
	v_lshl_or_b32 v19, v19, 8, v29
	s_waitcnt vmcnt(14)
	v_lshlrev_b32_e32 v20, 16, v20
	s_waitcnt vmcnt(13)
	v_lshlrev_b32_e32 v17, 24, v21
	;; [unrolled: 2-line block ×3, first 2 shown]
	v_or3_b32 v15, v16, v18, v15
	s_waitcnt vmcnt(6)
	v_lshlrev_b32_e32 v21, 24, v22
	v_lshlrev_b32_e32 v22, 16, v25
	s_waitcnt vmcnt(5)
	v_lshl_or_b32 v23, v24, 8, v23
	v_lshlrev_b32_e32 v24, 24, v28
	v_lshlrev_b32_e32 v25, 16, v27
	s_waitcnt vmcnt(4)
	v_lshl_or_b32 v26, v26, 8, v30
	v_or3_b32 v16, v19, v20, v17
	v_or3_b32 v17, v23, v22, v21
	s_waitcnt vmcnt(3)
	v_dot4c_i32_i8 v11, v15, v9
	s_waitcnt vmcnt(1)
	v_cvt_f32_f16_e32 v7, v7
	v_or3_b32 v18, v26, v25, v24
	v_dot4c_i32_i8 v12, v16, v13
	s_waitcnt vmcnt(0)
	v_cvt_f32_f16_e32 v8, v8
	v_dot4c_i32_i8 v11, v17, v10
	v_dot4c_i32_i8 v12, v18, v14
	v_mul_f32_e32 v7, v7, v8
	v_add_nc_u32_e32 v9, v12, v11
	v_cvt_f32_i32_e32 v8, v9
	v_fmac_f32_e32 v3, v7, v8
	s_andn2_b32 exec_lo, exec_lo, s0
	s_cbranch_execnz .LBB72_3
; %bb.4:
	s_or_b32 exec_lo, exec_lo, s0
.LBB72_5:
	s_or_b32 exec_lo, exec_lo, s6
	v_mbcnt_lo_u32_b32 v2, -1, 0
	v_xor_b32_e32 v4, 16, v2
	v_xor_b32_e32 v5, 8, v2
	v_cmp_gt_i32_e32 vcc_lo, 32, v4
	v_cndmask_b32_e32 v4, v2, v4, vcc_lo
	v_cmp_gt_i32_e32 vcc_lo, 32, v5
	v_lshlrev_b32_e32 v4, 2, v4
	v_cndmask_b32_e32 v5, v2, v5, vcc_lo
	ds_bpermute_b32 v4, v4, v3
	v_lshlrev_b32_e32 v5, 2, v5
	s_waitcnt lgkmcnt(0)
	v_add_f32_e32 v3, v3, v4
	ds_bpermute_b32 v4, v5, v3
	v_xor_b32_e32 v5, 4, v2
	v_cmp_gt_i32_e32 vcc_lo, 32, v5
	v_cndmask_b32_e32 v5, v2, v5, vcc_lo
	v_lshlrev_b32_e32 v5, 2, v5
	s_waitcnt lgkmcnt(0)
	v_add_f32_e32 v3, v3, v4
	ds_bpermute_b32 v4, v5, v3
	v_xor_b32_e32 v5, 2, v2
	v_cmp_gt_i32_e32 vcc_lo, 32, v5
	v_cndmask_b32_e32 v5, v2, v5, vcc_lo
	;; [unrolled: 7-line block ×3, first 2 shown]
	v_cmp_eq_u32_e32 vcc_lo, 0, v0
	s_waitcnt lgkmcnt(0)
	v_add_f32_e32 v2, v3, v4
	v_lshlrev_b32_e32 v3, 2, v5
	ds_bpermute_b32 v3, v3, v2
	s_and_b32 exec_lo, exec_lo, vcc_lo
	s_cbranch_execz .LBB72_7
; %bb.6:
	v_mad_u64_u32 v[0:1], null, s1, s7, v[1:2]
	v_mov_b32_e32 v1, 0
	s_waitcnt lgkmcnt(0)
	v_add_f32_e32 v2, v2, v3
	v_lshlrev_b64 v[0:1], 2, v[0:1]
	v_add_co_u32 v0, vcc_lo, s2, v0
	v_add_co_ci_u32_e64 v1, null, s3, v1, vcc_lo
	global_store_dword v[0:1], v2, off
.LBB72_7:
	s_endpgm
	.section	.rodata,"a",@progbits
	.p2align	6, 0x0
	.amdhsa_kernel _ZL13mul_mat_vec_qIfLi32ELi4E12block_iq4_nlLi2EXadL_ZL19vec_dot_iq4_nl_q8_1PKvPK10block_q8_1RKiEEEvS2_S2_PT_iii
		.amdhsa_group_segment_fixed_size 0
		.amdhsa_private_segment_fixed_size 0
		.amdhsa_kernarg_size 296
		.amdhsa_user_sgpr_count 6
		.amdhsa_user_sgpr_private_segment_buffer 1
		.amdhsa_user_sgpr_dispatch_ptr 0
		.amdhsa_user_sgpr_queue_ptr 0
		.amdhsa_user_sgpr_kernarg_segment_ptr 1
		.amdhsa_user_sgpr_dispatch_id 0
		.amdhsa_user_sgpr_flat_scratch_init 0
		.amdhsa_user_sgpr_private_segment_size 0
		.amdhsa_wavefront_size32 1
		.amdhsa_uses_dynamic_stack 0
		.amdhsa_system_sgpr_private_segment_wavefront_offset 0
		.amdhsa_system_sgpr_workgroup_id_x 1
		.amdhsa_system_sgpr_workgroup_id_y 1
		.amdhsa_system_sgpr_workgroup_id_z 0
		.amdhsa_system_sgpr_workgroup_info 0
		.amdhsa_system_vgpr_workitem_id 1
		.amdhsa_next_free_vgpr 31
		.amdhsa_next_free_sgpr 16
		.amdhsa_reserve_vcc 1
		.amdhsa_reserve_flat_scratch 0
		.amdhsa_float_round_mode_32 0
		.amdhsa_float_round_mode_16_64 0
		.amdhsa_float_denorm_mode_32 3
		.amdhsa_float_denorm_mode_16_64 3
		.amdhsa_dx10_clamp 1
		.amdhsa_ieee_mode 1
		.amdhsa_fp16_overflow 0
		.amdhsa_workgroup_processor_mode 1
		.amdhsa_memory_ordered 1
		.amdhsa_forward_progress 1
		.amdhsa_shared_vgpr_count 0
		.amdhsa_exception_fp_ieee_invalid_op 0
		.amdhsa_exception_fp_denorm_src 0
		.amdhsa_exception_fp_ieee_div_zero 0
		.amdhsa_exception_fp_ieee_overflow 0
		.amdhsa_exception_fp_ieee_underflow 0
		.amdhsa_exception_fp_ieee_inexact 0
		.amdhsa_exception_int_div_zero 0
	.end_amdhsa_kernel
	.section	.text._ZL13mul_mat_vec_qIfLi32ELi4E12block_iq4_nlLi2EXadL_ZL19vec_dot_iq4_nl_q8_1PKvPK10block_q8_1RKiEEEvS2_S2_PT_iii,"axG",@progbits,_ZL13mul_mat_vec_qIfLi32ELi4E12block_iq4_nlLi2EXadL_ZL19vec_dot_iq4_nl_q8_1PKvPK10block_q8_1RKiEEEvS2_S2_PT_iii,comdat
.Lfunc_end72:
	.size	_ZL13mul_mat_vec_qIfLi32ELi4E12block_iq4_nlLi2EXadL_ZL19vec_dot_iq4_nl_q8_1PKvPK10block_q8_1RKiEEEvS2_S2_PT_iii, .Lfunc_end72-_ZL13mul_mat_vec_qIfLi32ELi4E12block_iq4_nlLi2EXadL_ZL19vec_dot_iq4_nl_q8_1PKvPK10block_q8_1RKiEEEvS2_S2_PT_iii
                                        ; -- End function
	.set _ZL13mul_mat_vec_qIfLi32ELi4E12block_iq4_nlLi2EXadL_ZL19vec_dot_iq4_nl_q8_1PKvPK10block_q8_1RKiEEEvS2_S2_PT_iii.num_vgpr, 31
	.set _ZL13mul_mat_vec_qIfLi32ELi4E12block_iq4_nlLi2EXadL_ZL19vec_dot_iq4_nl_q8_1PKvPK10block_q8_1RKiEEEvS2_S2_PT_iii.num_agpr, 0
	.set _ZL13mul_mat_vec_qIfLi32ELi4E12block_iq4_nlLi2EXadL_ZL19vec_dot_iq4_nl_q8_1PKvPK10block_q8_1RKiEEEvS2_S2_PT_iii.numbered_sgpr, 16
	.set _ZL13mul_mat_vec_qIfLi32ELi4E12block_iq4_nlLi2EXadL_ZL19vec_dot_iq4_nl_q8_1PKvPK10block_q8_1RKiEEEvS2_S2_PT_iii.num_named_barrier, 0
	.set _ZL13mul_mat_vec_qIfLi32ELi4E12block_iq4_nlLi2EXadL_ZL19vec_dot_iq4_nl_q8_1PKvPK10block_q8_1RKiEEEvS2_S2_PT_iii.private_seg_size, 0
	.set _ZL13mul_mat_vec_qIfLi32ELi4E12block_iq4_nlLi2EXadL_ZL19vec_dot_iq4_nl_q8_1PKvPK10block_q8_1RKiEEEvS2_S2_PT_iii.uses_vcc, 1
	.set _ZL13mul_mat_vec_qIfLi32ELi4E12block_iq4_nlLi2EXadL_ZL19vec_dot_iq4_nl_q8_1PKvPK10block_q8_1RKiEEEvS2_S2_PT_iii.uses_flat_scratch, 0
	.set _ZL13mul_mat_vec_qIfLi32ELi4E12block_iq4_nlLi2EXadL_ZL19vec_dot_iq4_nl_q8_1PKvPK10block_q8_1RKiEEEvS2_S2_PT_iii.has_dyn_sized_stack, 0
	.set _ZL13mul_mat_vec_qIfLi32ELi4E12block_iq4_nlLi2EXadL_ZL19vec_dot_iq4_nl_q8_1PKvPK10block_q8_1RKiEEEvS2_S2_PT_iii.has_recursion, 0
	.set _ZL13mul_mat_vec_qIfLi32ELi4E12block_iq4_nlLi2EXadL_ZL19vec_dot_iq4_nl_q8_1PKvPK10block_q8_1RKiEEEvS2_S2_PT_iii.has_indirect_call, 0
	.section	.AMDGPU.csdata,"",@progbits
; Kernel info:
; codeLenInByte = 1000
; TotalNumSgprs: 18
; NumVgprs: 31
; ScratchSize: 0
; MemoryBound: 0
; FloatMode: 240
; IeeeMode: 1
; LDSByteSize: 0 bytes/workgroup (compile time only)
; SGPRBlocks: 0
; VGPRBlocks: 3
; NumSGPRsForWavesPerEU: 18
; NumVGPRsForWavesPerEU: 31
; Occupancy: 16
; WaveLimiterHint : 0
; COMPUTE_PGM_RSRC2:SCRATCH_EN: 0
; COMPUTE_PGM_RSRC2:USER_SGPR: 6
; COMPUTE_PGM_RSRC2:TRAP_HANDLER: 0
; COMPUTE_PGM_RSRC2:TGID_X_EN: 1
; COMPUTE_PGM_RSRC2:TGID_Y_EN: 1
; COMPUTE_PGM_RSRC2:TGID_Z_EN: 0
; COMPUTE_PGM_RSRC2:TIDIG_COMP_CNT: 1
	.section	.text._ZL13mul_mat_vec_qIfLi256ELi8E11block_iq3_sLi1EXadL_ZL18vec_dot_iq3_s_q8_1PKvPK10block_q8_1RKiEEEvS2_S2_PT_iii,"axG",@progbits,_ZL13mul_mat_vec_qIfLi256ELi8E11block_iq3_sLi1EXadL_ZL18vec_dot_iq3_s_q8_1PKvPK10block_q8_1RKiEEEvS2_S2_PT_iii,comdat
	.globl	_ZL13mul_mat_vec_qIfLi256ELi8E11block_iq3_sLi1EXadL_ZL18vec_dot_iq3_s_q8_1PKvPK10block_q8_1RKiEEEvS2_S2_PT_iii ; -- Begin function _ZL13mul_mat_vec_qIfLi256ELi8E11block_iq3_sLi1EXadL_ZL18vec_dot_iq3_s_q8_1PKvPK10block_q8_1RKiEEEvS2_S2_PT_iii
	.p2align	8
	.type	_ZL13mul_mat_vec_qIfLi256ELi8E11block_iq3_sLi1EXadL_ZL18vec_dot_iq3_s_q8_1PKvPK10block_q8_1RKiEEEvS2_S2_PT_iii,@function
_ZL13mul_mat_vec_qIfLi256ELi8E11block_iq3_sLi1EXadL_ZL18vec_dot_iq3_s_q8_1PKvPK10block_q8_1RKiEEEvS2_S2_PT_iii: ; @_ZL13mul_mat_vec_qIfLi256ELi8E11block_iq3_sLi1EXadL_ZL18vec_dot_iq3_s_q8_1PKvPK10block_q8_1RKiEEEvS2_S2_PT_iii
; %bb.0:
	s_clause 0x1
	s_load_dword s8, s[4:5], 0x34
	s_load_dwordx4 s[0:3], s[4:5], 0x18
	s_waitcnt lgkmcnt(0)
	s_lshr_b32 s3, s8, 16
	s_cmp_lt_u32 s7, s2
	v_mad_u64_u32 v[1:2], null, s6, s3, v[1:2]
	s_cselect_b32 s2, -1, 0
	v_cmp_gt_u32_e32 vcc_lo, s1, v1
	s_and_b32 s2, s2, vcc_lo
	s_and_saveexec_b32 s3, s2
	s_cbranch_execz .LBB73_9
; %bb.1:
	s_load_dwordx2 s[2:3], s[4:5], 0x10
	s_ashr_i32 s6, s0, 31
	v_lshrrev_b32_e32 v19, 3, v0
	s_lshr_b32 s6, s6, 24
	v_mov_b32_e32 v18, 0
	s_add_i32 s6, s0, s6
	s_ashr_i32 s12, s6, 8
	s_mov_b32 s6, exec_lo
	v_cmpx_gt_u32_e64 s12, v19
	s_cbranch_execz .LBB73_7
; %bb.2:
	s_load_dwordx4 s[8:11], s[4:5], 0x0
	v_and_b32_e32 v21, 7, v0
	s_addk_i32 s0, 0x1ff
	v_mul_lo_u32 v20, v1, s12
	s_ashr_i32 s4, s0, 31
	v_lshlrev_b32_e32 v2, 2, v0
	v_lshlrev_b32_e32 v3, 2, v21
	;; [unrolled: 1-line block ×3, first 2 shown]
	s_lshr_b32 s4, s4, 23
	v_mov_b32_e32 v18, 0
	s_add_i32 s0, s0, s4
	v_and_b32_e32 v23, 4, v2
	s_ashr_i32 s0, s0, 9
	v_bfe_u32 v22, v0, 1, 2
	v_add_nc_u32_e32 v24, v19, v20
	v_mov_b32_e32 v25, 0xffff
	s_mul_i32 s0, s7, s0
	s_waitcnt lgkmcnt(0)
	v_add_co_u32 v4, s4, s8, v3
	v_add_co_ci_u32_e64 v5, null, s9, 0, s4
	v_add_co_u32 v6, s4, s8, v6
	v_add_co_ci_u32_e64 v7, null, s9, 0, s4
	v_add_co_u32 v4, vcc_lo, 0x4a, v4
	v_mad_u64_u32 v[2:3], null, v21, 36, s[10:11]
	v_add_co_ci_u32_e64 v5, null, 0, v5, vcc_lo
	v_add_co_u32 v6, vcc_lo, v6, 2
	v_add_co_ci_u32_e64 v7, null, 0, v7, vcc_lo
	s_lshl_b32 s4, s0, 4
	s_mov_b32 s0, 0
.LBB73_3:                               ; =>This Loop Header: Depth=1
                                        ;     Child Loop BB73_4 Depth 2
	v_add_nc_u32_e32 v8, v19, v20
	v_mad_i64_i32 v[12:13], null, 0x6e, v24, v[4:5]
	v_mad_i64_i32 v[14:15], null, 0x6e, v24, v[6:7]
	;; [unrolled: 1-line block ×3, first 2 shown]
	v_mov_b32_e32 v26, 0
	s_mov_b32 s5, 7
	v_add_co_u32 v10, vcc_lo, v8, v21
	v_add_co_ci_u32_e64 v11, null, 0, v9, vcc_lo
	global_load_ubyte v27, v[10:11], off offset:66
	v_lshl_add_u32 v10, v19, 3, s4
	v_mad_i64_i32 v[10:11], null, v10, 36, v[2:3]
	v_add_co_u32 v16, vcc_lo, v10, 4
	v_add_co_ci_u32_e64 v17, null, 0, v11, vcc_lo
.LBB73_4:                               ;   Parent Loop BB73_3 Depth=1
                                        ; =>  This Inner Loop Header: Depth=2
	global_load_ushort v28, v[14:15], off
	global_load_ubyte v30, v[12:13], off
	s_add_i32 s13, s5, 1
	s_waitcnt vmcnt(2)
	v_lshlrev_b32_e32 v29, s5, v27
	v_lshlrev_b32_e32 v31, s13, v27
	s_getpc_b64 s[10:11]
	s_add_u32 s10, s10, _ZL10iq3xs_grid@rel32@lo+4
	s_addc_u32 s11, s11, _ZL10iq3xs_grid@rel32@hi+12
	s_add_i32 s5, s5, -2
	s_cmp_lg_u32 s5, -1
	s_waitcnt vmcnt(1)
	v_and_b32_e32 v32, 0xff, v28
	v_and_b32_sdwa v28, v25, v28 dst_sel:DWORD dst_unused:UNUSED_PAD src0_sel:DWORD src1_sel:BYTE_1
	s_waitcnt vmcnt(0)
	v_and_b32_e32 v33, 15, v30
	v_lshrrev_b16 v30, 4, v30
	v_and_or_b32 v31, 0x100, v31, v32
	v_and_or_b32 v28, 0x100, v29, v28
	v_and_b32_e32 v33, 0xffff, v33
	v_and_b32_e32 v30, 0xffff, v30
	v_lshlrev_b32_e32 v29, 2, v31
	v_lshlrev_b32_e32 v28, 2, v28
	v_mul_lo_u32 v33, 0x1010101, v33
	v_mul_lo_u32 v30, 0x1010101, v30
	s_clause 0x1
	global_load_dword v31, v29, s[10:11]
	global_load_dword v32, v28, s[10:11]
	global_load_dwordx2 v[28:29], v[16:17], off
	v_add_co_u32 v16, vcc_lo, v16, 8
	v_add_co_ci_u32_e64 v17, null, 0, v17, vcc_lo
	v_not_b32_e32 v33, v33
	v_not_b32_e32 v30, v30
	v_and_b32_e32 v34, 0x8040201, v33
	v_and_b32_e32 v35, 0x40000, v33
	;; [unrolled: 1-line block ×5, first 2 shown]
	v_cmp_gt_u32_e32 vcc_lo, 0x1000000, v34
	v_and_b32_e32 v38, 0x40000, v30
	v_and_b32_e32 v39, 0x200, v30
	;; [unrolled: 1-line block ×3, first 2 shown]
	v_cndmask_b32_e64 v34, 0, -1, vcc_lo
	v_cmp_eq_u32_e32 vcc_lo, 0, v35
	v_lshlrev_b32_e32 v34, 24, v34
	v_cndmask_b32_e64 v35, 0, 0xff0000, vcc_lo
	v_cmp_eq_u32_e32 vcc_lo, 0, v36
	v_cndmask_b32_e64 v36, 0, 0xff00, vcc_lo
	v_cmp_eq_u32_e32 vcc_lo, 0, v33
	v_cndmask_b32_e64 v33, 0, 0xff, vcc_lo
	v_cmp_gt_u32_e32 vcc_lo, 0x1000000, v37
	v_or_b32_e32 v40, v36, v33
	v_cndmask_b32_e64 v37, 0, -1, vcc_lo
	v_cmp_eq_u32_e32 vcc_lo, 0, v38
	v_or3_b32 v40, v40, v35, v34
	v_lshlrev_b32_e32 v37, 24, v37
	v_cndmask_b32_e64 v38, 0, 0xff0000, vcc_lo
	v_cmp_eq_u32_e32 vcc_lo, 0, v39
	v_cndmask_b32_e64 v39, 0, 0xff00, vcc_lo
	v_cmp_eq_u32_e32 vcc_lo, 0, v30
	v_cndmask_b32_e64 v30, 0, 0xff, vcc_lo
	v_add_co_u32 v12, vcc_lo, v12, 1
	v_add_co_ci_u32_e64 v13, null, 0, v13, vcc_lo
	v_or_b32_e32 v41, v39, v30
	v_add_co_u32 v14, vcc_lo, v14, 2
	v_add_co_ci_u32_e64 v15, null, 0, v15, vcc_lo
	v_or3_b32 v41, v41, v38, v37
	s_waitcnt vmcnt(2)
	v_xor_b32_e32 v31, v40, v31
	s_waitcnt vmcnt(1)
	v_xor_b32_e32 v32, v41, v32
	v_sub_nc_u32_e32 v34, v31, v34
	v_sub_nc_u32_e32 v35, v31, v35
	;; [unrolled: 1-line block ×8, first 2 shown]
	v_and_b32_e32 v32, 0xff000000, v34
	v_and_b32_e32 v34, 0xff00, v36
	v_perm_b32 v31, v35, v31, 0xc060c00
	v_and_b32_e32 v33, 0xff000000, v33
	v_and_b32_e32 v35, 0xff00, v38
	v_perm_b32 v30, v37, v30, 0xc060c00
	v_or3_b32 v31, v31, v32, v34
	v_or3_b32 v30, v30, v33, v35
	s_waitcnt vmcnt(0)
	v_dot4c_i32_i8 v26, v31, v28
	v_dot4c_i32_i8 v26, v30, v29
	s_cbranch_scc1 .LBB73_4
; %bb.5:                                ;   in Loop: Header=BB73_3 Depth=1
	v_add_co_u32 v12, vcc_lo, v8, v22
	v_add_co_ci_u32_e64 v13, null, 0, v9, vcc_lo
	v_add_nc_u32_e32 v19, 4, v19
	v_add_nc_u32_e32 v24, 4, v24
	s_clause 0x1
	global_load_ubyte v12, v[12:13], off offset:106
	global_load_ushort v8, v[8:9], off
	global_load_dword v9, v[10:11], off
	v_cmp_le_u32_e32 vcc_lo, s12, v19
	s_or_b32 s0, vcc_lo, s0
	s_waitcnt vmcnt(2)
	v_bfe_u32 v10, v12, v23, 4
	s_waitcnt vmcnt(1)
	v_cvt_f32_f16_e32 v8, v8
	s_waitcnt vmcnt(0)
	v_cvt_f32_f16_e32 v9, v9
	v_cvt_f32_ubyte0_e32 v10, v10
	v_add_f32_e32 v10, 0.5, v10
	v_mul_f32_e32 v8, v10, v8
	v_mul_f32_e32 v8, v8, v9
	v_cvt_f32_i32_e32 v9, v26
	v_mul_f32_e32 v8, 0.5, v8
	v_fmac_f32_e32 v18, v8, v9
	s_andn2_b32 exec_lo, exec_lo, s0
	s_cbranch_execnz .LBB73_3
; %bb.6:
	s_or_b32 exec_lo, exec_lo, s0
.LBB73_7:
	s_or_b32 exec_lo, exec_lo, s6
	v_mbcnt_lo_u32_b32 v2, -1, 0
	v_xor_b32_e32 v3, 16, v2
	v_xor_b32_e32 v4, 8, v2
	;; [unrolled: 1-line block ×3, first 2 shown]
	v_cmp_gt_i32_e32 vcc_lo, 32, v3
	v_cndmask_b32_e32 v3, v2, v3, vcc_lo
	v_cmp_gt_i32_e32 vcc_lo, 32, v4
	v_lshlrev_b32_e32 v3, 2, v3
	v_cndmask_b32_e32 v4, v2, v4, vcc_lo
	v_cmp_gt_i32_e32 vcc_lo, 32, v5
	ds_bpermute_b32 v3, v3, v18
	v_lshlrev_b32_e32 v4, 2, v4
	v_cndmask_b32_e32 v5, v2, v5, vcc_lo
	v_lshlrev_b32_e32 v5, 2, v5
	s_waitcnt lgkmcnt(0)
	v_add_f32_e32 v3, v18, v3
	ds_bpermute_b32 v4, v4, v3
	s_waitcnt lgkmcnt(0)
	v_add_f32_e32 v3, v3, v4
	ds_bpermute_b32 v4, v5, v3
	v_xor_b32_e32 v5, 2, v2
	v_cmp_gt_i32_e32 vcc_lo, 32, v5
	v_cndmask_b32_e32 v5, v2, v5, vcc_lo
	v_lshlrev_b32_e32 v5, 2, v5
	s_waitcnt lgkmcnt(0)
	v_add_f32_e32 v3, v3, v4
	ds_bpermute_b32 v4, v5, v3
	v_xor_b32_e32 v5, 1, v2
	v_cmp_gt_i32_e32 vcc_lo, 32, v5
	v_cndmask_b32_e32 v5, v2, v5, vcc_lo
	v_cmp_eq_u32_e32 vcc_lo, 0, v0
	s_waitcnt lgkmcnt(0)
	v_add_f32_e32 v2, v3, v4
	v_lshlrev_b32_e32 v3, 2, v5
	ds_bpermute_b32 v3, v3, v2
	s_and_b32 exec_lo, exec_lo, vcc_lo
	s_cbranch_execz .LBB73_9
; %bb.8:
	v_mad_u64_u32 v[0:1], null, s1, s7, v[1:2]
	v_mov_b32_e32 v1, 0
	s_waitcnt lgkmcnt(0)
	v_add_f32_e32 v2, v2, v3
	v_lshlrev_b64 v[0:1], 2, v[0:1]
	v_add_co_u32 v0, vcc_lo, s2, v0
	v_add_co_ci_u32_e64 v1, null, s3, v1, vcc_lo
	global_store_dword v[0:1], v2, off
.LBB73_9:
	s_endpgm
	.section	.rodata,"a",@progbits
	.p2align	6, 0x0
	.amdhsa_kernel _ZL13mul_mat_vec_qIfLi256ELi8E11block_iq3_sLi1EXadL_ZL18vec_dot_iq3_s_q8_1PKvPK10block_q8_1RKiEEEvS2_S2_PT_iii
		.amdhsa_group_segment_fixed_size 0
		.amdhsa_private_segment_fixed_size 0
		.amdhsa_kernarg_size 296
		.amdhsa_user_sgpr_count 6
		.amdhsa_user_sgpr_private_segment_buffer 1
		.amdhsa_user_sgpr_dispatch_ptr 0
		.amdhsa_user_sgpr_queue_ptr 0
		.amdhsa_user_sgpr_kernarg_segment_ptr 1
		.amdhsa_user_sgpr_dispatch_id 0
		.amdhsa_user_sgpr_flat_scratch_init 0
		.amdhsa_user_sgpr_private_segment_size 0
		.amdhsa_wavefront_size32 1
		.amdhsa_uses_dynamic_stack 0
		.amdhsa_system_sgpr_private_segment_wavefront_offset 0
		.amdhsa_system_sgpr_workgroup_id_x 1
		.amdhsa_system_sgpr_workgroup_id_y 1
		.amdhsa_system_sgpr_workgroup_id_z 0
		.amdhsa_system_sgpr_workgroup_info 0
		.amdhsa_system_vgpr_workitem_id 1
		.amdhsa_next_free_vgpr 42
		.amdhsa_next_free_sgpr 14
		.amdhsa_reserve_vcc 1
		.amdhsa_reserve_flat_scratch 0
		.amdhsa_float_round_mode_32 0
		.amdhsa_float_round_mode_16_64 0
		.amdhsa_float_denorm_mode_32 3
		.amdhsa_float_denorm_mode_16_64 3
		.amdhsa_dx10_clamp 1
		.amdhsa_ieee_mode 1
		.amdhsa_fp16_overflow 0
		.amdhsa_workgroup_processor_mode 1
		.amdhsa_memory_ordered 1
		.amdhsa_forward_progress 1
		.amdhsa_shared_vgpr_count 0
		.amdhsa_exception_fp_ieee_invalid_op 0
		.amdhsa_exception_fp_denorm_src 0
		.amdhsa_exception_fp_ieee_div_zero 0
		.amdhsa_exception_fp_ieee_overflow 0
		.amdhsa_exception_fp_ieee_underflow 0
		.amdhsa_exception_fp_ieee_inexact 0
		.amdhsa_exception_int_div_zero 0
	.end_amdhsa_kernel
	.section	.text._ZL13mul_mat_vec_qIfLi256ELi8E11block_iq3_sLi1EXadL_ZL18vec_dot_iq3_s_q8_1PKvPK10block_q8_1RKiEEEvS2_S2_PT_iii,"axG",@progbits,_ZL13mul_mat_vec_qIfLi256ELi8E11block_iq3_sLi1EXadL_ZL18vec_dot_iq3_s_q8_1PKvPK10block_q8_1RKiEEEvS2_S2_PT_iii,comdat
.Lfunc_end73:
	.size	_ZL13mul_mat_vec_qIfLi256ELi8E11block_iq3_sLi1EXadL_ZL18vec_dot_iq3_s_q8_1PKvPK10block_q8_1RKiEEEvS2_S2_PT_iii, .Lfunc_end73-_ZL13mul_mat_vec_qIfLi256ELi8E11block_iq3_sLi1EXadL_ZL18vec_dot_iq3_s_q8_1PKvPK10block_q8_1RKiEEEvS2_S2_PT_iii
                                        ; -- End function
	.set _ZL13mul_mat_vec_qIfLi256ELi8E11block_iq3_sLi1EXadL_ZL18vec_dot_iq3_s_q8_1PKvPK10block_q8_1RKiEEEvS2_S2_PT_iii.num_vgpr, 42
	.set _ZL13mul_mat_vec_qIfLi256ELi8E11block_iq3_sLi1EXadL_ZL18vec_dot_iq3_s_q8_1PKvPK10block_q8_1RKiEEEvS2_S2_PT_iii.num_agpr, 0
	.set _ZL13mul_mat_vec_qIfLi256ELi8E11block_iq3_sLi1EXadL_ZL18vec_dot_iq3_s_q8_1PKvPK10block_q8_1RKiEEEvS2_S2_PT_iii.numbered_sgpr, 14
	.set _ZL13mul_mat_vec_qIfLi256ELi8E11block_iq3_sLi1EXadL_ZL18vec_dot_iq3_s_q8_1PKvPK10block_q8_1RKiEEEvS2_S2_PT_iii.num_named_barrier, 0
	.set _ZL13mul_mat_vec_qIfLi256ELi8E11block_iq3_sLi1EXadL_ZL18vec_dot_iq3_s_q8_1PKvPK10block_q8_1RKiEEEvS2_S2_PT_iii.private_seg_size, 0
	.set _ZL13mul_mat_vec_qIfLi256ELi8E11block_iq3_sLi1EXadL_ZL18vec_dot_iq3_s_q8_1PKvPK10block_q8_1RKiEEEvS2_S2_PT_iii.uses_vcc, 1
	.set _ZL13mul_mat_vec_qIfLi256ELi8E11block_iq3_sLi1EXadL_ZL18vec_dot_iq3_s_q8_1PKvPK10block_q8_1RKiEEEvS2_S2_PT_iii.uses_flat_scratch, 0
	.set _ZL13mul_mat_vec_qIfLi256ELi8E11block_iq3_sLi1EXadL_ZL18vec_dot_iq3_s_q8_1PKvPK10block_q8_1RKiEEEvS2_S2_PT_iii.has_dyn_sized_stack, 0
	.set _ZL13mul_mat_vec_qIfLi256ELi8E11block_iq3_sLi1EXadL_ZL18vec_dot_iq3_s_q8_1PKvPK10block_q8_1RKiEEEvS2_S2_PT_iii.has_recursion, 0
	.set _ZL13mul_mat_vec_qIfLi256ELi8E11block_iq3_sLi1EXadL_ZL18vec_dot_iq3_s_q8_1PKvPK10block_q8_1RKiEEEvS2_S2_PT_iii.has_indirect_call, 0
	.section	.AMDGPU.csdata,"",@progbits
; Kernel info:
; codeLenInByte = 1348
; TotalNumSgprs: 16
; NumVgprs: 42
; ScratchSize: 0
; MemoryBound: 0
; FloatMode: 240
; IeeeMode: 1
; LDSByteSize: 0 bytes/workgroup (compile time only)
; SGPRBlocks: 0
; VGPRBlocks: 5
; NumSGPRsForWavesPerEU: 16
; NumVGPRsForWavesPerEU: 42
; Occupancy: 16
; WaveLimiterHint : 0
; COMPUTE_PGM_RSRC2:SCRATCH_EN: 0
; COMPUTE_PGM_RSRC2:USER_SGPR: 6
; COMPUTE_PGM_RSRC2:TRAP_HANDLER: 0
; COMPUTE_PGM_RSRC2:TGID_X_EN: 1
; COMPUTE_PGM_RSRC2:TGID_Y_EN: 1
; COMPUTE_PGM_RSRC2:TGID_Z_EN: 0
; COMPUTE_PGM_RSRC2:TIDIG_COMP_CNT: 1
	.section	.text._ZL13mul_mat_vec_qIfLi256ELi8E11block_iq2_sLi1EXadL_ZL18vec_dot_iq2_s_q8_1PKvPK10block_q8_1RKiEEEvS2_S2_PT_iii,"axG",@progbits,_ZL13mul_mat_vec_qIfLi256ELi8E11block_iq2_sLi1EXadL_ZL18vec_dot_iq2_s_q8_1PKvPK10block_q8_1RKiEEEvS2_S2_PT_iii,comdat
	.globl	_ZL13mul_mat_vec_qIfLi256ELi8E11block_iq2_sLi1EXadL_ZL18vec_dot_iq2_s_q8_1PKvPK10block_q8_1RKiEEEvS2_S2_PT_iii ; -- Begin function _ZL13mul_mat_vec_qIfLi256ELi8E11block_iq2_sLi1EXadL_ZL18vec_dot_iq2_s_q8_1PKvPK10block_q8_1RKiEEEvS2_S2_PT_iii
	.p2align	8
	.type	_ZL13mul_mat_vec_qIfLi256ELi8E11block_iq2_sLi1EXadL_ZL18vec_dot_iq2_s_q8_1PKvPK10block_q8_1RKiEEEvS2_S2_PT_iii,@function
_ZL13mul_mat_vec_qIfLi256ELi8E11block_iq2_sLi1EXadL_ZL18vec_dot_iq2_s_q8_1PKvPK10block_q8_1RKiEEEvS2_S2_PT_iii: ; @_ZL13mul_mat_vec_qIfLi256ELi8E11block_iq2_sLi1EXadL_ZL18vec_dot_iq2_s_q8_1PKvPK10block_q8_1RKiEEEvS2_S2_PT_iii
; %bb.0:
	s_clause 0x1
	s_load_dword s8, s[4:5], 0x34
	s_load_dwordx4 s[0:3], s[4:5], 0x18
	s_waitcnt lgkmcnt(0)
	s_lshr_b32 s3, s8, 16
	s_cmp_lt_u32 s7, s2
	v_mad_u64_u32 v[5:6], null, s6, s3, v[1:2]
	s_cselect_b32 s2, -1, 0
	v_cmp_gt_u32_e32 vcc_lo, s1, v5
	s_and_b32 s2, s2, vcc_lo
	s_and_saveexec_b32 s3, s2
	s_cbranch_execz .LBB74_7
; %bb.1:
	s_load_dwordx2 s[2:3], s[4:5], 0x10
	s_ashr_i32 s6, s0, 31
	v_lshrrev_b32_e32 v12, 3, v0
	s_lshr_b32 s6, s6, 24
	v_mov_b32_e32 v13, 0
	s_add_i32 s6, s0, s6
	s_ashr_i32 s12, s6, 8
	s_mov_b32 s6, exec_lo
	v_cmpx_gt_u32_e64 s12, v12
	s_cbranch_execz .LBB74_5
; %bb.2:
	s_load_dwordx4 s[8:11], s[4:5], 0x0
	s_addk_i32 s0, 0x1ff
	v_and_b32_e32 v14, 7, v0
	s_ashr_i32 s4, s0, 31
	v_lshlrev_b32_e32 v1, 3, v12
	s_lshr_b32 s4, s4, 23
	v_mul_lo_u32 v15, v5, s12
	s_add_i32 s0, s0, s4
	v_mov_b32_e32 v13, 0
	s_ashr_i32 s0, s0, 9
	v_lshlrev_b32_e32 v16, 2, v14
	s_mul_i32 s0, s7, s0
	s_getpc_b64 s[4:5]
	s_add_u32 s4, s4, _ZL9iq2s_grid@rel32@lo+4
	s_addc_u32 s5, s5, _ZL9iq2s_grid@rel32@hi+12
	v_lshl_add_u32 v17, s0, 4, v1
	s_waitcnt lgkmcnt(0)
	v_mad_u64_u32 v[6:7], null, v14, 36, s[10:11]
	s_mov_b32 s10, 0
.LBB74_3:                               ; =>This Inner Loop Header: Depth=1
	v_add_nc_u32_e32 v1, v15, v12
	v_mad_i64_i32 v[10:11], null, v17, 36, v[6:7]
	v_add_nc_u32_e32 v12, 4, v12
	v_add_nc_u32_e32 v17, 32, v17
	v_mad_i64_i32 v[8:9], null, 0x52, v1, s[8:9]
	s_clause 0x1
	global_load_dwordx4 v[1:4], v[10:11], off
	global_load_dword v18, v[10:11], off offset:32
	v_add_co_u32 v19, vcc_lo, v8, v16
	v_add_co_ci_u32_e64 v20, null, 0, v9, vcc_lo
	v_add_co_u32 v21, vcc_lo, v8, v14
	v_add_co_ci_u32_e64 v22, null, 0, v9, vcc_lo
	s_clause 0x3
	global_load_dword v23, v[19:20], off offset:2
	global_load_ubyte v24, v[21:22], off offset:66
	global_load_dword v20, v[19:20], off offset:34
	global_load_ubyte v19, v[21:22], off offset:74
	s_waitcnt vmcnt(5)
	v_cvt_f32_f16_e32 v1, v1
	s_waitcnt vmcnt(3)
	v_and_b32_e32 v22, 0xff, v23
	s_waitcnt vmcnt(2)
	v_lshlrev_b32_e32 v25, 8, v24
	s_waitcnt vmcnt(1)
	v_and_b32_e32 v28, 15, v20
	v_lshrrev_b16 v29, 4, v20
	v_bfe_u32 v30, v23, 8, 8
	v_lshlrev_b32_e32 v31, 6, v24
	v_lshrrev_b32_e32 v21, 24, v23
	v_lshrrev_b32_e32 v26, 8, v20
	;; [unrolled: 1-line block ×3, first 2 shown]
	v_bfe_u32 v32, v20, 8, 4
	v_bfe_u32 v23, v23, 16, 8
	v_lshlrev_b32_e32 v33, 4, v24
	v_bfe_u32 v34, v20, 16, 4
	v_bfe_u32 v35, v20, 20, 4
	;; [unrolled: 1-line block ×3, first 2 shown]
	v_lshlrev_b32_e32 v24, 2, v24
	v_and_or_b32 v22, 0x300, v25, v22
	v_mul_lo_u32 v25, 0x1010101, v28
	v_and_b32_e32 v28, 15, v29
	v_and_or_b32 v29, 0x300, v31, v30
	v_lshrrev_b16 v26, 4, v26
	v_and_or_b32 v23, 0x300, v33, v23
	v_mul_lo_u32 v20, 0x1010101, v20
	v_and_or_b32 v21, 0x300, v24, v21
	v_lshrrev_b16 v24, 4, v27
	v_lshlrev_b32_e32 v22, 3, v22
	v_lshlrev_b32_e32 v27, 3, v29
	v_and_b32_e32 v29, 15, v26
	v_lshlrev_b32_e32 v26, 3, v23
	v_lshlrev_b32_e32 v33, 3, v21
	v_mul_lo_u32 v30, 0x1010101, v32
	v_mul_lo_u32 v31, 0x1010101, v34
	;; [unrolled: 1-line block ×3, first 2 shown]
	v_and_b32_e32 v34, 0xffff, v24
	v_not_b32_e32 v35, v25
	v_not_b32_e32 v36, v20
	s_clause 0x3
	global_load_dwordx2 v[20:21], v22, s[4:5]
	global_load_dwordx2 v[22:23], v27, s[4:5]
	;; [unrolled: 1-line block ×4, first 2 shown]
	v_and_b32_e32 v28, 0xffff, v28
	v_mul_lo_u32 v33, 0x1010101, v34
	v_and_b32_e32 v34, 0x8040201, v35
	v_and_b32_e32 v37, 0x40000, v35
	;; [unrolled: 1-line block ×3, first 2 shown]
	v_not_b32_e32 v30, v30
	v_and_b32_e32 v35, 1, v35
	v_cmp_gt_u32_e32 vcc_lo, 0x1000000, v34
	v_not_b32_e32 v31, v31
	v_not_b32_e32 v32, v32
	v_and_b32_e32 v39, 0x8040201, v30
	v_and_b32_e32 v40, 0x40000, v30
	v_cndmask_b32_e64 v34, 0, -1, vcc_lo
	v_cmp_eq_u32_e32 vcc_lo, 0, v37
	v_and_b32_e32 v41, 0x200, v30
	v_and_b32_e32 v30, 1, v30
	v_and_b32_e32 v42, 0x8040201, v31
	v_and_b32_e32 v43, 0x40000, v31
	v_cndmask_b32_e64 v37, 0, 0xff0000, vcc_lo
	v_cmp_eq_u32_e32 vcc_lo, 0, v38
	v_and_b32_e32 v44, 0x200, v31
	v_and_b32_e32 v31, 1, v31
	v_and_b32_e32 v45, 0x8040201, v32
	v_and_b32_e32 v46, 0x40000, v32
	v_cndmask_b32_e64 v38, 0, 0xff00, vcc_lo
	;; [unrolled: 6-line block ×3, first 2 shown]
	v_cmp_gt_u32_e32 vcc_lo, 0x1000000, v39
	v_mul_lo_u32 v28, 0x1010101, v28
	v_and_b32_e32 v50, 0x200, v36
	v_and_b32_e32 v36, 1, v36
	;; [unrolled: 1-line block ×3, first 2 shown]
	v_cndmask_b32_e64 v39, 0, -1, vcc_lo
	v_cmp_eq_u32_e32 vcc_lo, 0, v40
	v_lshlrev_b32_e32 v34, 24, v34
	v_or_b32_e32 v51, v38, v35
	v_not_b32_e32 v28, v28
	v_mul_lo_u32 v29, 0x1010101, v29
	v_cndmask_b32_e64 v40, 0, 0xff0000, vcc_lo
	v_cmp_eq_u32_e32 vcc_lo, 0, v41
	v_not_b32_e32 v33, v33
	v_and_b32_e32 v52, 0x8040201, v28
	v_and_b32_e32 v53, 0x40000, v28
	;; [unrolled: 1-line block ×3, first 2 shown]
	v_cndmask_b32_e64 v41, 0, 0xff00, vcc_lo
	v_cmp_eq_u32_e32 vcc_lo, 0, v30
	v_not_b32_e32 v29, v29
	v_and_b32_e32 v28, 1, v28
	v_lshlrev_b32_e32 v39, 24, v39
	v_or3_b32 v51, v51, v37, v34
	v_cndmask_b32_e64 v30, 0, 0xff, vcc_lo
	v_cmp_gt_u32_e32 vcc_lo, 0x1000000, v42
	v_and_b32_e32 v60, 0x8040201, v29
	v_and_b32_e32 v61, 0x200, v29
	;; [unrolled: 1-line block ×4, first 2 shown]
	v_cndmask_b32_e64 v42, 0, -1, vcc_lo
	v_cmp_eq_u32_e32 vcc_lo, 0, v43
	v_cmp_gt_u32_e64 s0, 0x1000000, v60
	v_or_b32_e32 v55, v41, v30
	v_and_b32_e32 v58, 0x40000, v33
	v_lshlrev_b32_e32 v42, 24, v42
	v_cndmask_b32_e64 v43, 0, 0xff0000, vcc_lo
	v_cmp_eq_u32_e32 vcc_lo, 0, v44
	v_cndmask_b32_e64 v60, 0, -1, s0
	v_cmp_eq_u32_e64 s0, 0, v61
	v_or3_b32 v55, v55, v40, v39
	v_cndmask_b32_e64 v44, 0, 0xff00, vcc_lo
	v_cmp_eq_u32_e32 vcc_lo, 0, v31
	v_cndmask_b32_e64 v61, 0, 0xff00, s0
	v_cmp_eq_u32_e64 s0, 0, v29
	v_lshlrev_b32_e32 v60, 24, v60
	v_cndmask_b32_e64 v31, 0, 0xff, vcc_lo
	v_cmp_gt_u32_e32 vcc_lo, 0x1000000, v45
	v_cndmask_b32_e64 v29, 0, 0xff, s0
	v_or_b32_e32 v56, v44, v31
	v_cndmask_b32_e64 v45, 0, -1, vcc_lo
	v_cmp_eq_u32_e32 vcc_lo, 0, v46
	v_lshlrev_b32_e32 v45, 24, v45
	v_cndmask_b32_e64 v46, 0, 0xff0000, vcc_lo
	v_cmp_eq_u32_e32 vcc_lo, 0, v47
	v_cndmask_b32_e64 v47, 0, 0xff00, vcc_lo
	v_cmp_eq_u32_e32 vcc_lo, 0, v32
	v_cndmask_b32_e64 v32, 0, 0xff, vcc_lo
	v_cmp_gt_u32_e32 vcc_lo, 0x1000000, v48
	v_or_b32_e32 v57, v47, v32
	v_cndmask_b32_e64 v48, 0, -1, vcc_lo
	v_cmp_eq_u32_e32 vcc_lo, 0, v49
	v_lshlrev_b32_e32 v48, 24, v48
	v_cndmask_b32_e64 v49, 0, 0xff0000, vcc_lo
	v_cmp_eq_u32_e32 vcc_lo, 0, v50
	v_cndmask_b32_e64 v50, 0, 0xff00, vcc_lo
	v_cmp_eq_u32_e32 vcc_lo, 0, v36
	v_cndmask_b32_e64 v36, 0, 0xff, vcc_lo
	v_cmp_gt_u32_e32 vcc_lo, 0x1000000, v52
	v_cndmask_b32_e64 v52, 0, -1, vcc_lo
	v_cmp_eq_u32_e32 vcc_lo, 0, v53
	v_lshlrev_b32_e32 v52, 24, v52
	v_cndmask_b32_e64 v53, 0, 0xff0000, vcc_lo
	v_cmp_eq_u32_e32 vcc_lo, 0, v54
	v_cndmask_b32_e64 v54, 0, 0xff00, vcc_lo
	v_cmp_eq_u32_e32 vcc_lo, 0, v28
	;; [unrolled: 2-line block ×3, first 2 shown]
	v_or_b32_e32 v59, v54, v28
	v_cndmask_b32_e64 v62, 0, 0xff0000, vcc_lo
	v_cmp_eq_u32_e32 vcc_lo, 0, v58
	v_or3_b32 v59, v59, v53, v52
	s_waitcnt vmcnt(3)
	v_xor_b32_e32 v51, v51, v20
	v_xor_b32_e32 v59, v59, v21
	v_or_b32_e32 v20, v61, v29
	v_and_b32_e32 v21, 0x8040201, v33
	s_waitcnt vmcnt(2)
	v_xor_b32_e32 v55, v55, v22
	v_and_b32_e32 v22, 0x200, v33
	v_sub_nc_u32_e32 v35, v51, v35
	v_or3_b32 v20, v20, v62, v60
	v_cmp_gt_u32_e64 s0, 0x1000000, v21
	v_sub_nc_u32_e32 v40, v55, v40
	v_sub_nc_u32_e32 v30, v55, v30
	;; [unrolled: 1-line block ×3, first 2 shown]
	v_xor_b32_e32 v63, v20, v23
	v_and_b32_e32 v23, 1, v33
	v_cndmask_b32_e64 v21, 0, -1, s0
	v_cmp_eq_u32_e64 s0, 0, v22
	v_or3_b32 v33, v56, v43, v42
	v_or3_b32 v56, v57, v46, v45
	v_or_b32_e32 v20, v50, v36
	v_perm_b32 v30, v40, v30, 0xc060c00
	v_cndmask_b32_e64 v57, 0, 0xff00, s0
	v_cmp_eq_u32_e64 s0, 0, v23
	s_waitcnt vmcnt(1)
	v_xor_b32_e32 v24, v33, v24
	v_xor_b32_e32 v25, v56, v25
	v_cndmask_b32_e64 v33, 0, 0xff0000, vcc_lo
	v_lshlrev_b32_e32 v56, 24, v21
	v_cndmask_b32_e64 v58, 0, 0xff, s0
	v_or3_b32 v20, v20, v49, v48
	v_sub_nc_u32_e32 v42, v24, v42
	v_sub_nc_u32_e32 v43, v24, v43
	;; [unrolled: 1-line block ×3, first 2 shown]
	v_or_b32_e32 v21, v57, v58
	s_waitcnt vmcnt(0)
	v_xor_b32_e32 v26, v20, v26
	v_sub_nc_u32_e32 v24, v24, v31
	v_sub_nc_u32_e32 v31, v25, v45
	;; [unrolled: 1-line block ×3, first 2 shown]
	v_or3_b32 v21, v21, v33, v56
	v_sub_nc_u32_e32 v46, v25, v47
	v_sub_nc_u32_e32 v25, v25, v32
	v_and_b32_e32 v40, 0xff000000, v42
	v_and_b32_e32 v42, 0xff00, v44
	v_xor_b32_e32 v27, v21, v27
	global_load_dwordx4 v[20:23], v[10:11], off offset:16
	global_load_ushort v8, v[8:9], off
	v_sub_nc_u32_e32 v10, v51, v34
	v_sub_nc_u32_e32 v11, v51, v37
	;; [unrolled: 1-line block ×3, first 2 shown]
	v_perm_b32 v24, v43, v24, 0xc060c00
	v_mov_b32_e32 v9, 0
	v_sub_nc_u32_e32 v38, v59, v52
	v_sub_nc_u32_e32 v51, v59, v53
	;; [unrolled: 1-line block ×11, first 2 shown]
	v_and_b32_e32 v10, 0xff000000, v10
	v_perm_b32 v11, v11, v35, 0xc060c00
	v_and_b32_e32 v31, 0xff000000, v31
	v_and_b32_e32 v43, 0xff00, v46
	v_perm_b32 v25, v45, v25, 0xc060c00
	v_and_b32_e32 v34, 0xff00, v34
	v_or3_b32 v24, v24, v40, v42
	v_mov_b32_e32 v37, 0
	v_sub_nc_u32_e32 v39, v55, v39
	v_sub_nc_u32_e32 v41, v55, v41
	v_and_b32_e32 v35, 0xff000000, v38
	v_perm_b32 v28, v51, v28, 0xc060c00
	v_and_b32_e32 v32, 0xff000000, v32
	v_and_b32_e32 v44, 0xff00, v48
	v_perm_b32 v26, v47, v26, 0xc060c00
	v_perm_b32 v27, v33, v27, 0xc060c00
	v_and_b32_e32 v33, 0xff00, v52
	v_or3_b32 v25, v25, v31, v43
	v_or3_b32 v10, v11, v10, v34
	v_sub_nc_u32_e32 v54, v63, v60
	v_sub_nc_u32_e32 v55, v63, v62
	;; [unrolled: 1-line block ×4, first 2 shown]
	v_and_b32_e32 v38, 0xff000000, v39
	v_and_b32_e32 v36, 0xff000000, v36
	;; [unrolled: 1-line block ×4, first 2 shown]
	v_dot4c_i32_i8 v37, v10, v2
	v_lshrrev_b16 v53, 4, v19
	v_and_b32_e32 v39, 0xff000000, v54
	v_perm_b32 v29, v55, v29, 0xc060c00
	v_and_b32_e32 v2, 0xff00, v59
	v_or3_b32 v10, v27, v36, v45
	v_or3_b32 v11, v30, v38, v11
	v_cmp_le_u32_e32 vcc_lo, s12, v12
	v_or3_b32 v2, v29, v39, v2
	s_or_b32 s10, vcc_lo, s10
	s_waitcnt vmcnt(1)
	v_dot4c_i32_i8 v9, v24, v21
	v_or3_b32 v21, v26, v32, v44
	v_or3_b32 v24, v28, v35, v33
	v_dot4c_i32_i8 v9, v25, v22
	v_dot4c_i32_i8 v37, v24, v3
	v_and_b32_e32 v3, 15, v19
	v_cvt_f32_ubyte0_e32 v19, v53
	v_dot4c_i32_i8 v9, v21, v23
	v_dot4c_i32_i8 v37, v11, v4
	s_waitcnt vmcnt(0)
	v_cvt_f32_f16_e32 v4, v8
	v_cvt_f32_ubyte0_e32 v3, v3
	v_dot4c_i32_i8 v9, v10, v18
	v_add_f32_e32 v8, 0.5, v19
	v_dot4c_i32_i8 v37, v2, v20
	v_mul_f32_e32 v1, v4, v1
	v_add_f32_e32 v3, 0.5, v3
	v_cvt_f32_i32_e32 v2, v9
	v_cvt_f32_i32_e32 v4, v37
	v_mul_f32_e32 v1, 0x3e800000, v1
	v_mul_f32_e32 v2, v8, v2
	v_fmac_f32_e32 v2, v3, v4
	v_fmac_f32_e32 v13, v1, v2
	s_andn2_b32 exec_lo, exec_lo, s10
	s_cbranch_execnz .LBB74_3
; %bb.4:
	s_or_b32 exec_lo, exec_lo, s10
.LBB74_5:
	s_or_b32 exec_lo, exec_lo, s6
	v_mbcnt_lo_u32_b32 v1, -1, 0
	v_xor_b32_e32 v2, 16, v1
	v_xor_b32_e32 v3, 8, v1
	;; [unrolled: 1-line block ×3, first 2 shown]
	v_cmp_gt_i32_e32 vcc_lo, 32, v2
	v_cndmask_b32_e32 v2, v1, v2, vcc_lo
	v_cmp_gt_i32_e32 vcc_lo, 32, v3
	v_lshlrev_b32_e32 v2, 2, v2
	v_cndmask_b32_e32 v3, v1, v3, vcc_lo
	v_cmp_gt_i32_e32 vcc_lo, 32, v4
	ds_bpermute_b32 v2, v2, v13
	v_lshlrev_b32_e32 v3, 2, v3
	v_cndmask_b32_e32 v4, v1, v4, vcc_lo
	v_lshlrev_b32_e32 v4, 2, v4
	s_waitcnt lgkmcnt(0)
	v_add_f32_e32 v2, v13, v2
	ds_bpermute_b32 v3, v3, v2
	s_waitcnt lgkmcnt(0)
	v_add_f32_e32 v2, v2, v3
	ds_bpermute_b32 v3, v4, v2
	v_xor_b32_e32 v4, 2, v1
	v_cmp_gt_i32_e32 vcc_lo, 32, v4
	v_cndmask_b32_e32 v4, v1, v4, vcc_lo
	v_lshlrev_b32_e32 v4, 2, v4
	s_waitcnt lgkmcnt(0)
	v_add_f32_e32 v2, v2, v3
	ds_bpermute_b32 v3, v4, v2
	v_xor_b32_e32 v4, 1, v1
	v_cmp_gt_i32_e32 vcc_lo, 32, v4
	v_cndmask_b32_e32 v4, v1, v4, vcc_lo
	v_cmp_eq_u32_e32 vcc_lo, 0, v0
	s_waitcnt lgkmcnt(0)
	v_add_f32_e32 v1, v2, v3
	v_lshlrev_b32_e32 v2, 2, v4
	ds_bpermute_b32 v2, v2, v1
	s_and_b32 exec_lo, exec_lo, vcc_lo
	s_cbranch_execz .LBB74_7
; %bb.6:
	v_mad_u64_u32 v[3:4], null, s1, s7, v[5:6]
	v_mov_b32_e32 v4, 0
	s_waitcnt lgkmcnt(0)
	v_add_f32_e32 v2, v1, v2
	v_lshlrev_b64 v[3:4], 2, v[3:4]
	v_add_co_u32 v0, vcc_lo, s2, v3
	v_add_co_ci_u32_e64 v1, null, s3, v4, vcc_lo
	global_store_dword v[0:1], v2, off
.LBB74_7:
	s_endpgm
	.section	.rodata,"a",@progbits
	.p2align	6, 0x0
	.amdhsa_kernel _ZL13mul_mat_vec_qIfLi256ELi8E11block_iq2_sLi1EXadL_ZL18vec_dot_iq2_s_q8_1PKvPK10block_q8_1RKiEEEvS2_S2_PT_iii
		.amdhsa_group_segment_fixed_size 0
		.amdhsa_private_segment_fixed_size 0
		.amdhsa_kernarg_size 296
		.amdhsa_user_sgpr_count 6
		.amdhsa_user_sgpr_private_segment_buffer 1
		.amdhsa_user_sgpr_dispatch_ptr 0
		.amdhsa_user_sgpr_queue_ptr 0
		.amdhsa_user_sgpr_kernarg_segment_ptr 1
		.amdhsa_user_sgpr_dispatch_id 0
		.amdhsa_user_sgpr_flat_scratch_init 0
		.amdhsa_user_sgpr_private_segment_size 0
		.amdhsa_wavefront_size32 1
		.amdhsa_uses_dynamic_stack 0
		.amdhsa_system_sgpr_private_segment_wavefront_offset 0
		.amdhsa_system_sgpr_workgroup_id_x 1
		.amdhsa_system_sgpr_workgroup_id_y 1
		.amdhsa_system_sgpr_workgroup_id_z 0
		.amdhsa_system_sgpr_workgroup_info 0
		.amdhsa_system_vgpr_workitem_id 1
		.amdhsa_next_free_vgpr 64
		.amdhsa_next_free_sgpr 13
		.amdhsa_reserve_vcc 1
		.amdhsa_reserve_flat_scratch 0
		.amdhsa_float_round_mode_32 0
		.amdhsa_float_round_mode_16_64 0
		.amdhsa_float_denorm_mode_32 3
		.amdhsa_float_denorm_mode_16_64 3
		.amdhsa_dx10_clamp 1
		.amdhsa_ieee_mode 1
		.amdhsa_fp16_overflow 0
		.amdhsa_workgroup_processor_mode 1
		.amdhsa_memory_ordered 1
		.amdhsa_forward_progress 1
		.amdhsa_shared_vgpr_count 0
		.amdhsa_exception_fp_ieee_invalid_op 0
		.amdhsa_exception_fp_denorm_src 0
		.amdhsa_exception_fp_ieee_div_zero 0
		.amdhsa_exception_fp_ieee_overflow 0
		.amdhsa_exception_fp_ieee_underflow 0
		.amdhsa_exception_fp_ieee_inexact 0
		.amdhsa_exception_int_div_zero 0
	.end_amdhsa_kernel
	.section	.text._ZL13mul_mat_vec_qIfLi256ELi8E11block_iq2_sLi1EXadL_ZL18vec_dot_iq2_s_q8_1PKvPK10block_q8_1RKiEEEvS2_S2_PT_iii,"axG",@progbits,_ZL13mul_mat_vec_qIfLi256ELi8E11block_iq2_sLi1EXadL_ZL18vec_dot_iq2_s_q8_1PKvPK10block_q8_1RKiEEEvS2_S2_PT_iii,comdat
.Lfunc_end74:
	.size	_ZL13mul_mat_vec_qIfLi256ELi8E11block_iq2_sLi1EXadL_ZL18vec_dot_iq2_s_q8_1PKvPK10block_q8_1RKiEEEvS2_S2_PT_iii, .Lfunc_end74-_ZL13mul_mat_vec_qIfLi256ELi8E11block_iq2_sLi1EXadL_ZL18vec_dot_iq2_s_q8_1PKvPK10block_q8_1RKiEEEvS2_S2_PT_iii
                                        ; -- End function
	.set _ZL13mul_mat_vec_qIfLi256ELi8E11block_iq2_sLi1EXadL_ZL18vec_dot_iq2_s_q8_1PKvPK10block_q8_1RKiEEEvS2_S2_PT_iii.num_vgpr, 64
	.set _ZL13mul_mat_vec_qIfLi256ELi8E11block_iq2_sLi1EXadL_ZL18vec_dot_iq2_s_q8_1PKvPK10block_q8_1RKiEEEvS2_S2_PT_iii.num_agpr, 0
	.set _ZL13mul_mat_vec_qIfLi256ELi8E11block_iq2_sLi1EXadL_ZL18vec_dot_iq2_s_q8_1PKvPK10block_q8_1RKiEEEvS2_S2_PT_iii.numbered_sgpr, 13
	.set _ZL13mul_mat_vec_qIfLi256ELi8E11block_iq2_sLi1EXadL_ZL18vec_dot_iq2_s_q8_1PKvPK10block_q8_1RKiEEEvS2_S2_PT_iii.num_named_barrier, 0
	.set _ZL13mul_mat_vec_qIfLi256ELi8E11block_iq2_sLi1EXadL_ZL18vec_dot_iq2_s_q8_1PKvPK10block_q8_1RKiEEEvS2_S2_PT_iii.private_seg_size, 0
	.set _ZL13mul_mat_vec_qIfLi256ELi8E11block_iq2_sLi1EXadL_ZL18vec_dot_iq2_s_q8_1PKvPK10block_q8_1RKiEEEvS2_S2_PT_iii.uses_vcc, 1
	.set _ZL13mul_mat_vec_qIfLi256ELi8E11block_iq2_sLi1EXadL_ZL18vec_dot_iq2_s_q8_1PKvPK10block_q8_1RKiEEEvS2_S2_PT_iii.uses_flat_scratch, 0
	.set _ZL13mul_mat_vec_qIfLi256ELi8E11block_iq2_sLi1EXadL_ZL18vec_dot_iq2_s_q8_1PKvPK10block_q8_1RKiEEEvS2_S2_PT_iii.has_dyn_sized_stack, 0
	.set _ZL13mul_mat_vec_qIfLi256ELi8E11block_iq2_sLi1EXadL_ZL18vec_dot_iq2_s_q8_1PKvPK10block_q8_1RKiEEEvS2_S2_PT_iii.has_recursion, 0
	.set _ZL13mul_mat_vec_qIfLi256ELi8E11block_iq2_sLi1EXadL_ZL18vec_dot_iq2_s_q8_1PKvPK10block_q8_1RKiEEEvS2_S2_PT_iii.has_indirect_call, 0
	.section	.AMDGPU.csdata,"",@progbits
; Kernel info:
; codeLenInByte = 2452
; TotalNumSgprs: 15
; NumVgprs: 64
; ScratchSize: 0
; MemoryBound: 0
; FloatMode: 240
; IeeeMode: 1
; LDSByteSize: 0 bytes/workgroup (compile time only)
; SGPRBlocks: 0
; VGPRBlocks: 7
; NumSGPRsForWavesPerEU: 15
; NumVGPRsForWavesPerEU: 64
; Occupancy: 16
; WaveLimiterHint : 0
; COMPUTE_PGM_RSRC2:SCRATCH_EN: 0
; COMPUTE_PGM_RSRC2:USER_SGPR: 6
; COMPUTE_PGM_RSRC2:TRAP_HANDLER: 0
; COMPUTE_PGM_RSRC2:TGID_X_EN: 1
; COMPUTE_PGM_RSRC2:TGID_Y_EN: 1
; COMPUTE_PGM_RSRC2:TGID_Z_EN: 0
; COMPUTE_PGM_RSRC2:TIDIG_COMP_CNT: 1
	.section	.text._ZL13mul_mat_vec_qIfLi256ELi8E12block_iq4_xsLi1EXadL_ZL19vec_dot_iq4_xs_q8_1PKvPK10block_q8_1RKiEEEvS2_S2_PT_iii,"axG",@progbits,_ZL13mul_mat_vec_qIfLi256ELi8E12block_iq4_xsLi1EXadL_ZL19vec_dot_iq4_xs_q8_1PKvPK10block_q8_1RKiEEEvS2_S2_PT_iii,comdat
	.globl	_ZL13mul_mat_vec_qIfLi256ELi8E12block_iq4_xsLi1EXadL_ZL19vec_dot_iq4_xs_q8_1PKvPK10block_q8_1RKiEEEvS2_S2_PT_iii ; -- Begin function _ZL13mul_mat_vec_qIfLi256ELi8E12block_iq4_xsLi1EXadL_ZL19vec_dot_iq4_xs_q8_1PKvPK10block_q8_1RKiEEEvS2_S2_PT_iii
	.p2align	8
	.type	_ZL13mul_mat_vec_qIfLi256ELi8E12block_iq4_xsLi1EXadL_ZL19vec_dot_iq4_xs_q8_1PKvPK10block_q8_1RKiEEEvS2_S2_PT_iii,@function
_ZL13mul_mat_vec_qIfLi256ELi8E12block_iq4_xsLi1EXadL_ZL19vec_dot_iq4_xs_q8_1PKvPK10block_q8_1RKiEEEvS2_S2_PT_iii: ; @_ZL13mul_mat_vec_qIfLi256ELi8E12block_iq4_xsLi1EXadL_ZL19vec_dot_iq4_xs_q8_1PKvPK10block_q8_1RKiEEEvS2_S2_PT_iii
; %bb.0:
	s_clause 0x1
	s_load_dword s8, s[4:5], 0x34
	s_load_dwordx4 s[0:3], s[4:5], 0x18
	s_waitcnt lgkmcnt(0)
	s_lshr_b32 s3, s8, 16
	s_cmp_lt_u32 s7, s2
	v_mad_u64_u32 v[1:2], null, s6, s3, v[1:2]
	s_cselect_b32 s2, -1, 0
	v_cmp_gt_u32_e32 vcc_lo, s1, v1
	s_and_b32 s2, s2, vcc_lo
	s_and_saveexec_b32 s3, s2
	s_cbranch_execz .LBB75_7
; %bb.1:
	s_load_dwordx2 s[2:3], s[4:5], 0x10
	s_ashr_i32 s6, s0, 31
	v_lshrrev_b32_e32 v5, 3, v0
	s_lshr_b32 s6, s6, 24
	v_mov_b32_e32 v4, 0
	s_add_i32 s6, s0, s6
	s_ashr_i32 s12, s6, 8
	s_mov_b32 s6, exec_lo
	v_cmpx_gt_u32_e64 s12, v5
	s_cbranch_execz .LBB75_5
; %bb.2:
	s_load_dwordx4 s[8:11], s[4:5], 0x0
	s_addk_i32 s0, 0x1ff
	v_and_b32_e32 v9, 7, v0
	s_ashr_i32 s4, s0, 31
	v_lshlrev_b32_e32 v8, 2, v0
	s_lshr_b32 s4, s4, 23
	v_lshlrev_b32_e32 v10, 3, v5
	s_add_i32 s0, s0, s4
	v_lshlrev_b32_e32 v11, 2, v9
	s_ashr_i32 s0, s0, 9
	v_mul_lo_u32 v6, v1, s12
	s_mul_i32 s0, s7, s0
	v_mov_b32_e32 v4, 0
	v_bfe_u32 v7, v0, 1, 2
	v_and_b32_e32 v8, 4, v8
	v_lshl_add_u32 v10, s0, 4, v10
	v_lshlrev_b32_e32 v11, 2, v11
	s_mov_b32 s0, 0
	s_getpc_b64 s[4:5]
	s_add_u32 s4, s4, _ZL13kvalues_iq4nl@rel32@lo+4
	s_addc_u32 s5, s5, _ZL13kvalues_iq4nl@rel32@hi+12
	s_waitcnt lgkmcnt(0)
	v_mad_u64_u32 v[2:3], null, v9, 36, s[10:11]
	v_lshlrev_b32_e32 v9, 1, v9
.LBB75_3:                               ; =>This Inner Loop Header: Depth=1
	v_add_nc_u32_e32 v12, v6, v5
	v_mad_i64_i32 v[26:27], null, v10, 36, v[2:3]
	v_mov_b32_e32 v56, 0
	v_add_nc_u32_e32 v5, 4, v5
	v_mad_i64_i32 v[24:25], null, 0x88, v12, s[8:9]
	v_add_nc_u32_e32 v10, 32, v10
	v_add_co_u32 v12, vcc_lo, v24, v11
	v_add_co_ci_u32_e64 v13, null, 0, v25, vcc_lo
	v_add_co_u32 v16, vcc_lo, v24, v7
	v_add_co_ci_u32_e64 v17, null, 0, v25, vcc_lo
	s_clause 0x1
	global_load_dwordx4 v[12:15], v[12:13], off offset:8
	global_load_ubyte v28, v[16:17], off offset:4
	s_clause 0x1
	global_load_dwordx4 v[16:19], v[26:27], off
	global_load_dwordx4 v[20:23], v[26:27], off offset:16
	global_load_dword v24, v[24:25], off
	v_cmp_le_u32_e32 vcc_lo, s12, v5
	s_or_b32 s0, vcc_lo, s0
	s_waitcnt vmcnt(4)
	v_and_b32_e32 v29, 15, v12
	v_bfe_u32 v30, v12, 8, 4
	v_bfe_u32 v31, v12, 16, 4
	;; [unrolled: 1-line block ×5, first 2 shown]
	v_lshrrev_b32_e32 v33, 28, v12
	v_bfe_u32 v12, v12, 12, 4
	v_bfe_u32 v35, v13, 24, 4
	v_and_b32_e32 v36, 15, v13
	v_bfe_u32 v37, v13, 8, 4
	v_bfe_u32 v38, v13, 16, 4
	v_bfe_u32 v39, v13, 20, 4
	v_lshrrev_b32_e32 v40, 28, v13
	v_bfe_u32 v41, v13, 4, 4
	v_bfe_u32 v13, v13, 12, 4
	v_bfe_u32 v42, v14, 24, 4
	v_and_b32_e32 v43, 15, v14
	v_bfe_u32 v44, v14, 8, 4
	v_bfe_u32 v45, v14, 16, 4
	v_bfe_u32 v46, v14, 20, 4
	v_lshrrev_b32_e32 v47, 28, v14
	v_bfe_u32 v48, v14, 4, 4
	;; [unrolled: 8-line block ×3, first 2 shown]
	v_bfe_u32 v15, v15, 12, 4
	s_clause 0x1f
	global_load_ubyte v29, v29, s[4:5]
	global_load_ubyte v30, v30, s[4:5]
	;; [unrolled: 1-line block ×32, first 2 shown]
	global_load_dword v26, v[26:27], off offset:32
	v_mov_b32_e32 v27, 0
	s_waitcnt vmcnt(33)
	v_lshrrev_b32_sdwa v57, v9, v24 dst_sel:DWORD dst_unused:UNUSED_PAD src0_sel:DWORD src1_sel:WORD_1
	v_bfe_u32 v28, v28, v8, 4
	v_lshlrev_b32_e32 v57, 4, v57
	v_and_or_b32 v28, v57, 48, v28
	s_waitcnt vmcnt(31)
	v_lshl_or_b32 v29, v30, 8, v29
	s_waitcnt vmcnt(30)
	v_lshlrev_b32_e32 v31, 16, v31
	s_waitcnt vmcnt(28)
	v_lshl_or_b32 v12, v12, 8, v34
	s_waitcnt vmcnt(27)
	v_lshlrev_b32_e32 v32, 16, v32
	s_waitcnt vmcnt(26)
	v_lshlrev_b32_e32 v30, 24, v33
	;; [unrolled: 2-line block ×4, first 2 shown]
	v_or3_b32 v12, v12, v32, v30
	s_waitcnt vmcnt(20)
	v_lshl_or_b32 v13, v13, 8, v41
	v_or3_b32 v25, v29, v31, v25
	s_waitcnt vmcnt(17)
	v_lshlrev_b32_e32 v33, 24, v35
	v_lshl_or_b32 v35, v37, 8, v36
	v_lshlrev_b32_e32 v36, 24, v40
	v_lshlrev_b32_e32 v37, 16, v39
	s_waitcnt vmcnt(14)
	v_lshlrev_b32_e32 v39, 16, v45
	v_lshl_or_b32 v40, v44, 8, v43
	s_waitcnt vmcnt(12)
	v_lshl_or_b32 v14, v14, 8, v48
	s_waitcnt vmcnt(10)
	v_lshlrev_b32_e32 v41, 24, v47
	s_waitcnt vmcnt(9)
	v_lshlrev_b32_e32 v38, 24, v42
	v_lshlrev_b32_e32 v42, 16, v46
	v_or3_b32 v30, v35, v34, v33
	v_or3_b32 v13, v13, v37, v36
	v_dot4c_i32_i8 v27, v25, v17
	v_dot4c_i32_i8 v56, v12, v21
	s_waitcnt vmcnt(3)
	v_lshlrev_b32_e32 v43, 24, v49
	v_lshlrev_b32_e32 v44, 16, v52
	s_waitcnt vmcnt(2)
	v_lshl_or_b32 v45, v51, 8, v50
	v_lshlrev_b32_e32 v46, 24, v54
	v_lshlrev_b32_e32 v29, 16, v53
	s_waitcnt vmcnt(1)
	v_lshl_or_b32 v12, v15, 8, v55
	v_or3_b32 v15, v40, v39, v38
	v_or3_b32 v14, v14, v42, v41
	v_dot4c_i32_i8 v27, v30, v18
	v_dot4c_i32_i8 v56, v13, v22
	v_subrev_nc_u32_e32 v13, 32, v28
	v_or3_b32 v17, v45, v44, v43
	v_or3_b32 v12, v12, v29, v46
	v_dot4c_i32_i8 v27, v15, v19
	v_dot4c_i32_i8 v56, v14, v23
	v_cvt_f32_f16_e32 v14, v24
	v_cvt_f32_i32_e32 v13, v13
	v_dot4c_i32_i8 v27, v17, v20
	s_waitcnt vmcnt(0)
	v_dot4c_i32_i8 v56, v12, v26
	v_cvt_f32_f16_e32 v12, v16
	v_mul_f32_e32 v13, v14, v13
	v_add_nc_u32_e32 v14, v56, v27
	v_mul_f32_e32 v12, v13, v12
	v_cvt_f32_i32_e32 v13, v14
	v_fmac_f32_e32 v4, v12, v13
	s_andn2_b32 exec_lo, exec_lo, s0
	s_cbranch_execnz .LBB75_3
; %bb.4:
	s_or_b32 exec_lo, exec_lo, s0
.LBB75_5:
	s_or_b32 exec_lo, exec_lo, s6
	v_mbcnt_lo_u32_b32 v2, -1, 0
	v_xor_b32_e32 v3, 16, v2
	v_xor_b32_e32 v5, 8, v2
	v_cmp_gt_i32_e32 vcc_lo, 32, v3
	v_cndmask_b32_e32 v3, v2, v3, vcc_lo
	v_cmp_gt_i32_e32 vcc_lo, 32, v5
	v_lshlrev_b32_e32 v3, 2, v3
	v_cndmask_b32_e32 v5, v2, v5, vcc_lo
	ds_bpermute_b32 v3, v3, v4
	v_lshlrev_b32_e32 v5, 2, v5
	s_waitcnt lgkmcnt(0)
	v_add_f32_e32 v3, v4, v3
	ds_bpermute_b32 v4, v5, v3
	v_xor_b32_e32 v5, 4, v2
	v_cmp_gt_i32_e32 vcc_lo, 32, v5
	v_cndmask_b32_e32 v5, v2, v5, vcc_lo
	v_lshlrev_b32_e32 v5, 2, v5
	s_waitcnt lgkmcnt(0)
	v_add_f32_e32 v3, v3, v4
	ds_bpermute_b32 v4, v5, v3
	v_xor_b32_e32 v5, 2, v2
	v_cmp_gt_i32_e32 vcc_lo, 32, v5
	v_cndmask_b32_e32 v5, v2, v5, vcc_lo
	;; [unrolled: 7-line block ×3, first 2 shown]
	v_cmp_eq_u32_e32 vcc_lo, 0, v0
	s_waitcnt lgkmcnt(0)
	v_add_f32_e32 v2, v3, v4
	v_lshlrev_b32_e32 v3, 2, v5
	ds_bpermute_b32 v3, v3, v2
	s_and_b32 exec_lo, exec_lo, vcc_lo
	s_cbranch_execz .LBB75_7
; %bb.6:
	v_mad_u64_u32 v[0:1], null, s1, s7, v[1:2]
	v_mov_b32_e32 v1, 0
	s_waitcnt lgkmcnt(0)
	v_add_f32_e32 v2, v2, v3
	v_lshlrev_b64 v[0:1], 2, v[0:1]
	v_add_co_u32 v0, vcc_lo, s2, v0
	v_add_co_ci_u32_e64 v1, null, s3, v1, vcc_lo
	global_store_dword v[0:1], v2, off
.LBB75_7:
	s_endpgm
	.section	.rodata,"a",@progbits
	.p2align	6, 0x0
	.amdhsa_kernel _ZL13mul_mat_vec_qIfLi256ELi8E12block_iq4_xsLi1EXadL_ZL19vec_dot_iq4_xs_q8_1PKvPK10block_q8_1RKiEEEvS2_S2_PT_iii
		.amdhsa_group_segment_fixed_size 0
		.amdhsa_private_segment_fixed_size 0
		.amdhsa_kernarg_size 296
		.amdhsa_user_sgpr_count 6
		.amdhsa_user_sgpr_private_segment_buffer 1
		.amdhsa_user_sgpr_dispatch_ptr 0
		.amdhsa_user_sgpr_queue_ptr 0
		.amdhsa_user_sgpr_kernarg_segment_ptr 1
		.amdhsa_user_sgpr_dispatch_id 0
		.amdhsa_user_sgpr_flat_scratch_init 0
		.amdhsa_user_sgpr_private_segment_size 0
		.amdhsa_wavefront_size32 1
		.amdhsa_uses_dynamic_stack 0
		.amdhsa_system_sgpr_private_segment_wavefront_offset 0
		.amdhsa_system_sgpr_workgroup_id_x 1
		.amdhsa_system_sgpr_workgroup_id_y 1
		.amdhsa_system_sgpr_workgroup_id_z 0
		.amdhsa_system_sgpr_workgroup_info 0
		.amdhsa_system_vgpr_workitem_id 1
		.amdhsa_next_free_vgpr 58
		.amdhsa_next_free_sgpr 13
		.amdhsa_reserve_vcc 1
		.amdhsa_reserve_flat_scratch 0
		.amdhsa_float_round_mode_32 0
		.amdhsa_float_round_mode_16_64 0
		.amdhsa_float_denorm_mode_32 3
		.amdhsa_float_denorm_mode_16_64 3
		.amdhsa_dx10_clamp 1
		.amdhsa_ieee_mode 1
		.amdhsa_fp16_overflow 0
		.amdhsa_workgroup_processor_mode 1
		.amdhsa_memory_ordered 1
		.amdhsa_forward_progress 1
		.amdhsa_shared_vgpr_count 0
		.amdhsa_exception_fp_ieee_invalid_op 0
		.amdhsa_exception_fp_denorm_src 0
		.amdhsa_exception_fp_ieee_div_zero 0
		.amdhsa_exception_fp_ieee_overflow 0
		.amdhsa_exception_fp_ieee_underflow 0
		.amdhsa_exception_fp_ieee_inexact 0
		.amdhsa_exception_int_div_zero 0
	.end_amdhsa_kernel
	.section	.text._ZL13mul_mat_vec_qIfLi256ELi8E12block_iq4_xsLi1EXadL_ZL19vec_dot_iq4_xs_q8_1PKvPK10block_q8_1RKiEEEvS2_S2_PT_iii,"axG",@progbits,_ZL13mul_mat_vec_qIfLi256ELi8E12block_iq4_xsLi1EXadL_ZL19vec_dot_iq4_xs_q8_1PKvPK10block_q8_1RKiEEEvS2_S2_PT_iii,comdat
.Lfunc_end75:
	.size	_ZL13mul_mat_vec_qIfLi256ELi8E12block_iq4_xsLi1EXadL_ZL19vec_dot_iq4_xs_q8_1PKvPK10block_q8_1RKiEEEvS2_S2_PT_iii, .Lfunc_end75-_ZL13mul_mat_vec_qIfLi256ELi8E12block_iq4_xsLi1EXadL_ZL19vec_dot_iq4_xs_q8_1PKvPK10block_q8_1RKiEEEvS2_S2_PT_iii
                                        ; -- End function
	.set _ZL13mul_mat_vec_qIfLi256ELi8E12block_iq4_xsLi1EXadL_ZL19vec_dot_iq4_xs_q8_1PKvPK10block_q8_1RKiEEEvS2_S2_PT_iii.num_vgpr, 58
	.set _ZL13mul_mat_vec_qIfLi256ELi8E12block_iq4_xsLi1EXadL_ZL19vec_dot_iq4_xs_q8_1PKvPK10block_q8_1RKiEEEvS2_S2_PT_iii.num_agpr, 0
	.set _ZL13mul_mat_vec_qIfLi256ELi8E12block_iq4_xsLi1EXadL_ZL19vec_dot_iq4_xs_q8_1PKvPK10block_q8_1RKiEEEvS2_S2_PT_iii.numbered_sgpr, 13
	.set _ZL13mul_mat_vec_qIfLi256ELi8E12block_iq4_xsLi1EXadL_ZL19vec_dot_iq4_xs_q8_1PKvPK10block_q8_1RKiEEEvS2_S2_PT_iii.num_named_barrier, 0
	.set _ZL13mul_mat_vec_qIfLi256ELi8E12block_iq4_xsLi1EXadL_ZL19vec_dot_iq4_xs_q8_1PKvPK10block_q8_1RKiEEEvS2_S2_PT_iii.private_seg_size, 0
	.set _ZL13mul_mat_vec_qIfLi256ELi8E12block_iq4_xsLi1EXadL_ZL19vec_dot_iq4_xs_q8_1PKvPK10block_q8_1RKiEEEvS2_S2_PT_iii.uses_vcc, 1
	.set _ZL13mul_mat_vec_qIfLi256ELi8E12block_iq4_xsLi1EXadL_ZL19vec_dot_iq4_xs_q8_1PKvPK10block_q8_1RKiEEEvS2_S2_PT_iii.uses_flat_scratch, 0
	.set _ZL13mul_mat_vec_qIfLi256ELi8E12block_iq4_xsLi1EXadL_ZL19vec_dot_iq4_xs_q8_1PKvPK10block_q8_1RKiEEEvS2_S2_PT_iii.has_dyn_sized_stack, 0
	.set _ZL13mul_mat_vec_qIfLi256ELi8E12block_iq4_xsLi1EXadL_ZL19vec_dot_iq4_xs_q8_1PKvPK10block_q8_1RKiEEEvS2_S2_PT_iii.has_recursion, 0
	.set _ZL13mul_mat_vec_qIfLi256ELi8E12block_iq4_xsLi1EXadL_ZL19vec_dot_iq4_xs_q8_1PKvPK10block_q8_1RKiEEEvS2_S2_PT_iii.has_indirect_call, 0
	.section	.AMDGPU.csdata,"",@progbits
; Kernel info:
; codeLenInByte = 1460
; TotalNumSgprs: 15
; NumVgprs: 58
; ScratchSize: 0
; MemoryBound: 0
; FloatMode: 240
; IeeeMode: 1
; LDSByteSize: 0 bytes/workgroup (compile time only)
; SGPRBlocks: 0
; VGPRBlocks: 7
; NumSGPRsForWavesPerEU: 15
; NumVGPRsForWavesPerEU: 58
; Occupancy: 16
; WaveLimiterHint : 0
; COMPUTE_PGM_RSRC2:SCRATCH_EN: 0
; COMPUTE_PGM_RSRC2:USER_SGPR: 6
; COMPUTE_PGM_RSRC2:TRAP_HANDLER: 0
; COMPUTE_PGM_RSRC2:TGID_X_EN: 1
; COMPUTE_PGM_RSRC2:TGID_Y_EN: 1
; COMPUTE_PGM_RSRC2:TGID_Z_EN: 0
; COMPUTE_PGM_RSRC2:TIDIG_COMP_CNT: 1
	.section	.text._ZL13mul_mat_vec_qIfLi256ELi8E11block_iq1_mLi1EXadL_ZL18vec_dot_iq1_m_q8_1PKvPK10block_q8_1RKiEEEvS2_S2_PT_iii,"axG",@progbits,_ZL13mul_mat_vec_qIfLi256ELi8E11block_iq1_mLi1EXadL_ZL18vec_dot_iq1_m_q8_1PKvPK10block_q8_1RKiEEEvS2_S2_PT_iii,comdat
	.globl	_ZL13mul_mat_vec_qIfLi256ELi8E11block_iq1_mLi1EXadL_ZL18vec_dot_iq1_m_q8_1PKvPK10block_q8_1RKiEEEvS2_S2_PT_iii ; -- Begin function _ZL13mul_mat_vec_qIfLi256ELi8E11block_iq1_mLi1EXadL_ZL18vec_dot_iq1_m_q8_1PKvPK10block_q8_1RKiEEEvS2_S2_PT_iii
	.p2align	8
	.type	_ZL13mul_mat_vec_qIfLi256ELi8E11block_iq1_mLi1EXadL_ZL18vec_dot_iq1_m_q8_1PKvPK10block_q8_1RKiEEEvS2_S2_PT_iii,@function
_ZL13mul_mat_vec_qIfLi256ELi8E11block_iq1_mLi1EXadL_ZL18vec_dot_iq1_m_q8_1PKvPK10block_q8_1RKiEEEvS2_S2_PT_iii: ; @_ZL13mul_mat_vec_qIfLi256ELi8E11block_iq1_mLi1EXadL_ZL18vec_dot_iq1_m_q8_1PKvPK10block_q8_1RKiEEEvS2_S2_PT_iii
; %bb.0:
	s_clause 0x1
	s_load_dword s8, s[4:5], 0x34
	s_load_dwordx4 s[0:3], s[4:5], 0x18
	s_waitcnt lgkmcnt(0)
	s_lshr_b32 s3, s8, 16
	s_cmp_lt_u32 s7, s2
	v_mad_u64_u32 v[1:2], null, s6, s3, v[1:2]
	s_cselect_b32 s2, -1, 0
	v_cmp_gt_u32_e32 vcc_lo, s1, v1
	s_and_b32 s2, s2, vcc_lo
	s_and_saveexec_b32 s3, s2
	s_cbranch_execz .LBB76_7
; %bb.1:
	s_load_dwordx2 s[2:3], s[4:5], 0x10
	s_ashr_i32 s6, s0, 31
	v_lshrrev_b32_e32 v5, 3, v0
	s_lshr_b32 s6, s6, 24
	v_mov_b32_e32 v4, 0
	s_add_i32 s6, s0, s6
	s_ashr_i32 s12, s6, 8
	s_mov_b32 s6, exec_lo
	v_cmpx_gt_u32_e64 s12, v5
	s_cbranch_execz .LBB76_5
; %bb.2:
	s_load_dwordx4 s[8:11], s[4:5], 0x0
	s_addk_i32 s0, 0x1ff
	v_and_b32_e32 v3, 1, v0
	s_ashr_i32 s4, s0, 31
	v_and_b32_e32 v2, 7, v0
	s_lshr_b32 s4, s4, 23
	v_bfe_u32 v11, v0, 1, 2
	s_add_i32 s0, s0, s4
	v_lshlrev_b32_e32 v10, 3, v5
	v_cmp_eq_u32_e32 vcc_lo, 1, v3
	s_ashr_i32 s0, s0, 9
	v_mul_lo_u32 v6, v1, s12
	v_lshlrev_b32_e32 v7, 1, v2
	v_lshlrev_b32_e32 v9, 2, v2
	s_mul_i32 s0, s7, s0
	v_mov_b32_e32 v4, 0
	v_cndmask_b32_e64 v8, 0, 6, vcc_lo
	v_lshl_add_u32 v10, s0, 4, v10
	v_lshlrev_b32_e32 v11, 1, v11
	v_mov_b32_e32 v12, 0xf0
	s_waitcnt lgkmcnt(0)
	v_mad_u64_u32 v[2:3], null, v2, 36, s[10:11]
	v_mov_b32_e32 v13, 0xffff
	v_mov_b32_e32 v14, 8
	s_mov_b32 s0, 0
	s_mov_b32 s4, 0xbd000000
.LBB76_3:                               ; =>This Inner Loop Header: Depth=1
	v_add_nc_u32_e32 v15, v6, v5
	v_mad_i64_i32 v[25:26], null, v10, 36, v[2:3]
	s_getpc_b64 s[10:11]
	s_add_u32 s10, s10, _ZL13iq1s_grid_gpu@rel32@lo+4
	s_addc_u32 s11, s11, _ZL13iq1s_grid_gpu@rel32@hi+12
	v_mov_b32_e32 v38, 0
	v_mad_i64_i32 v[23:24], null, v15, 56, s[8:9]
	v_mov_b32_e32 v37, 0
	v_add_nc_u32_e32 v5, 4, v5
	v_add_nc_u32_e32 v10, 32, v10
	v_add_co_u32 v15, vcc_lo, v23, v7
	v_add_co_ci_u32_e64 v16, null, 0, v24, vcc_lo
	v_add_co_u32 v17, vcc_lo, v23, v11
	v_add_co_ci_u32_e64 v18, null, 0, v24, vcc_lo
	;; [unrolled: 2-line block ×3, first 2 shown]
	s_clause 0x2
	global_load_ushort v27, v[17:18], off offset:48
	global_load_ushort v28, v[15:16], off offset:32
	global_load_dword v29, v[19:20], off
	s_clause 0x1
	global_load_dwordx4 v[15:18], v[25:26], off
	global_load_dwordx4 v[19:22], v[25:26], off offset:16
	global_load_dwordx2 v[23:24], v[23:24], off offset:48
	v_cmp_le_u32_e32 vcc_lo, s12, v5
	s_or_b32 s0, vcc_lo, s0
	s_waitcnt vmcnt(5)
	v_lshrrev_b32_e32 v27, v8, v27
	s_waitcnt vmcnt(4)
	v_and_b32_sdwa v31, v13, v28 dst_sel:DWORD dst_unused:UNUSED_PAD src0_sel:DWORD src1_sel:BYTE_1
	s_waitcnt vmcnt(3)
	v_and_b32_e32 v30, 0xff, v29
	v_lshlrev_b32_e32 v33, 8, v28
	v_bfe_u32 v35, v29, 16, 8
	v_bfe_u32 v32, v29, 8, 8
	v_lshrrev_b32_e32 v36, 4, v31
	v_lshlrev_b32_e32 v31, 8, v31
	v_lshlrev_b32_e32 v34, 4, v28
	v_and_or_b32 v30, 0x700, v33, v30
	v_bfe_u32 v39, v28, 4, 4
	v_alignbit_b32 v29, v36, v29, 24
	v_and_or_b32 v31, 0x700, v31, v35
	v_and_or_b32 v32, 0x700, v34, v32
	v_lshlrev_b32_e32 v30, 3, v30
	v_mov_b32_e32 v34, 0
	v_and_b32_e32 v29, 0x7ff, v29
	v_lshlrev_b32_e32 v31, 3, v31
	v_lshlrev_b32_e32 v32, 3, v32
	s_clause 0x1
	global_load_dword v30, v30, s[10:11]
	global_load_dword v32, v32, s[10:11]
	v_lshlrev_b32_e32 v29, 3, v29
	s_clause 0x1
	global_load_dword v31, v31, s[10:11]
	global_load_dword v29, v29, s[10:11]
	global_load_dword v25, v[25:26], off offset:32
	v_mov_b32_e32 v26, 0
	s_waitcnt vmcnt(6)
	v_dot4c_i32_i8 v34, 0x1010101, v20
	v_and_b32_sdwa v40, v28, v14 dst_sel:DWORD dst_unused:UNUSED_PAD src0_sel:BYTE_1 src1_sel:DWORD
	v_and_b32_e32 v28, 8, v28
	v_and_b32_e32 v36, 8, v36
	v_dot4c_i32_i8 v26, 0x1010101, v16
	v_dot4c_i32_i8 v34, 0x1010101, v21
	v_cvt_f32_ubyte0_e32 v40, v40
	v_cvt_f32_ubyte0_e32 v28, v28
	v_mov_b32_e32 v35, 0
	v_dot4c_i32_i8 v26, 0x1010101, v17
	v_cvt_f32_i32_e32 v34, v34
	v_fmaak_f32 v40, s4, v40, 0xbf600000
	v_fmaak_f32 v28, s4, v28, 0xbf600000
	v_mov_b32_e32 v33, 0
	v_cvt_f32_i32_e32 v26, v26
	v_dot4c_i32_i8 v35, 0x1010101, v22
	s_waitcnt vmcnt(5)
	v_pk_lshrrev_b16 v23, 0x8000c, v23
	v_pk_lshrrev_b16 v24, 4, v24
	v_dot4c_i32_i8 v33, 0x1010101, v18
	v_fma_f32 v26, v28, v26, 0
	v_fma_f32 v28, v40, v34, 0
	v_cvt_f32_ubyte0_e32 v34, v36
	v_and_b32_sdwa v41, v23, v12 dst_sel:DWORD dst_unused:UNUSED_PAD src0_sel:WORD_1 src1_sel:DWORD
	v_lshlrev_b32_e32 v42, 1, v27
	v_lshrrev_b32_e32 v27, 2, v27
	v_and_b32_e32 v39, 8, v39
	v_dot4c_i32_i8 v33, 0x1010101, v19
	v_and_b32_e32 v24, 0xf0000f00, v24
	v_or_b32_e32 v23, v41, v23
	v_and_b32_e32 v27, 14, v27
	v_cvt_f32_ubyte0_e32 v39, v39
	v_cvt_f32_i32_e32 v33, v33
	v_and_b32_e32 v41, 14, v42
	v_or_b32_e32 v23, v23, v24
	v_cvt_f32_f16_e32 v15, v15
	s_waitcnt vmcnt(4)
	v_lshrrev_b32_e32 v40, 4, v30
	v_and_b32_e32 v30, 0xf0f0f0f, v30
	s_waitcnt vmcnt(2)
	v_lshrrev_b32_e32 v36, 4, v31
	v_and_b32_e32 v31, 0xf0f0f0f, v31
	v_dot4c_i32_i8 v37, v30, v16
	s_waitcnt vmcnt(1)
	v_and_b32_e32 v16, 0xf0f0f0f, v29
	v_lshrrev_b32_e32 v29, 4, v29
	v_and_b32_e32 v36, 0xf0f0f0f, v36
	v_dot4c_i32_i8 v38, v31, v20
	v_and_b32_e32 v20, 0xf0f0f0f, v40
	s_waitcnt vmcnt(0)
	v_dot4c_i32_i8 v35, 0x1010101, v25
	v_lshrrev_b32_e32 v30, 4, v32
	v_dot4c_i32_i8 v38, v36, v21
	v_and_b32_e32 v21, 0xf0f0f0f, v32
	v_dot4c_i32_i8 v37, v20, v17
	v_and_b32_e32 v17, 0xf0f0f0f, v29
	v_cvt_f32_i32_e32 v35, v35
	v_dot4c_i32_i8 v38, v16, v22
	v_fmaak_f32 v20, s4, v34, 0xbf600000
	v_and_b32_e32 v22, 0xf0f0f0f, v30
	v_dot4c_i32_i8 v37, v21, v18
	v_fmaak_f32 v16, s4, v39, 0xbf600000
	v_dot4c_i32_i8 v38, v17, v25
	v_or_b32_e32 v17, 1, v27
	v_fmac_f32_e32 v28, v20, v35
	v_dot4c_i32_i8 v37, v22, v19
	v_or_b32_e32 v18, 1, v41
	v_cvt_f32_i32_e32 v19, v38
	v_or_b32_sdwa v20, v23, v24 dst_sel:DWORD dst_unused:UNUSED_PAD src0_sel:DWORD src1_sel:WORD_1
	v_fmac_f32_e32 v26, v16, v33
	v_cvt_f32_ubyte0_e32 v16, v17
	v_cvt_f32_i32_e32 v17, v37
	v_add_f32_e32 v19, v28, v19
	v_cvt_f32_ubyte0_e32 v18, v18
	v_cvt_f32_f16_e32 v20, v20
	v_add_f32_e32 v17, v26, v17
	v_mul_f32_e32 v16, v19, v16
	v_mul_f32_e32 v15, v15, v20
	v_fmac_f32_e32 v16, v17, v18
	v_fmac_f32_e32 v4, v15, v16
	s_andn2_b32 exec_lo, exec_lo, s0
	s_cbranch_execnz .LBB76_3
; %bb.4:
	s_or_b32 exec_lo, exec_lo, s0
.LBB76_5:
	s_or_b32 exec_lo, exec_lo, s6
	v_mbcnt_lo_u32_b32 v2, -1, 0
	v_xor_b32_e32 v3, 16, v2
	v_xor_b32_e32 v5, 8, v2
	v_cmp_gt_i32_e32 vcc_lo, 32, v3
	v_cndmask_b32_e32 v3, v2, v3, vcc_lo
	v_cmp_gt_i32_e32 vcc_lo, 32, v5
	v_lshlrev_b32_e32 v3, 2, v3
	v_cndmask_b32_e32 v5, v2, v5, vcc_lo
	ds_bpermute_b32 v3, v3, v4
	v_lshlrev_b32_e32 v5, 2, v5
	s_waitcnt lgkmcnt(0)
	v_add_f32_e32 v3, v4, v3
	ds_bpermute_b32 v4, v5, v3
	v_xor_b32_e32 v5, 4, v2
	v_cmp_gt_i32_e32 vcc_lo, 32, v5
	v_cndmask_b32_e32 v5, v2, v5, vcc_lo
	v_lshlrev_b32_e32 v5, 2, v5
	s_waitcnt lgkmcnt(0)
	v_add_f32_e32 v3, v3, v4
	ds_bpermute_b32 v4, v5, v3
	v_xor_b32_e32 v5, 2, v2
	v_cmp_gt_i32_e32 vcc_lo, 32, v5
	v_cndmask_b32_e32 v5, v2, v5, vcc_lo
	;; [unrolled: 7-line block ×3, first 2 shown]
	v_cmp_eq_u32_e32 vcc_lo, 0, v0
	s_waitcnt lgkmcnt(0)
	v_add_f32_e32 v2, v3, v4
	v_lshlrev_b32_e32 v3, 2, v5
	ds_bpermute_b32 v3, v3, v2
	s_and_b32 exec_lo, exec_lo, vcc_lo
	s_cbranch_execz .LBB76_7
; %bb.6:
	v_mad_u64_u32 v[0:1], null, s1, s7, v[1:2]
	v_mov_b32_e32 v1, 0
	s_waitcnt lgkmcnt(0)
	v_add_f32_e32 v2, v2, v3
	v_lshlrev_b64 v[0:1], 2, v[0:1]
	v_add_co_u32 v0, vcc_lo, s2, v0
	v_add_co_ci_u32_e64 v1, null, s3, v1, vcc_lo
	global_store_dword v[0:1], v2, off
.LBB76_7:
	s_endpgm
	.section	.rodata,"a",@progbits
	.p2align	6, 0x0
	.amdhsa_kernel _ZL13mul_mat_vec_qIfLi256ELi8E11block_iq1_mLi1EXadL_ZL18vec_dot_iq1_m_q8_1PKvPK10block_q8_1RKiEEEvS2_S2_PT_iii
		.amdhsa_group_segment_fixed_size 0
		.amdhsa_private_segment_fixed_size 0
		.amdhsa_kernarg_size 296
		.amdhsa_user_sgpr_count 6
		.amdhsa_user_sgpr_private_segment_buffer 1
		.amdhsa_user_sgpr_dispatch_ptr 0
		.amdhsa_user_sgpr_queue_ptr 0
		.amdhsa_user_sgpr_kernarg_segment_ptr 1
		.amdhsa_user_sgpr_dispatch_id 0
		.amdhsa_user_sgpr_flat_scratch_init 0
		.amdhsa_user_sgpr_private_segment_size 0
		.amdhsa_wavefront_size32 1
		.amdhsa_uses_dynamic_stack 0
		.amdhsa_system_sgpr_private_segment_wavefront_offset 0
		.amdhsa_system_sgpr_workgroup_id_x 1
		.amdhsa_system_sgpr_workgroup_id_y 1
		.amdhsa_system_sgpr_workgroup_id_z 0
		.amdhsa_system_sgpr_workgroup_info 0
		.amdhsa_system_vgpr_workitem_id 1
		.amdhsa_next_free_vgpr 43
		.amdhsa_next_free_sgpr 13
		.amdhsa_reserve_vcc 1
		.amdhsa_reserve_flat_scratch 0
		.amdhsa_float_round_mode_32 0
		.amdhsa_float_round_mode_16_64 0
		.amdhsa_float_denorm_mode_32 3
		.amdhsa_float_denorm_mode_16_64 3
		.amdhsa_dx10_clamp 1
		.amdhsa_ieee_mode 1
		.amdhsa_fp16_overflow 0
		.amdhsa_workgroup_processor_mode 1
		.amdhsa_memory_ordered 1
		.amdhsa_forward_progress 1
		.amdhsa_shared_vgpr_count 0
		.amdhsa_exception_fp_ieee_invalid_op 0
		.amdhsa_exception_fp_denorm_src 0
		.amdhsa_exception_fp_ieee_div_zero 0
		.amdhsa_exception_fp_ieee_overflow 0
		.amdhsa_exception_fp_ieee_underflow 0
		.amdhsa_exception_fp_ieee_inexact 0
		.amdhsa_exception_int_div_zero 0
	.end_amdhsa_kernel
	.section	.text._ZL13mul_mat_vec_qIfLi256ELi8E11block_iq1_mLi1EXadL_ZL18vec_dot_iq1_m_q8_1PKvPK10block_q8_1RKiEEEvS2_S2_PT_iii,"axG",@progbits,_ZL13mul_mat_vec_qIfLi256ELi8E11block_iq1_mLi1EXadL_ZL18vec_dot_iq1_m_q8_1PKvPK10block_q8_1RKiEEEvS2_S2_PT_iii,comdat
.Lfunc_end76:
	.size	_ZL13mul_mat_vec_qIfLi256ELi8E11block_iq1_mLi1EXadL_ZL18vec_dot_iq1_m_q8_1PKvPK10block_q8_1RKiEEEvS2_S2_PT_iii, .Lfunc_end76-_ZL13mul_mat_vec_qIfLi256ELi8E11block_iq1_mLi1EXadL_ZL18vec_dot_iq1_m_q8_1PKvPK10block_q8_1RKiEEEvS2_S2_PT_iii
                                        ; -- End function
	.set _ZL13mul_mat_vec_qIfLi256ELi8E11block_iq1_mLi1EXadL_ZL18vec_dot_iq1_m_q8_1PKvPK10block_q8_1RKiEEEvS2_S2_PT_iii.num_vgpr, 43
	.set _ZL13mul_mat_vec_qIfLi256ELi8E11block_iq1_mLi1EXadL_ZL18vec_dot_iq1_m_q8_1PKvPK10block_q8_1RKiEEEvS2_S2_PT_iii.num_agpr, 0
	.set _ZL13mul_mat_vec_qIfLi256ELi8E11block_iq1_mLi1EXadL_ZL18vec_dot_iq1_m_q8_1PKvPK10block_q8_1RKiEEEvS2_S2_PT_iii.numbered_sgpr, 13
	.set _ZL13mul_mat_vec_qIfLi256ELi8E11block_iq1_mLi1EXadL_ZL18vec_dot_iq1_m_q8_1PKvPK10block_q8_1RKiEEEvS2_S2_PT_iii.num_named_barrier, 0
	.set _ZL13mul_mat_vec_qIfLi256ELi8E11block_iq1_mLi1EXadL_ZL18vec_dot_iq1_m_q8_1PKvPK10block_q8_1RKiEEEvS2_S2_PT_iii.private_seg_size, 0
	.set _ZL13mul_mat_vec_qIfLi256ELi8E11block_iq1_mLi1EXadL_ZL18vec_dot_iq1_m_q8_1PKvPK10block_q8_1RKiEEEvS2_S2_PT_iii.uses_vcc, 1
	.set _ZL13mul_mat_vec_qIfLi256ELi8E11block_iq1_mLi1EXadL_ZL18vec_dot_iq1_m_q8_1PKvPK10block_q8_1RKiEEEvS2_S2_PT_iii.uses_flat_scratch, 0
	.set _ZL13mul_mat_vec_qIfLi256ELi8E11block_iq1_mLi1EXadL_ZL18vec_dot_iq1_m_q8_1PKvPK10block_q8_1RKiEEEvS2_S2_PT_iii.has_dyn_sized_stack, 0
	.set _ZL13mul_mat_vec_qIfLi256ELi8E11block_iq1_mLi1EXadL_ZL18vec_dot_iq1_m_q8_1PKvPK10block_q8_1RKiEEEvS2_S2_PT_iii.has_recursion, 0
	.set _ZL13mul_mat_vec_qIfLi256ELi8E11block_iq1_mLi1EXadL_ZL18vec_dot_iq1_m_q8_1PKvPK10block_q8_1RKiEEEvS2_S2_PT_iii.has_indirect_call, 0
	.section	.AMDGPU.csdata,"",@progbits
; Kernel info:
; codeLenInByte = 1296
; TotalNumSgprs: 15
; NumVgprs: 43
; ScratchSize: 0
; MemoryBound: 0
; FloatMode: 240
; IeeeMode: 1
; LDSByteSize: 0 bytes/workgroup (compile time only)
; SGPRBlocks: 0
; VGPRBlocks: 5
; NumSGPRsForWavesPerEU: 15
; NumVGPRsForWavesPerEU: 43
; Occupancy: 16
; WaveLimiterHint : 0
; COMPUTE_PGM_RSRC2:SCRATCH_EN: 0
; COMPUTE_PGM_RSRC2:USER_SGPR: 6
; COMPUTE_PGM_RSRC2:TRAP_HANDLER: 0
; COMPUTE_PGM_RSRC2:TGID_X_EN: 1
; COMPUTE_PGM_RSRC2:TGID_Y_EN: 1
; COMPUTE_PGM_RSRC2:TGID_Z_EN: 0
; COMPUTE_PGM_RSRC2:TIDIG_COMP_CNT: 1
	.section	.text._ZL13quantize_q8_1IN3c104HalfEEvPKT_Pvii,"axG",@progbits,_ZL13quantize_q8_1IN3c104HalfEEvPKT_Pvii,comdat
	.globl	_ZL13quantize_q8_1IN3c104HalfEEvPKT_Pvii ; -- Begin function _ZL13quantize_q8_1IN3c104HalfEEvPKT_Pvii
	.p2align	8
	.type	_ZL13quantize_q8_1IN3c104HalfEEvPKT_Pvii,@function
_ZL13quantize_q8_1IN3c104HalfEEvPKT_Pvii: ; @_ZL13quantize_q8_1IN3c104HalfEEvPKT_Pvii
; %bb.0:
	s_clause 0x1
	s_load_dword s8, s[4:5], 0x24
	s_load_dwordx2 s[0:1], s[4:5], 0x10
	s_add_u32 s2, s4, 24
	s_addc_u32 s3, s5, 0
	s_waitcnt lgkmcnt(0)
	s_and_b32 s8, s8, 0xffff
	v_mad_u64_u32 v[2:3], null, s6, s8, v[0:1]
	s_mov_b32 s6, exec_lo
	v_cmpx_gt_u32_e64 s1, v2
	s_cbranch_execz .LBB77_7
; %bb.1:
	s_load_dword s2, s[2:3], 0xc
	v_mov_b32_e32 v3, 0
	s_waitcnt lgkmcnt(0)
	s_lshr_b32 s2, s2, 16
	v_mad_u64_u32 v[0:1], null, s7, s2, v[1:2]
	v_mov_b32_e32 v1, 0
	s_mov_b32 s2, exec_lo
	v_cmpx_gt_u32_e64 s0, v2
	s_cbranch_execz .LBB77_3
; %bb.2:
	s_load_dwordx2 s[6:7], s[4:5], 0x0
	v_mad_u64_u32 v[4:5], null, v0, s0, v[2:3]
	v_mov_b32_e32 v5, 0
	v_lshlrev_b64 v[4:5], 1, v[4:5]
	s_waitcnt lgkmcnt(0)
	v_add_co_u32 v4, vcc_lo, s6, v4
	v_add_co_ci_u32_e64 v5, null, s7, v5, vcc_lo
	global_load_ushort v1, v[4:5], off
	s_waitcnt vmcnt(0)
	v_cvt_f32_f16_e32 v1, v1
.LBB77_3:
	s_or_b32 exec_lo, exec_lo, s2
	v_mbcnt_lo_u32_b32 v4, -1, 0
	v_and_b32_e32 v6, 0x7fffffff, v1
	v_max_f32_e64 v8, |v1|, |v1|
	s_load_dwordx2 s[2:3], s[4:5], 0x8
	s_mov_b32 s0, exec_lo
	v_xor_b32_e32 v5, 16, v4
	v_xor_b32_e32 v7, 8, v4
	;; [unrolled: 1-line block ×5, first 2 shown]
	v_cmp_gt_i32_e32 vcc_lo, 32, v5
	v_cndmask_b32_e32 v5, v4, v5, vcc_lo
	v_cmp_gt_i32_e32 vcc_lo, 32, v7
	v_lshlrev_b32_e32 v5, 2, v5
	v_cndmask_b32_e32 v7, v4, v7, vcc_lo
	v_cmp_gt_i32_e32 vcc_lo, 32, v9
	ds_bpermute_b32 v6, v5, v6
	v_lshlrev_b32_e32 v7, 2, v7
	v_cndmask_b32_e32 v9, v4, v9, vcc_lo
	v_cmp_gt_i32_e32 vcc_lo, 32, v10
	ds_bpermute_b32 v5, v5, v1
	v_lshlrev_b32_e32 v9, 2, v9
	v_cndmask_b32_e32 v10, v4, v10, vcc_lo
	v_cmp_gt_i32_e32 vcc_lo, 32, v11
	v_lshlrev_b32_e32 v10, 2, v10
	v_cndmask_b32_e32 v4, v4, v11, vcc_lo
	v_lshlrev_b32_e32 v11, 2, v4
	s_waitcnt lgkmcnt(0)
	v_max_f32_e32 v6, v6, v6
	v_add_f32_e32 v5, v1, v5
	v_max_f32_e32 v6, v8, v6
	ds_bpermute_b32 v8, v7, v6
	ds_bpermute_b32 v7, v7, v5
	s_waitcnt lgkmcnt(1)
	v_max_f32_e32 v8, v8, v8
	s_waitcnt lgkmcnt(0)
	v_add_f32_e32 v5, v5, v7
	v_max_f32_e32 v6, v6, v8
	ds_bpermute_b32 v7, v9, v5
	ds_bpermute_b32 v8, v9, v6
	s_waitcnt lgkmcnt(0)
	v_max_f32_e32 v8, v8, v8
	v_max_f32_e32 v6, v6, v8
	ds_bpermute_b32 v8, v10, v6
	s_waitcnt lgkmcnt(0)
	v_max_f32_e32 v8, v8, v8
	v_max_f32_e32 v4, v6, v8
	;; [unrolled: 4-line block ×3, first 2 shown]
	v_add_f32_e32 v4, v5, v7
	v_div_scale_f32 v6, null, 0x42fe0000, 0x42fe0000, v8
	ds_bpermute_b32 v5, v10, v4
	v_div_scale_f32 v10, vcc_lo, v8, 0x42fe0000, v8
	v_rcp_f32_e32 v9, v6
	v_fma_f32 v7, -v6, v9, 1.0
	v_fmac_f32_e32 v9, v7, v9
	s_waitcnt lgkmcnt(0)
	v_add_f32_e32 v4, v4, v5
	v_mul_f32_e32 v7, v10, v9
	ds_bpermute_b32 v5, v11, v4
	v_fma_f32 v12, -v6, v7, v10
	v_fmac_f32_e32 v7, v12, v9
	v_fma_f32 v6, -v6, v7, v10
	v_div_fmas_f32 v6, v6, v9, v7
	v_div_fixup_f32 v6, v6, 0x42fe0000, v8
	v_cmpx_neq_f32_e32 0, v8
	s_cbranch_execz .LBB77_5
; %bb.4:
	v_div_scale_f32 v3, null, v6, v6, v1
	v_div_scale_f32 v9, vcc_lo, v1, v6, v1
	v_rcp_f32_e32 v7, v3
	v_fma_f32 v8, -v3, v7, 1.0
	v_fmac_f32_e32 v7, v8, v7
	v_mul_f32_e32 v8, v9, v7
	v_fma_f32 v10, -v3, v8, v9
	v_fmac_f32_e32 v8, v10, v7
	v_fma_f32 v3, -v3, v8, v9
	v_div_fmas_f32 v3, v3, v7, v8
	v_div_fixup_f32 v1, v3, v6, v1
	v_trunc_f32_e32 v3, v1
	v_sub_f32_e32 v7, v1, v3
	v_cmp_ge_f32_e64 s4, |v7|, 0.5
	v_cndmask_b32_e64 v7, 0, 1.0, s4
	v_bfi_b32 v1, 0x7fffffff, v7, v1
	v_add_f32_e32 v1, v3, v1
	v_cvt_i32_f32_e32 v3, v1
.LBB77_5:
	s_or_b32 exec_lo, exec_lo, s0
	v_mad_u64_u32 v[0:1], null, v0, s1, v[2:3]
	v_ashrrev_i32_e32 v1, 31, v0
	v_lshrrev_b32_e32 v1, 27, v1
	v_add_nc_u32_e32 v1, v0, v1
	v_and_b32_e32 v2, 0xffffffe0, v1
	v_ashrrev_i32_e32 v1, 5, v1
	v_sub_nc_u32_e32 v2, v0, v2
	v_mad_i64_i32 v[0:1], null, v1, 36, s[2:3]
	v_ashrrev_i32_e32 v8, 31, v2
	v_add_co_u32 v7, vcc_lo, v0, v2
	v_add_co_ci_u32_e64 v8, null, v1, v8, vcc_lo
	v_cmp_gt_i32_e32 vcc_lo, 1, v2
	global_store_byte v[7:8], v3, off offset:4
	s_and_b32 exec_lo, exec_lo, vcc_lo
	s_cbranch_execz .LBB77_7
; %bb.6:
	s_waitcnt lgkmcnt(0)
	v_add_f32_e32 v2, v4, v5
	v_cvt_f16_f32_e32 v3, v6
	v_cvt_f16_f32_e32 v2, v2
	v_pack_b32_f16 v2, v3, v2
	global_store_dword v[0:1], v2, off
.LBB77_7:
	s_endpgm
	.section	.rodata,"a",@progbits
	.p2align	6, 0x0
	.amdhsa_kernel _ZL13quantize_q8_1IN3c104HalfEEvPKT_Pvii
		.amdhsa_group_segment_fixed_size 0
		.amdhsa_private_segment_fixed_size 0
		.amdhsa_kernarg_size 280
		.amdhsa_user_sgpr_count 6
		.amdhsa_user_sgpr_private_segment_buffer 1
		.amdhsa_user_sgpr_dispatch_ptr 0
		.amdhsa_user_sgpr_queue_ptr 0
		.amdhsa_user_sgpr_kernarg_segment_ptr 1
		.amdhsa_user_sgpr_dispatch_id 0
		.amdhsa_user_sgpr_flat_scratch_init 0
		.amdhsa_user_sgpr_private_segment_size 0
		.amdhsa_wavefront_size32 1
		.amdhsa_uses_dynamic_stack 0
		.amdhsa_system_sgpr_private_segment_wavefront_offset 0
		.amdhsa_system_sgpr_workgroup_id_x 1
		.amdhsa_system_sgpr_workgroup_id_y 1
		.amdhsa_system_sgpr_workgroup_id_z 0
		.amdhsa_system_sgpr_workgroup_info 0
		.amdhsa_system_vgpr_workitem_id 1
		.amdhsa_next_free_vgpr 13
		.amdhsa_next_free_sgpr 9
		.amdhsa_reserve_vcc 1
		.amdhsa_reserve_flat_scratch 0
		.amdhsa_float_round_mode_32 0
		.amdhsa_float_round_mode_16_64 0
		.amdhsa_float_denorm_mode_32 3
		.amdhsa_float_denorm_mode_16_64 3
		.amdhsa_dx10_clamp 1
		.amdhsa_ieee_mode 1
		.amdhsa_fp16_overflow 0
		.amdhsa_workgroup_processor_mode 1
		.amdhsa_memory_ordered 1
		.amdhsa_forward_progress 1
		.amdhsa_shared_vgpr_count 0
		.amdhsa_exception_fp_ieee_invalid_op 0
		.amdhsa_exception_fp_denorm_src 0
		.amdhsa_exception_fp_ieee_div_zero 0
		.amdhsa_exception_fp_ieee_overflow 0
		.amdhsa_exception_fp_ieee_underflow 0
		.amdhsa_exception_fp_ieee_inexact 0
		.amdhsa_exception_int_div_zero 0
	.end_amdhsa_kernel
	.section	.text._ZL13quantize_q8_1IN3c104HalfEEvPKT_Pvii,"axG",@progbits,_ZL13quantize_q8_1IN3c104HalfEEvPKT_Pvii,comdat
.Lfunc_end77:
	.size	_ZL13quantize_q8_1IN3c104HalfEEvPKT_Pvii, .Lfunc_end77-_ZL13quantize_q8_1IN3c104HalfEEvPKT_Pvii
                                        ; -- End function
	.set _ZL13quantize_q8_1IN3c104HalfEEvPKT_Pvii.num_vgpr, 13
	.set _ZL13quantize_q8_1IN3c104HalfEEvPKT_Pvii.num_agpr, 0
	.set _ZL13quantize_q8_1IN3c104HalfEEvPKT_Pvii.numbered_sgpr, 9
	.set _ZL13quantize_q8_1IN3c104HalfEEvPKT_Pvii.num_named_barrier, 0
	.set _ZL13quantize_q8_1IN3c104HalfEEvPKT_Pvii.private_seg_size, 0
	.set _ZL13quantize_q8_1IN3c104HalfEEvPKT_Pvii.uses_vcc, 1
	.set _ZL13quantize_q8_1IN3c104HalfEEvPKT_Pvii.uses_flat_scratch, 0
	.set _ZL13quantize_q8_1IN3c104HalfEEvPKT_Pvii.has_dyn_sized_stack, 0
	.set _ZL13quantize_q8_1IN3c104HalfEEvPKT_Pvii.has_recursion, 0
	.set _ZL13quantize_q8_1IN3c104HalfEEvPKT_Pvii.has_indirect_call, 0
	.section	.AMDGPU.csdata,"",@progbits
; Kernel info:
; codeLenInByte = 792
; TotalNumSgprs: 11
; NumVgprs: 13
; ScratchSize: 0
; MemoryBound: 0
; FloatMode: 240
; IeeeMode: 1
; LDSByteSize: 0 bytes/workgroup (compile time only)
; SGPRBlocks: 0
; VGPRBlocks: 1
; NumSGPRsForWavesPerEU: 11
; NumVGPRsForWavesPerEU: 13
; Occupancy: 16
; WaveLimiterHint : 0
; COMPUTE_PGM_RSRC2:SCRATCH_EN: 0
; COMPUTE_PGM_RSRC2:USER_SGPR: 6
; COMPUTE_PGM_RSRC2:TRAP_HANDLER: 0
; COMPUTE_PGM_RSRC2:TGID_X_EN: 1
; COMPUTE_PGM_RSRC2:TGID_Y_EN: 1
; COMPUTE_PGM_RSRC2:TGID_Z_EN: 0
; COMPUTE_PGM_RSRC2:TIDIG_COMP_CNT: 1
	.section	.text._ZL13mul_mat_vec_qIN3c104HalfELi32ELi4E10block_q4_0Li2EXadL_ZL17vec_dot_q4_0_q8_1PKvPK10block_q8_1RKiEEEvS4_S4_PT_iii,"axG",@progbits,_ZL13mul_mat_vec_qIN3c104HalfELi32ELi4E10block_q4_0Li2EXadL_ZL17vec_dot_q4_0_q8_1PKvPK10block_q8_1RKiEEEvS4_S4_PT_iii,comdat
	.globl	_ZL13mul_mat_vec_qIN3c104HalfELi32ELi4E10block_q4_0Li2EXadL_ZL17vec_dot_q4_0_q8_1PKvPK10block_q8_1RKiEEEvS4_S4_PT_iii ; -- Begin function _ZL13mul_mat_vec_qIN3c104HalfELi32ELi4E10block_q4_0Li2EXadL_ZL17vec_dot_q4_0_q8_1PKvPK10block_q8_1RKiEEEvS4_S4_PT_iii
	.p2align	8
	.type	_ZL13mul_mat_vec_qIN3c104HalfELi32ELi4E10block_q4_0Li2EXadL_ZL17vec_dot_q4_0_q8_1PKvPK10block_q8_1RKiEEEvS4_S4_PT_iii,@function
_ZL13mul_mat_vec_qIN3c104HalfELi32ELi4E10block_q4_0Li2EXadL_ZL17vec_dot_q4_0_q8_1PKvPK10block_q8_1RKiEEEvS4_S4_PT_iii: ; @_ZL13mul_mat_vec_qIN3c104HalfELi32ELi4E10block_q4_0Li2EXadL_ZL17vec_dot_q4_0_q8_1PKvPK10block_q8_1RKiEEEvS4_S4_PT_iii
; %bb.0:
	s_clause 0x1
	s_load_dword s8, s[4:5], 0x34
	s_load_dwordx4 s[0:3], s[4:5], 0x18
	s_waitcnt lgkmcnt(0)
	s_lshr_b32 s3, s8, 16
	s_cmp_lt_u32 s7, s2
	v_mad_u64_u32 v[1:2], null, s6, s3, v[1:2]
	s_cselect_b32 s2, -1, 0
	v_cmp_gt_u32_e32 vcc_lo, s1, v1
	s_and_b32 s2, s2, vcc_lo
	s_and_saveexec_b32 s3, s2
	s_cbranch_execz .LBB78_7
; %bb.1:
	s_load_dwordx2 s[2:3], s[4:5], 0x10
	s_ashr_i32 s6, s0, 31
	v_lshrrev_b32_e32 v3, 1, v0
	s_lshr_b32 s6, s6, 27
	v_mov_b32_e32 v2, 0
	s_add_i32 s6, s0, s6
	s_ashr_i32 s12, s6, 5
	s_mov_b32 s6, exec_lo
	v_cmpx_gt_u32_e64 s12, v3
	s_cbranch_execz .LBB78_5
; %bb.2:
	s_load_dwordx4 s[8:11], s[4:5], 0x0
	s_addk_i32 s0, 0x1ff
	v_lshlrev_b32_e32 v2, 3, v0
	s_ashr_i32 s4, s0, 31
	v_mul_lo_u32 v4, v1, s12
	s_lshr_b32 s4, s4, 23
	s_add_i32 s0, s0, s4
	v_and_b32_e32 v5, 8, v2
	s_ashr_i32 s0, s0, 9
	v_mov_b32_e32 v2, 0
	s_mul_i32 s0, s7, s0
	s_mov_b32 s4, 0
	s_lshl_b32 s0, s0, 4
.LBB78_3:                               ; =>This Inner Loop Header: Depth=1
	v_add_nc_u32_e32 v6, v4, v3
	v_add_nc_u32_e32 v8, s0, v3
	;; [unrolled: 1-line block ×3, first 2 shown]
	s_waitcnt lgkmcnt(0)
	v_mad_i64_i32 v[6:7], null, v6, 18, s[8:9]
	v_mad_i64_i32 v[8:9], null, v8, 36, s[10:11]
	v_add_co_u32 v10, vcc_lo, v6, v5
	v_add_co_ci_u32_e64 v11, null, 0, v7, vcc_lo
	v_add_co_u32 v12, vcc_lo, v8, v5
	v_add_co_ci_u32_e64 v13, null, 0, v9, vcc_lo
	global_load_dwordx2 v[10:11], v[10:11], off offset:2
	s_clause 0x2
	global_load_dwordx2 v[14:15], v[12:13], off offset:4
	global_load_dwordx2 v[12:13], v[12:13], off offset:20
	global_load_dword v8, v[8:9], off
	global_load_ushort v6, v[6:7], off
	v_mov_b32_e32 v7, 0
	v_cmp_le_u32_e32 vcc_lo, s12, v3
	s_or_b32 s4, vcc_lo, s4
	s_waitcnt vmcnt(4)
	v_lshrrev_b32_e32 v9, 4, v10
	v_and_b32_e32 v10, 0xf0f0f0f, v10
	v_and_b32_e32 v9, 0xf0f0f0f, v9
	s_waitcnt vmcnt(3)
	v_dot4c_i32_i8 v7, v10, v14
	v_and_b32_e32 v10, 0xf0f0f0f, v11
	v_lshrrev_b32_e32 v11, 4, v11
	s_waitcnt vmcnt(2)
	v_dot4c_i32_i8 v7, v9, v12
	v_and_b32_e32 v9, 0xf0f0f0f, v11
	v_dot4c_i32_i8 v7, v10, v15
	s_waitcnt vmcnt(1)
	v_cvt_f32_f16_sdwa v10, v8 dst_sel:DWORD dst_unused:UNUSED_PAD src0_sel:WORD_1
	v_dot4c_i32_i8 v7, v9, v13
	v_mul_f32_e32 v9, -4.0, v10
	v_cvt_f32_i32_e32 v7, v7
	v_fma_mix_f32 v7, v7, v8, v9 op_sel_hi:[0,1,0]
	s_waitcnt vmcnt(0)
	v_fma_mix_f32 v2, v7, v6, v2 op_sel_hi:[0,1,0]
	s_andn2_b32 exec_lo, exec_lo, s4
	s_cbranch_execnz .LBB78_3
; %bb.4:
	s_or_b32 exec_lo, exec_lo, s4
.LBB78_5:
	s_or_b32 exec_lo, exec_lo, s6
	v_mbcnt_lo_u32_b32 v3, -1, 0
	v_xor_b32_e32 v4, 16, v3
	v_xor_b32_e32 v5, 8, v3
	v_cmp_gt_i32_e32 vcc_lo, 32, v4
	v_cndmask_b32_e32 v4, v3, v4, vcc_lo
	v_cmp_gt_i32_e32 vcc_lo, 32, v5
	v_lshlrev_b32_e32 v4, 2, v4
	v_cndmask_b32_e32 v5, v3, v5, vcc_lo
	ds_bpermute_b32 v4, v4, v2
	v_lshlrev_b32_e32 v5, 2, v5
	s_waitcnt lgkmcnt(0)
	v_add_f32_e32 v2, v2, v4
	ds_bpermute_b32 v4, v5, v2
	v_xor_b32_e32 v5, 4, v3
	v_cmp_gt_i32_e32 vcc_lo, 32, v5
	v_cndmask_b32_e32 v5, v3, v5, vcc_lo
	v_lshlrev_b32_e32 v5, 2, v5
	s_waitcnt lgkmcnt(0)
	v_add_f32_e32 v2, v2, v4
	ds_bpermute_b32 v4, v5, v2
	v_xor_b32_e32 v5, 2, v3
	v_cmp_gt_i32_e32 vcc_lo, 32, v5
	v_cndmask_b32_e32 v5, v3, v5, vcc_lo
	;; [unrolled: 7-line block ×3, first 2 shown]
	v_cmp_eq_u32_e32 vcc_lo, 0, v0
	v_lshlrev_b32_e32 v3, 2, v3
	s_waitcnt lgkmcnt(0)
	v_add_f32_e32 v2, v2, v4
	ds_bpermute_b32 v3, v3, v2
	s_and_b32 exec_lo, exec_lo, vcc_lo
	s_cbranch_execz .LBB78_7
; %bb.6:
	v_mad_u64_u32 v[0:1], null, s1, s7, v[1:2]
	v_mov_b32_e32 v1, 0
	s_waitcnt lgkmcnt(0)
	v_add_f32_e32 v2, v2, v3
	v_cvt_f16_f32_e32 v2, v2
	v_lshlrev_b64 v[0:1], 1, v[0:1]
	v_add_co_u32 v0, vcc_lo, s2, v0
	v_add_co_ci_u32_e64 v1, null, s3, v1, vcc_lo
	global_store_short v[0:1], v2, off
.LBB78_7:
	s_endpgm
	.section	.rodata,"a",@progbits
	.p2align	6, 0x0
	.amdhsa_kernel _ZL13mul_mat_vec_qIN3c104HalfELi32ELi4E10block_q4_0Li2EXadL_ZL17vec_dot_q4_0_q8_1PKvPK10block_q8_1RKiEEEvS4_S4_PT_iii
		.amdhsa_group_segment_fixed_size 0
		.amdhsa_private_segment_fixed_size 0
		.amdhsa_kernarg_size 296
		.amdhsa_user_sgpr_count 6
		.amdhsa_user_sgpr_private_segment_buffer 1
		.amdhsa_user_sgpr_dispatch_ptr 0
		.amdhsa_user_sgpr_queue_ptr 0
		.amdhsa_user_sgpr_kernarg_segment_ptr 1
		.amdhsa_user_sgpr_dispatch_id 0
		.amdhsa_user_sgpr_flat_scratch_init 0
		.amdhsa_user_sgpr_private_segment_size 0
		.amdhsa_wavefront_size32 1
		.amdhsa_uses_dynamic_stack 0
		.amdhsa_system_sgpr_private_segment_wavefront_offset 0
		.amdhsa_system_sgpr_workgroup_id_x 1
		.amdhsa_system_sgpr_workgroup_id_y 1
		.amdhsa_system_sgpr_workgroup_id_z 0
		.amdhsa_system_sgpr_workgroup_info 0
		.amdhsa_system_vgpr_workitem_id 1
		.amdhsa_next_free_vgpr 16
		.amdhsa_next_free_sgpr 13
		.amdhsa_reserve_vcc 1
		.amdhsa_reserve_flat_scratch 0
		.amdhsa_float_round_mode_32 0
		.amdhsa_float_round_mode_16_64 0
		.amdhsa_float_denorm_mode_32 3
		.amdhsa_float_denorm_mode_16_64 3
		.amdhsa_dx10_clamp 1
		.amdhsa_ieee_mode 1
		.amdhsa_fp16_overflow 0
		.amdhsa_workgroup_processor_mode 1
		.amdhsa_memory_ordered 1
		.amdhsa_forward_progress 1
		.amdhsa_shared_vgpr_count 0
		.amdhsa_exception_fp_ieee_invalid_op 0
		.amdhsa_exception_fp_denorm_src 0
		.amdhsa_exception_fp_ieee_div_zero 0
		.amdhsa_exception_fp_ieee_overflow 0
		.amdhsa_exception_fp_ieee_underflow 0
		.amdhsa_exception_fp_ieee_inexact 0
		.amdhsa_exception_int_div_zero 0
	.end_amdhsa_kernel
	.section	.text._ZL13mul_mat_vec_qIN3c104HalfELi32ELi4E10block_q4_0Li2EXadL_ZL17vec_dot_q4_0_q8_1PKvPK10block_q8_1RKiEEEvS4_S4_PT_iii,"axG",@progbits,_ZL13mul_mat_vec_qIN3c104HalfELi32ELi4E10block_q4_0Li2EXadL_ZL17vec_dot_q4_0_q8_1PKvPK10block_q8_1RKiEEEvS4_S4_PT_iii,comdat
.Lfunc_end78:
	.size	_ZL13mul_mat_vec_qIN3c104HalfELi32ELi4E10block_q4_0Li2EXadL_ZL17vec_dot_q4_0_q8_1PKvPK10block_q8_1RKiEEEvS4_S4_PT_iii, .Lfunc_end78-_ZL13mul_mat_vec_qIN3c104HalfELi32ELi4E10block_q4_0Li2EXadL_ZL17vec_dot_q4_0_q8_1PKvPK10block_q8_1RKiEEEvS4_S4_PT_iii
                                        ; -- End function
	.set _ZL13mul_mat_vec_qIN3c104HalfELi32ELi4E10block_q4_0Li2EXadL_ZL17vec_dot_q4_0_q8_1PKvPK10block_q8_1RKiEEEvS4_S4_PT_iii.num_vgpr, 16
	.set _ZL13mul_mat_vec_qIN3c104HalfELi32ELi4E10block_q4_0Li2EXadL_ZL17vec_dot_q4_0_q8_1PKvPK10block_q8_1RKiEEEvS4_S4_PT_iii.num_agpr, 0
	.set _ZL13mul_mat_vec_qIN3c104HalfELi32ELi4E10block_q4_0Li2EXadL_ZL17vec_dot_q4_0_q8_1PKvPK10block_q8_1RKiEEEvS4_S4_PT_iii.numbered_sgpr, 13
	.set _ZL13mul_mat_vec_qIN3c104HalfELi32ELi4E10block_q4_0Li2EXadL_ZL17vec_dot_q4_0_q8_1PKvPK10block_q8_1RKiEEEvS4_S4_PT_iii.num_named_barrier, 0
	.set _ZL13mul_mat_vec_qIN3c104HalfELi32ELi4E10block_q4_0Li2EXadL_ZL17vec_dot_q4_0_q8_1PKvPK10block_q8_1RKiEEEvS4_S4_PT_iii.private_seg_size, 0
	.set _ZL13mul_mat_vec_qIN3c104HalfELi32ELi4E10block_q4_0Li2EXadL_ZL17vec_dot_q4_0_q8_1PKvPK10block_q8_1RKiEEEvS4_S4_PT_iii.uses_vcc, 1
	.set _ZL13mul_mat_vec_qIN3c104HalfELi32ELi4E10block_q4_0Li2EXadL_ZL17vec_dot_q4_0_q8_1PKvPK10block_q8_1RKiEEEvS4_S4_PT_iii.uses_flat_scratch, 0
	.set _ZL13mul_mat_vec_qIN3c104HalfELi32ELi4E10block_q4_0Li2EXadL_ZL17vec_dot_q4_0_q8_1PKvPK10block_q8_1RKiEEEvS4_S4_PT_iii.has_dyn_sized_stack, 0
	.set _ZL13mul_mat_vec_qIN3c104HalfELi32ELi4E10block_q4_0Li2EXadL_ZL17vec_dot_q4_0_q8_1PKvPK10block_q8_1RKiEEEvS4_S4_PT_iii.has_recursion, 0
	.set _ZL13mul_mat_vec_qIN3c104HalfELi32ELi4E10block_q4_0Li2EXadL_ZL17vec_dot_q4_0_q8_1PKvPK10block_q8_1RKiEEEvS4_S4_PT_iii.has_indirect_call, 0
	.section	.AMDGPU.csdata,"",@progbits
; Kernel info:
; codeLenInByte = 644
; TotalNumSgprs: 15
; NumVgprs: 16
; ScratchSize: 0
; MemoryBound: 0
; FloatMode: 240
; IeeeMode: 1
; LDSByteSize: 0 bytes/workgroup (compile time only)
; SGPRBlocks: 0
; VGPRBlocks: 1
; NumSGPRsForWavesPerEU: 15
; NumVGPRsForWavesPerEU: 16
; Occupancy: 16
; WaveLimiterHint : 0
; COMPUTE_PGM_RSRC2:SCRATCH_EN: 0
; COMPUTE_PGM_RSRC2:USER_SGPR: 6
; COMPUTE_PGM_RSRC2:TRAP_HANDLER: 0
; COMPUTE_PGM_RSRC2:TGID_X_EN: 1
; COMPUTE_PGM_RSRC2:TGID_Y_EN: 1
; COMPUTE_PGM_RSRC2:TGID_Z_EN: 0
; COMPUTE_PGM_RSRC2:TIDIG_COMP_CNT: 1
	.section	.text._ZL13mul_mat_vec_qIN3c104HalfELi32ELi4E10block_q4_1Li2EXadL_ZL17vec_dot_q4_1_q8_1PKvPK10block_q8_1RKiEEEvS4_S4_PT_iii,"axG",@progbits,_ZL13mul_mat_vec_qIN3c104HalfELi32ELi4E10block_q4_1Li2EXadL_ZL17vec_dot_q4_1_q8_1PKvPK10block_q8_1RKiEEEvS4_S4_PT_iii,comdat
	.globl	_ZL13mul_mat_vec_qIN3c104HalfELi32ELi4E10block_q4_1Li2EXadL_ZL17vec_dot_q4_1_q8_1PKvPK10block_q8_1RKiEEEvS4_S4_PT_iii ; -- Begin function _ZL13mul_mat_vec_qIN3c104HalfELi32ELi4E10block_q4_1Li2EXadL_ZL17vec_dot_q4_1_q8_1PKvPK10block_q8_1RKiEEEvS4_S4_PT_iii
	.p2align	8
	.type	_ZL13mul_mat_vec_qIN3c104HalfELi32ELi4E10block_q4_1Li2EXadL_ZL17vec_dot_q4_1_q8_1PKvPK10block_q8_1RKiEEEvS4_S4_PT_iii,@function
_ZL13mul_mat_vec_qIN3c104HalfELi32ELi4E10block_q4_1Li2EXadL_ZL17vec_dot_q4_1_q8_1PKvPK10block_q8_1RKiEEEvS4_S4_PT_iii: ; @_ZL13mul_mat_vec_qIN3c104HalfELi32ELi4E10block_q4_1Li2EXadL_ZL17vec_dot_q4_1_q8_1PKvPK10block_q8_1RKiEEEvS4_S4_PT_iii
; %bb.0:
	s_clause 0x1
	s_load_dword s8, s[4:5], 0x34
	s_load_dwordx4 s[0:3], s[4:5], 0x18
	s_waitcnt lgkmcnt(0)
	s_lshr_b32 s3, s8, 16
	s_cmp_lt_u32 s7, s2
	v_mad_u64_u32 v[1:2], null, s6, s3, v[1:2]
	s_cselect_b32 s2, -1, 0
	v_cmp_gt_u32_e32 vcc_lo, s1, v1
	s_and_b32 s2, s2, vcc_lo
	s_and_saveexec_b32 s3, s2
	s_cbranch_execz .LBB79_7
; %bb.1:
	s_load_dwordx2 s[2:3], s[4:5], 0x10
	s_ashr_i32 s6, s0, 31
	v_lshrrev_b32_e32 v3, 1, v0
	s_lshr_b32 s6, s6, 27
	v_mov_b32_e32 v2, 0
	s_add_i32 s6, s0, s6
	s_ashr_i32 s12, s6, 5
	s_mov_b32 s6, exec_lo
	v_cmpx_gt_u32_e64 s12, v3
	s_cbranch_execz .LBB79_5
; %bb.2:
	s_load_dwordx4 s[8:11], s[4:5], 0x0
	s_addk_i32 s0, 0x1ff
	v_lshlrev_b32_e32 v2, 3, v0
	s_ashr_i32 s4, s0, 31
	v_mul_lo_u32 v4, v1, s12
	s_lshr_b32 s4, s4, 23
	s_add_i32 s0, s0, s4
	v_and_b32_e32 v5, 8, v2
	s_ashr_i32 s0, s0, 9
	v_mov_b32_e32 v2, 0
	s_mul_i32 s0, s7, s0
	s_mov_b32 s4, 0
	s_lshl_b32 s0, s0, 4
.LBB79_3:                               ; =>This Inner Loop Header: Depth=1
	v_add_nc_u32_e32 v6, v4, v3
	v_add_nc_u32_e32 v8, s0, v3
	;; [unrolled: 1-line block ×3, first 2 shown]
	s_waitcnt lgkmcnt(0)
	v_mad_i64_i32 v[6:7], null, v6, 20, s[8:9]
	v_mad_i64_i32 v[8:9], null, v8, 36, s[10:11]
	v_add_co_u32 v10, vcc_lo, v6, v5
	v_add_co_ci_u32_e64 v11, null, 0, v7, vcc_lo
	v_add_co_u32 v12, vcc_lo, v8, v5
	v_add_co_ci_u32_e64 v13, null, 0, v9, vcc_lo
	global_load_dwordx2 v[10:11], v[10:11], off offset:4
	s_clause 0x1
	global_load_dwordx2 v[14:15], v[12:13], off offset:4
	global_load_dwordx2 v[12:13], v[12:13], off offset:20
	global_load_dword v6, v[6:7], off
	global_load_dword v7, v[8:9], off
	v_mov_b32_e32 v8, 0
	v_cmp_le_u32_e32 vcc_lo, s12, v3
	s_or_b32 s4, vcc_lo, s4
	s_waitcnt vmcnt(4)
	v_lshrrev_b32_e32 v9, 4, v10
	v_and_b32_e32 v10, 0xf0f0f0f, v10
	s_waitcnt vmcnt(0)
	v_pk_mul_f16 v6, v6, v7
	v_and_b32_e32 v9, 0xf0f0f0f, v9
	v_dot4c_i32_i8 v8, v10, v14
	v_and_b32_e32 v10, 0xf0f0f0f, v11
	v_lshrrev_b32_e32 v11, 4, v11
	v_dot4c_i32_i8 v8, v9, v12
	v_cvt_f32_f16_sdwa v9, v6 dst_sel:DWORD dst_unused:UNUSED_PAD src0_sel:WORD_1
	v_and_b32_e32 v7, 0xf0f0f0f, v11
	v_dot4c_i32_i8 v8, v10, v15
	v_dot4c_i32_i8 v8, v7, v13
	v_mul_f32_e32 v7, 0.5, v9
	v_cvt_f32_i32_e32 v8, v8
	v_fma_mix_f32 v6, v8, v6, v7 op_sel_hi:[0,1,0]
	v_add_f32_e32 v2, v2, v6
	s_andn2_b32 exec_lo, exec_lo, s4
	s_cbranch_execnz .LBB79_3
; %bb.4:
	s_or_b32 exec_lo, exec_lo, s4
.LBB79_5:
	s_or_b32 exec_lo, exec_lo, s6
	v_mbcnt_lo_u32_b32 v3, -1, 0
	v_xor_b32_e32 v4, 16, v3
	v_xor_b32_e32 v5, 8, v3
	v_cmp_gt_i32_e32 vcc_lo, 32, v4
	v_cndmask_b32_e32 v4, v3, v4, vcc_lo
	v_cmp_gt_i32_e32 vcc_lo, 32, v5
	v_lshlrev_b32_e32 v4, 2, v4
	v_cndmask_b32_e32 v5, v3, v5, vcc_lo
	ds_bpermute_b32 v4, v4, v2
	v_lshlrev_b32_e32 v5, 2, v5
	s_waitcnt lgkmcnt(0)
	v_add_f32_e32 v2, v2, v4
	ds_bpermute_b32 v4, v5, v2
	v_xor_b32_e32 v5, 4, v3
	v_cmp_gt_i32_e32 vcc_lo, 32, v5
	v_cndmask_b32_e32 v5, v3, v5, vcc_lo
	v_lshlrev_b32_e32 v5, 2, v5
	s_waitcnt lgkmcnt(0)
	v_add_f32_e32 v2, v2, v4
	ds_bpermute_b32 v4, v5, v2
	v_xor_b32_e32 v5, 2, v3
	v_cmp_gt_i32_e32 vcc_lo, 32, v5
	v_cndmask_b32_e32 v5, v3, v5, vcc_lo
	;; [unrolled: 7-line block ×3, first 2 shown]
	v_cmp_eq_u32_e32 vcc_lo, 0, v0
	v_lshlrev_b32_e32 v3, 2, v3
	s_waitcnt lgkmcnt(0)
	v_add_f32_e32 v2, v2, v4
	ds_bpermute_b32 v3, v3, v2
	s_and_b32 exec_lo, exec_lo, vcc_lo
	s_cbranch_execz .LBB79_7
; %bb.6:
	v_mad_u64_u32 v[0:1], null, s1, s7, v[1:2]
	v_mov_b32_e32 v1, 0
	s_waitcnt lgkmcnt(0)
	v_add_f32_e32 v2, v2, v3
	v_cvt_f16_f32_e32 v2, v2
	v_lshlrev_b64 v[0:1], 1, v[0:1]
	v_add_co_u32 v0, vcc_lo, s2, v0
	v_add_co_ci_u32_e64 v1, null, s3, v1, vcc_lo
	global_store_short v[0:1], v2, off
.LBB79_7:
	s_endpgm
	.section	.rodata,"a",@progbits
	.p2align	6, 0x0
	.amdhsa_kernel _ZL13mul_mat_vec_qIN3c104HalfELi32ELi4E10block_q4_1Li2EXadL_ZL17vec_dot_q4_1_q8_1PKvPK10block_q8_1RKiEEEvS4_S4_PT_iii
		.amdhsa_group_segment_fixed_size 0
		.amdhsa_private_segment_fixed_size 0
		.amdhsa_kernarg_size 296
		.amdhsa_user_sgpr_count 6
		.amdhsa_user_sgpr_private_segment_buffer 1
		.amdhsa_user_sgpr_dispatch_ptr 0
		.amdhsa_user_sgpr_queue_ptr 0
		.amdhsa_user_sgpr_kernarg_segment_ptr 1
		.amdhsa_user_sgpr_dispatch_id 0
		.amdhsa_user_sgpr_flat_scratch_init 0
		.amdhsa_user_sgpr_private_segment_size 0
		.amdhsa_wavefront_size32 1
		.amdhsa_uses_dynamic_stack 0
		.amdhsa_system_sgpr_private_segment_wavefront_offset 0
		.amdhsa_system_sgpr_workgroup_id_x 1
		.amdhsa_system_sgpr_workgroup_id_y 1
		.amdhsa_system_sgpr_workgroup_id_z 0
		.amdhsa_system_sgpr_workgroup_info 0
		.amdhsa_system_vgpr_workitem_id 1
		.amdhsa_next_free_vgpr 16
		.amdhsa_next_free_sgpr 13
		.amdhsa_reserve_vcc 1
		.amdhsa_reserve_flat_scratch 0
		.amdhsa_float_round_mode_32 0
		.amdhsa_float_round_mode_16_64 0
		.amdhsa_float_denorm_mode_32 3
		.amdhsa_float_denorm_mode_16_64 3
		.amdhsa_dx10_clamp 1
		.amdhsa_ieee_mode 1
		.amdhsa_fp16_overflow 0
		.amdhsa_workgroup_processor_mode 1
		.amdhsa_memory_ordered 1
		.amdhsa_forward_progress 1
		.amdhsa_shared_vgpr_count 0
		.amdhsa_exception_fp_ieee_invalid_op 0
		.amdhsa_exception_fp_denorm_src 0
		.amdhsa_exception_fp_ieee_div_zero 0
		.amdhsa_exception_fp_ieee_overflow 0
		.amdhsa_exception_fp_ieee_underflow 0
		.amdhsa_exception_fp_ieee_inexact 0
		.amdhsa_exception_int_div_zero 0
	.end_amdhsa_kernel
	.section	.text._ZL13mul_mat_vec_qIN3c104HalfELi32ELi4E10block_q4_1Li2EXadL_ZL17vec_dot_q4_1_q8_1PKvPK10block_q8_1RKiEEEvS4_S4_PT_iii,"axG",@progbits,_ZL13mul_mat_vec_qIN3c104HalfELi32ELi4E10block_q4_1Li2EXadL_ZL17vec_dot_q4_1_q8_1PKvPK10block_q8_1RKiEEEvS4_S4_PT_iii,comdat
.Lfunc_end79:
	.size	_ZL13mul_mat_vec_qIN3c104HalfELi32ELi4E10block_q4_1Li2EXadL_ZL17vec_dot_q4_1_q8_1PKvPK10block_q8_1RKiEEEvS4_S4_PT_iii, .Lfunc_end79-_ZL13mul_mat_vec_qIN3c104HalfELi32ELi4E10block_q4_1Li2EXadL_ZL17vec_dot_q4_1_q8_1PKvPK10block_q8_1RKiEEEvS4_S4_PT_iii
                                        ; -- End function
	.set _ZL13mul_mat_vec_qIN3c104HalfELi32ELi4E10block_q4_1Li2EXadL_ZL17vec_dot_q4_1_q8_1PKvPK10block_q8_1RKiEEEvS4_S4_PT_iii.num_vgpr, 16
	.set _ZL13mul_mat_vec_qIN3c104HalfELi32ELi4E10block_q4_1Li2EXadL_ZL17vec_dot_q4_1_q8_1PKvPK10block_q8_1RKiEEEvS4_S4_PT_iii.num_agpr, 0
	.set _ZL13mul_mat_vec_qIN3c104HalfELi32ELi4E10block_q4_1Li2EXadL_ZL17vec_dot_q4_1_q8_1PKvPK10block_q8_1RKiEEEvS4_S4_PT_iii.numbered_sgpr, 13
	.set _ZL13mul_mat_vec_qIN3c104HalfELi32ELi4E10block_q4_1Li2EXadL_ZL17vec_dot_q4_1_q8_1PKvPK10block_q8_1RKiEEEvS4_S4_PT_iii.num_named_barrier, 0
	.set _ZL13mul_mat_vec_qIN3c104HalfELi32ELi4E10block_q4_1Li2EXadL_ZL17vec_dot_q4_1_q8_1PKvPK10block_q8_1RKiEEEvS4_S4_PT_iii.private_seg_size, 0
	.set _ZL13mul_mat_vec_qIN3c104HalfELi32ELi4E10block_q4_1Li2EXadL_ZL17vec_dot_q4_1_q8_1PKvPK10block_q8_1RKiEEEvS4_S4_PT_iii.uses_vcc, 1
	.set _ZL13mul_mat_vec_qIN3c104HalfELi32ELi4E10block_q4_1Li2EXadL_ZL17vec_dot_q4_1_q8_1PKvPK10block_q8_1RKiEEEvS4_S4_PT_iii.uses_flat_scratch, 0
	.set _ZL13mul_mat_vec_qIN3c104HalfELi32ELi4E10block_q4_1Li2EXadL_ZL17vec_dot_q4_1_q8_1PKvPK10block_q8_1RKiEEEvS4_S4_PT_iii.has_dyn_sized_stack, 0
	.set _ZL13mul_mat_vec_qIN3c104HalfELi32ELi4E10block_q4_1Li2EXadL_ZL17vec_dot_q4_1_q8_1PKvPK10block_q8_1RKiEEEvS4_S4_PT_iii.has_recursion, 0
	.set _ZL13mul_mat_vec_qIN3c104HalfELi32ELi4E10block_q4_1Li2EXadL_ZL17vec_dot_q4_1_q8_1PKvPK10block_q8_1RKiEEEvS4_S4_PT_iii.has_indirect_call, 0
	.section	.AMDGPU.csdata,"",@progbits
; Kernel info:
; codeLenInByte = 636
; TotalNumSgprs: 15
; NumVgprs: 16
; ScratchSize: 0
; MemoryBound: 0
; FloatMode: 240
; IeeeMode: 1
; LDSByteSize: 0 bytes/workgroup (compile time only)
; SGPRBlocks: 0
; VGPRBlocks: 1
; NumSGPRsForWavesPerEU: 15
; NumVGPRsForWavesPerEU: 16
; Occupancy: 16
; WaveLimiterHint : 0
; COMPUTE_PGM_RSRC2:SCRATCH_EN: 0
; COMPUTE_PGM_RSRC2:USER_SGPR: 6
; COMPUTE_PGM_RSRC2:TRAP_HANDLER: 0
; COMPUTE_PGM_RSRC2:TGID_X_EN: 1
; COMPUTE_PGM_RSRC2:TGID_Y_EN: 1
; COMPUTE_PGM_RSRC2:TGID_Z_EN: 0
; COMPUTE_PGM_RSRC2:TIDIG_COMP_CNT: 1
	.section	.text._ZL13mul_mat_vec_qIN3c104HalfELi32ELi4E10block_q5_0Li2EXadL_ZL17vec_dot_q5_0_q8_1PKvPK10block_q8_1RKiEEEvS4_S4_PT_iii,"axG",@progbits,_ZL13mul_mat_vec_qIN3c104HalfELi32ELi4E10block_q5_0Li2EXadL_ZL17vec_dot_q5_0_q8_1PKvPK10block_q8_1RKiEEEvS4_S4_PT_iii,comdat
	.globl	_ZL13mul_mat_vec_qIN3c104HalfELi32ELi4E10block_q5_0Li2EXadL_ZL17vec_dot_q5_0_q8_1PKvPK10block_q8_1RKiEEEvS4_S4_PT_iii ; -- Begin function _ZL13mul_mat_vec_qIN3c104HalfELi32ELi4E10block_q5_0Li2EXadL_ZL17vec_dot_q5_0_q8_1PKvPK10block_q8_1RKiEEEvS4_S4_PT_iii
	.p2align	8
	.type	_ZL13mul_mat_vec_qIN3c104HalfELi32ELi4E10block_q5_0Li2EXadL_ZL17vec_dot_q5_0_q8_1PKvPK10block_q8_1RKiEEEvS4_S4_PT_iii,@function
_ZL13mul_mat_vec_qIN3c104HalfELi32ELi4E10block_q5_0Li2EXadL_ZL17vec_dot_q5_0_q8_1PKvPK10block_q8_1RKiEEEvS4_S4_PT_iii: ; @_ZL13mul_mat_vec_qIN3c104HalfELi32ELi4E10block_q5_0Li2EXadL_ZL17vec_dot_q5_0_q8_1PKvPK10block_q8_1RKiEEEvS4_S4_PT_iii
; %bb.0:
	s_clause 0x1
	s_load_dword s8, s[4:5], 0x34
	s_load_dwordx4 s[0:3], s[4:5], 0x18
	s_waitcnt lgkmcnt(0)
	s_lshr_b32 s3, s8, 16
	s_cmp_lt_u32 s7, s2
	v_mad_u64_u32 v[1:2], null, s6, s3, v[1:2]
	s_cselect_b32 s2, -1, 0
	v_cmp_gt_u32_e32 vcc_lo, s1, v1
	s_and_b32 s2, s2, vcc_lo
	s_and_saveexec_b32 s3, s2
	s_cbranch_execz .LBB80_7
; %bb.1:
	s_load_dwordx2 s[2:3], s[4:5], 0x10
	s_ashr_i32 s6, s0, 31
	v_lshrrev_b32_e32 v2, 1, v0
	s_lshr_b32 s6, s6, 27
	v_mov_b32_e32 v3, 0
	s_add_i32 s6, s0, s6
	s_ashr_i32 s12, s6, 5
	s_mov_b32 s6, exec_lo
	v_cmpx_gt_u32_e64 s12, v2
	s_cbranch_execz .LBB80_5
; %bb.2:
	s_load_dwordx4 s[8:11], s[4:5], 0x0
	v_lshlrev_b32_e32 v3, 3, v0
	s_addk_i32 s0, 0x1ff
	v_mul_lo_u32 v5, v1, s12
	s_ashr_i32 s4, s0, 31
	s_lshr_b32 s4, s4, 23
	v_and_b32_e32 v4, 8, v3
	s_add_i32 s0, s0, s4
	v_mov_b32_e32 v3, 0
	s_ashr_i32 s0, s0, 9
	v_or_b32_e32 v6, 4, v4
	s_mul_i32 s0, s7, s0
	s_lshl_b32 s4, s0, 4
	s_mov_b32 s0, 0
.LBB80_3:                               ; =>This Inner Loop Header: Depth=1
	v_add_nc_u32_e32 v7, v5, v2
	v_add_nc_u32_e32 v11, s4, v2
	;; [unrolled: 1-line block ×3, first 2 shown]
	s_waitcnt lgkmcnt(0)
	v_mad_i64_i32 v[7:8], null, v7, 22, s[8:9]
	v_mad_i64_i32 v[11:12], null, v11, 36, s[10:11]
	v_add_co_u32 v9, vcc_lo, v7, v4
	v_add_co_ci_u32_e64 v10, null, 0, v8, vcc_lo
	v_add_co_u32 v13, vcc_lo, v11, v4
	s_clause 0x1
	global_load_dword v17, v[7:8], off offset:2
	global_load_dwordx2 v[9:10], v[9:10], off offset:6
	v_add_co_ci_u32_e64 v14, null, 0, v12, vcc_lo
	s_clause 0x2
	global_load_dwordx2 v[15:16], v[13:14], off offset:4
	global_load_dwordx2 v[13:14], v[13:14], off offset:20
	global_load_dword v11, v[11:12], off
	global_load_ushort v7, v[7:8], off
	v_mov_b32_e32 v8, 0
	v_cmp_le_u32_e32 vcc_lo, s12, v2
	s_or_b32 s0, vcc_lo, s0
	s_waitcnt vmcnt(5)
	v_ashrrev_i32_e32 v12, v4, v17
	v_ashrrev_i32_e32 v17, v6, v17
	s_waitcnt vmcnt(4)
	v_and_b32_e32 v18, 0xf0f0f0f, v9
	v_lshrrev_b32_e32 v9, 4, v9
	v_and_b32_e32 v26, 0xf0f0f0f, v10
	v_lshlrev_b32_e32 v19, 4, v12
	v_lshlrev_b32_e32 v20, 11, v12
	;; [unrolled: 1-line block ×4, first 2 shown]
	v_lshrrev_b32_e32 v23, 12, v12
	v_lshrrev_b32_e32 v24, 5, v12
	v_lshlrev_b32_e32 v25, 2, v12
	v_and_b32_e32 v19, 16, v19
	v_and_b32_e32 v20, 0x1000, v20
	v_lshlrev_b32_e32 v12, 9, v12
	v_lshlrev_b32_e32 v27, 4, v17
	;; [unrolled: 1-line block ×4, first 2 shown]
	v_and_b32_e32 v21, 0x100000, v21
	v_and_b32_e32 v22, 0x10000000, v22
	;; [unrolled: 1-line block ×5, first 2 shown]
	v_or3_b32 v18, v19, v18, v20
	v_lshlrev_b32_e32 v30, 25, v17
	v_lshrrev_b32_e32 v31, 12, v17
	v_lshrrev_b32_e32 v32, 5, v17
	v_lshlrev_b32_e32 v33, 2, v17
	v_and_b32_e32 v9, 0xf0f0f0f, v9
	v_and_b32_e32 v12, 0x10000000, v12
	;; [unrolled: 1-line block ×5, first 2 shown]
	v_or3_b32 v23, v24, v23, v25
	v_or3_b32 v18, v18, v21, v22
	v_lshrrev_b32_e32 v10, 4, v10
	v_lshlrev_b32_e32 v17, 9, v17
	v_and_b32_e32 v20, 0x10000000, v30
	v_and_b32_e32 v29, 16, v31
	;; [unrolled: 1-line block ×4, first 2 shown]
	v_or3_b32 v19, v28, v27, v19
	v_or3_b32 v9, v23, v12, v9
	s_waitcnt vmcnt(3)
	v_dot4c_i32_i8 v8, v18, v15
	v_and_b32_e32 v10, 0xf0f0f0f, v10
	v_and_b32_e32 v12, 0x10000000, v17
	v_or3_b32 v15, v21, v29, v22
	v_or3_b32 v17, v19, v20, v26
	s_waitcnt vmcnt(2)
	v_dot4c_i32_i8 v8, v9, v13
	v_or3_b32 v9, v15, v12, v10
	s_waitcnt vmcnt(1)
	v_cvt_f32_f16_sdwa v10, v11 dst_sel:DWORD dst_unused:UNUSED_PAD src0_sel:WORD_1
	v_dot4c_i32_i8 v8, v17, v16
	v_dot4c_i32_i8 v8, v9, v14
	v_mul_f32_e32 v9, 0xc1000000, v10
	v_cvt_f32_i32_e32 v8, v8
	v_fma_mix_f32 v8, v11, v8, v9 op_sel_hi:[1,0,0]
	s_waitcnt vmcnt(0)
	v_fma_mix_f32 v3, v8, v7, v3 op_sel_hi:[0,1,0]
	s_andn2_b32 exec_lo, exec_lo, s0
	s_cbranch_execnz .LBB80_3
; %bb.4:
	s_or_b32 exec_lo, exec_lo, s0
.LBB80_5:
	s_or_b32 exec_lo, exec_lo, s6
	v_mbcnt_lo_u32_b32 v2, -1, 0
	v_xor_b32_e32 v4, 16, v2
	v_xor_b32_e32 v5, 8, v2
	v_cmp_gt_i32_e32 vcc_lo, 32, v4
	v_cndmask_b32_e32 v4, v2, v4, vcc_lo
	v_cmp_gt_i32_e32 vcc_lo, 32, v5
	v_lshlrev_b32_e32 v4, 2, v4
	v_cndmask_b32_e32 v5, v2, v5, vcc_lo
	ds_bpermute_b32 v4, v4, v3
	v_lshlrev_b32_e32 v5, 2, v5
	s_waitcnt lgkmcnt(0)
	v_add_f32_e32 v3, v3, v4
	ds_bpermute_b32 v4, v5, v3
	v_xor_b32_e32 v5, 4, v2
	v_cmp_gt_i32_e32 vcc_lo, 32, v5
	v_cndmask_b32_e32 v5, v2, v5, vcc_lo
	v_lshlrev_b32_e32 v5, 2, v5
	s_waitcnt lgkmcnt(0)
	v_add_f32_e32 v3, v3, v4
	ds_bpermute_b32 v4, v5, v3
	v_xor_b32_e32 v5, 2, v2
	v_cmp_gt_i32_e32 vcc_lo, 32, v5
	v_cndmask_b32_e32 v5, v2, v5, vcc_lo
	;; [unrolled: 7-line block ×3, first 2 shown]
	v_cmp_eq_u32_e32 vcc_lo, 0, v0
	s_waitcnt lgkmcnt(0)
	v_add_f32_e32 v2, v3, v4
	v_lshlrev_b32_e32 v3, 2, v5
	ds_bpermute_b32 v3, v3, v2
	s_and_b32 exec_lo, exec_lo, vcc_lo
	s_cbranch_execz .LBB80_7
; %bb.6:
	v_mad_u64_u32 v[0:1], null, s1, s7, v[1:2]
	v_mov_b32_e32 v1, 0
	s_waitcnt lgkmcnt(0)
	v_add_f32_e32 v2, v2, v3
	v_cvt_f16_f32_e32 v2, v2
	v_lshlrev_b64 v[0:1], 1, v[0:1]
	v_add_co_u32 v0, vcc_lo, s2, v0
	v_add_co_ci_u32_e64 v1, null, s3, v1, vcc_lo
	global_store_short v[0:1], v2, off
.LBB80_7:
	s_endpgm
	.section	.rodata,"a",@progbits
	.p2align	6, 0x0
	.amdhsa_kernel _ZL13mul_mat_vec_qIN3c104HalfELi32ELi4E10block_q5_0Li2EXadL_ZL17vec_dot_q5_0_q8_1PKvPK10block_q8_1RKiEEEvS4_S4_PT_iii
		.amdhsa_group_segment_fixed_size 0
		.amdhsa_private_segment_fixed_size 0
		.amdhsa_kernarg_size 296
		.amdhsa_user_sgpr_count 6
		.amdhsa_user_sgpr_private_segment_buffer 1
		.amdhsa_user_sgpr_dispatch_ptr 0
		.amdhsa_user_sgpr_queue_ptr 0
		.amdhsa_user_sgpr_kernarg_segment_ptr 1
		.amdhsa_user_sgpr_dispatch_id 0
		.amdhsa_user_sgpr_flat_scratch_init 0
		.amdhsa_user_sgpr_private_segment_size 0
		.amdhsa_wavefront_size32 1
		.amdhsa_uses_dynamic_stack 0
		.amdhsa_system_sgpr_private_segment_wavefront_offset 0
		.amdhsa_system_sgpr_workgroup_id_x 1
		.amdhsa_system_sgpr_workgroup_id_y 1
		.amdhsa_system_sgpr_workgroup_id_z 0
		.amdhsa_system_sgpr_workgroup_info 0
		.amdhsa_system_vgpr_workitem_id 1
		.amdhsa_next_free_vgpr 34
		.amdhsa_next_free_sgpr 13
		.amdhsa_reserve_vcc 1
		.amdhsa_reserve_flat_scratch 0
		.amdhsa_float_round_mode_32 0
		.amdhsa_float_round_mode_16_64 0
		.amdhsa_float_denorm_mode_32 3
		.amdhsa_float_denorm_mode_16_64 3
		.amdhsa_dx10_clamp 1
		.amdhsa_ieee_mode 1
		.amdhsa_fp16_overflow 0
		.amdhsa_workgroup_processor_mode 1
		.amdhsa_memory_ordered 1
		.amdhsa_forward_progress 1
		.amdhsa_shared_vgpr_count 0
		.amdhsa_exception_fp_ieee_invalid_op 0
		.amdhsa_exception_fp_denorm_src 0
		.amdhsa_exception_fp_ieee_div_zero 0
		.amdhsa_exception_fp_ieee_overflow 0
		.amdhsa_exception_fp_ieee_underflow 0
		.amdhsa_exception_fp_ieee_inexact 0
		.amdhsa_exception_int_div_zero 0
	.end_amdhsa_kernel
	.section	.text._ZL13mul_mat_vec_qIN3c104HalfELi32ELi4E10block_q5_0Li2EXadL_ZL17vec_dot_q5_0_q8_1PKvPK10block_q8_1RKiEEEvS4_S4_PT_iii,"axG",@progbits,_ZL13mul_mat_vec_qIN3c104HalfELi32ELi4E10block_q5_0Li2EXadL_ZL17vec_dot_q5_0_q8_1PKvPK10block_q8_1RKiEEEvS4_S4_PT_iii,comdat
.Lfunc_end80:
	.size	_ZL13mul_mat_vec_qIN3c104HalfELi32ELi4E10block_q5_0Li2EXadL_ZL17vec_dot_q5_0_q8_1PKvPK10block_q8_1RKiEEEvS4_S4_PT_iii, .Lfunc_end80-_ZL13mul_mat_vec_qIN3c104HalfELi32ELi4E10block_q5_0Li2EXadL_ZL17vec_dot_q5_0_q8_1PKvPK10block_q8_1RKiEEEvS4_S4_PT_iii
                                        ; -- End function
	.set _ZL13mul_mat_vec_qIN3c104HalfELi32ELi4E10block_q5_0Li2EXadL_ZL17vec_dot_q5_0_q8_1PKvPK10block_q8_1RKiEEEvS4_S4_PT_iii.num_vgpr, 34
	.set _ZL13mul_mat_vec_qIN3c104HalfELi32ELi4E10block_q5_0Li2EXadL_ZL17vec_dot_q5_0_q8_1PKvPK10block_q8_1RKiEEEvS4_S4_PT_iii.num_agpr, 0
	.set _ZL13mul_mat_vec_qIN3c104HalfELi32ELi4E10block_q5_0Li2EXadL_ZL17vec_dot_q5_0_q8_1PKvPK10block_q8_1RKiEEEvS4_S4_PT_iii.numbered_sgpr, 13
	.set _ZL13mul_mat_vec_qIN3c104HalfELi32ELi4E10block_q5_0Li2EXadL_ZL17vec_dot_q5_0_q8_1PKvPK10block_q8_1RKiEEEvS4_S4_PT_iii.num_named_barrier, 0
	.set _ZL13mul_mat_vec_qIN3c104HalfELi32ELi4E10block_q5_0Li2EXadL_ZL17vec_dot_q5_0_q8_1PKvPK10block_q8_1RKiEEEvS4_S4_PT_iii.private_seg_size, 0
	.set _ZL13mul_mat_vec_qIN3c104HalfELi32ELi4E10block_q5_0Li2EXadL_ZL17vec_dot_q5_0_q8_1PKvPK10block_q8_1RKiEEEvS4_S4_PT_iii.uses_vcc, 1
	.set _ZL13mul_mat_vec_qIN3c104HalfELi32ELi4E10block_q5_0Li2EXadL_ZL17vec_dot_q5_0_q8_1PKvPK10block_q8_1RKiEEEvS4_S4_PT_iii.uses_flat_scratch, 0
	.set _ZL13mul_mat_vec_qIN3c104HalfELi32ELi4E10block_q5_0Li2EXadL_ZL17vec_dot_q5_0_q8_1PKvPK10block_q8_1RKiEEEvS4_S4_PT_iii.has_dyn_sized_stack, 0
	.set _ZL13mul_mat_vec_qIN3c104HalfELi32ELi4E10block_q5_0Li2EXadL_ZL17vec_dot_q5_0_q8_1PKvPK10block_q8_1RKiEEEvS4_S4_PT_iii.has_recursion, 0
	.set _ZL13mul_mat_vec_qIN3c104HalfELi32ELi4E10block_q5_0Li2EXadL_ZL17vec_dot_q5_0_q8_1PKvPK10block_q8_1RKiEEEvS4_S4_PT_iii.has_indirect_call, 0
	.section	.AMDGPU.csdata,"",@progbits
; Kernel info:
; codeLenInByte = 916
; TotalNumSgprs: 15
; NumVgprs: 34
; ScratchSize: 0
; MemoryBound: 0
; FloatMode: 240
; IeeeMode: 1
; LDSByteSize: 0 bytes/workgroup (compile time only)
; SGPRBlocks: 0
; VGPRBlocks: 4
; NumSGPRsForWavesPerEU: 15
; NumVGPRsForWavesPerEU: 34
; Occupancy: 16
; WaveLimiterHint : 0
; COMPUTE_PGM_RSRC2:SCRATCH_EN: 0
; COMPUTE_PGM_RSRC2:USER_SGPR: 6
; COMPUTE_PGM_RSRC2:TRAP_HANDLER: 0
; COMPUTE_PGM_RSRC2:TGID_X_EN: 1
; COMPUTE_PGM_RSRC2:TGID_Y_EN: 1
; COMPUTE_PGM_RSRC2:TGID_Z_EN: 0
; COMPUTE_PGM_RSRC2:TIDIG_COMP_CNT: 1
	.section	.text._ZL13mul_mat_vec_qIN3c104HalfELi32ELi4E10block_q5_1Li2EXadL_ZL17vec_dot_q5_1_q8_1PKvPK10block_q8_1RKiEEEvS4_S4_PT_iii,"axG",@progbits,_ZL13mul_mat_vec_qIN3c104HalfELi32ELi4E10block_q5_1Li2EXadL_ZL17vec_dot_q5_1_q8_1PKvPK10block_q8_1RKiEEEvS4_S4_PT_iii,comdat
	.globl	_ZL13mul_mat_vec_qIN3c104HalfELi32ELi4E10block_q5_1Li2EXadL_ZL17vec_dot_q5_1_q8_1PKvPK10block_q8_1RKiEEEvS4_S4_PT_iii ; -- Begin function _ZL13mul_mat_vec_qIN3c104HalfELi32ELi4E10block_q5_1Li2EXadL_ZL17vec_dot_q5_1_q8_1PKvPK10block_q8_1RKiEEEvS4_S4_PT_iii
	.p2align	8
	.type	_ZL13mul_mat_vec_qIN3c104HalfELi32ELi4E10block_q5_1Li2EXadL_ZL17vec_dot_q5_1_q8_1PKvPK10block_q8_1RKiEEEvS4_S4_PT_iii,@function
_ZL13mul_mat_vec_qIN3c104HalfELi32ELi4E10block_q5_1Li2EXadL_ZL17vec_dot_q5_1_q8_1PKvPK10block_q8_1RKiEEEvS4_S4_PT_iii: ; @_ZL13mul_mat_vec_qIN3c104HalfELi32ELi4E10block_q5_1Li2EXadL_ZL17vec_dot_q5_1_q8_1PKvPK10block_q8_1RKiEEEvS4_S4_PT_iii
; %bb.0:
	s_clause 0x1
	s_load_dword s8, s[4:5], 0x34
	s_load_dwordx4 s[0:3], s[4:5], 0x18
	s_waitcnt lgkmcnt(0)
	s_lshr_b32 s3, s8, 16
	s_cmp_lt_u32 s7, s2
	v_mad_u64_u32 v[1:2], null, s6, s3, v[1:2]
	s_cselect_b32 s2, -1, 0
	v_cmp_gt_u32_e32 vcc_lo, s1, v1
	s_and_b32 s2, s2, vcc_lo
	s_and_saveexec_b32 s3, s2
	s_cbranch_execz .LBB81_7
; %bb.1:
	s_load_dwordx2 s[2:3], s[4:5], 0x10
	s_ashr_i32 s6, s0, 31
	v_lshrrev_b32_e32 v2, 1, v0
	s_lshr_b32 s6, s6, 27
	v_mov_b32_e32 v3, 0
	s_add_i32 s6, s0, s6
	s_ashr_i32 s12, s6, 5
	s_mov_b32 s6, exec_lo
	v_cmpx_gt_u32_e64 s12, v2
	s_cbranch_execz .LBB81_5
; %bb.2:
	s_load_dwordx4 s[8:11], s[4:5], 0x0
	v_lshlrev_b32_e32 v3, 3, v0
	s_addk_i32 s0, 0x1ff
	v_mul_lo_u32 v5, v1, s12
	s_ashr_i32 s4, s0, 31
	s_lshr_b32 s4, s4, 23
	v_and_b32_e32 v4, 8, v3
	s_add_i32 s0, s0, s4
	v_mov_b32_e32 v3, 0
	s_ashr_i32 s0, s0, 9
	v_or_b32_e32 v6, 4, v4
	s_mul_i32 s0, s7, s0
	s_lshl_b32 s4, s0, 4
	s_mov_b32 s0, 0
.LBB81_3:                               ; =>This Inner Loop Header: Depth=1
	v_add_nc_u32_e32 v7, v5, v2
	v_add_nc_u32_e32 v11, s4, v2
	;; [unrolled: 1-line block ×3, first 2 shown]
	s_waitcnt lgkmcnt(0)
	v_mad_i64_i32 v[7:8], null, v7, 24, s[8:9]
	v_mad_i64_i32 v[11:12], null, v11, 36, s[10:11]
	v_add_co_u32 v9, vcc_lo, v7, v4
	v_add_co_ci_u32_e64 v10, null, 0, v8, vcc_lo
	v_add_co_u32 v13, vcc_lo, v11, v4
	s_clause 0x1
	global_load_dwordx2 v[7:8], v[7:8], off
	global_load_dwordx2 v[9:10], v[9:10], off offset:8
	v_add_co_ci_u32_e64 v14, null, 0, v12, vcc_lo
	s_clause 0x2
	global_load_dwordx2 v[15:16], v[13:14], off offset:4
	global_load_dwordx2 v[13:14], v[13:14], off offset:20
	global_load_dword v11, v[11:12], off
	v_mov_b32_e32 v12, 0
	v_cmp_le_u32_e32 vcc_lo, s12, v2
	s_or_b32 s0, vcc_lo, s0
	s_waitcnt vmcnt(4)
	v_ashrrev_i32_e32 v17, v4, v8
	v_ashrrev_i32_e32 v8, v6, v8
	s_waitcnt vmcnt(3)
	v_and_b32_e32 v18, 0xf0f0f0f, v9
	v_lshrrev_b32_e32 v9, 4, v9
	v_and_b32_e32 v26, 0xf0f0f0f, v10
	v_lshlrev_b32_e32 v19, 4, v17
	v_lshlrev_b32_e32 v20, 11, v17
	;; [unrolled: 1-line block ×4, first 2 shown]
	v_lshrrev_b32_e32 v23, 12, v17
	v_lshrrev_b32_e32 v24, 5, v17
	v_lshlrev_b32_e32 v25, 2, v17
	v_and_b32_e32 v19, 16, v19
	v_and_b32_e32 v20, 0x1000, v20
	v_lshlrev_b32_e32 v17, 9, v17
	v_lshlrev_b32_e32 v27, 4, v8
	;; [unrolled: 1-line block ×4, first 2 shown]
	v_and_b32_e32 v21, 0x100000, v21
	v_and_b32_e32 v22, 0x10000000, v22
	;; [unrolled: 1-line block ×5, first 2 shown]
	v_or3_b32 v18, v19, v18, v20
	v_lshlrev_b32_e32 v30, 25, v8
	v_lshrrev_b32_e32 v31, 12, v8
	v_lshrrev_b32_e32 v32, 5, v8
	v_lshlrev_b32_e32 v33, 2, v8
	v_and_b32_e32 v9, 0xf0f0f0f, v9
	v_and_b32_e32 v17, 0x10000000, v17
	;; [unrolled: 1-line block ×5, first 2 shown]
	v_or3_b32 v23, v24, v23, v25
	v_or3_b32 v18, v18, v21, v22
	v_lshrrev_b32_e32 v10, 4, v10
	v_lshlrev_b32_e32 v8, 9, v8
	v_and_b32_e32 v20, 0x10000000, v30
	v_and_b32_e32 v29, 16, v31
	;; [unrolled: 1-line block ×4, first 2 shown]
	v_or3_b32 v19, v28, v27, v19
	v_or3_b32 v9, v23, v17, v9
	s_waitcnt vmcnt(2)
	v_dot4c_i32_i8 v12, v18, v15
	v_and_b32_e32 v10, 0xf0f0f0f, v10
	v_and_b32_e32 v8, 0x10000000, v8
	v_or3_b32 v15, v21, v29, v22
	v_or3_b32 v17, v19, v20, v26
	s_waitcnt vmcnt(1)
	v_dot4c_i32_i8 v12, v9, v13
	s_waitcnt vmcnt(0)
	v_pk_mul_f16 v7, v7, v11
	v_or3_b32 v8, v15, v8, v10
	v_dot4c_i32_i8 v12, v17, v16
	v_cvt_f32_f16_sdwa v9, v7 dst_sel:DWORD dst_unused:UNUSED_PAD src0_sel:WORD_1
	v_dot4c_i32_i8 v12, v8, v14
	v_mul_f32_e32 v8, 0.5, v9
	v_cvt_f32_i32_e32 v9, v12
	v_fma_mix_f32 v7, v9, v7, v8 op_sel_hi:[0,1,0]
	v_add_f32_e32 v3, v3, v7
	s_andn2_b32 exec_lo, exec_lo, s0
	s_cbranch_execnz .LBB81_3
; %bb.4:
	s_or_b32 exec_lo, exec_lo, s0
.LBB81_5:
	s_or_b32 exec_lo, exec_lo, s6
	v_mbcnt_lo_u32_b32 v2, -1, 0
	v_xor_b32_e32 v4, 16, v2
	v_xor_b32_e32 v5, 8, v2
	v_cmp_gt_i32_e32 vcc_lo, 32, v4
	v_cndmask_b32_e32 v4, v2, v4, vcc_lo
	v_cmp_gt_i32_e32 vcc_lo, 32, v5
	v_lshlrev_b32_e32 v4, 2, v4
	v_cndmask_b32_e32 v5, v2, v5, vcc_lo
	ds_bpermute_b32 v4, v4, v3
	v_lshlrev_b32_e32 v5, 2, v5
	s_waitcnt lgkmcnt(0)
	v_add_f32_e32 v3, v3, v4
	ds_bpermute_b32 v4, v5, v3
	v_xor_b32_e32 v5, 4, v2
	v_cmp_gt_i32_e32 vcc_lo, 32, v5
	v_cndmask_b32_e32 v5, v2, v5, vcc_lo
	v_lshlrev_b32_e32 v5, 2, v5
	s_waitcnt lgkmcnt(0)
	v_add_f32_e32 v3, v3, v4
	ds_bpermute_b32 v4, v5, v3
	v_xor_b32_e32 v5, 2, v2
	v_cmp_gt_i32_e32 vcc_lo, 32, v5
	v_cndmask_b32_e32 v5, v2, v5, vcc_lo
	;; [unrolled: 7-line block ×3, first 2 shown]
	v_cmp_eq_u32_e32 vcc_lo, 0, v0
	s_waitcnt lgkmcnt(0)
	v_add_f32_e32 v2, v3, v4
	v_lshlrev_b32_e32 v3, 2, v5
	ds_bpermute_b32 v3, v3, v2
	s_and_b32 exec_lo, exec_lo, vcc_lo
	s_cbranch_execz .LBB81_7
; %bb.6:
	v_mad_u64_u32 v[0:1], null, s1, s7, v[1:2]
	v_mov_b32_e32 v1, 0
	s_waitcnt lgkmcnt(0)
	v_add_f32_e32 v2, v2, v3
	v_cvt_f16_f32_e32 v2, v2
	v_lshlrev_b64 v[0:1], 1, v[0:1]
	v_add_co_u32 v0, vcc_lo, s2, v0
	v_add_co_ci_u32_e64 v1, null, s3, v1, vcc_lo
	global_store_short v[0:1], v2, off
.LBB81_7:
	s_endpgm
	.section	.rodata,"a",@progbits
	.p2align	6, 0x0
	.amdhsa_kernel _ZL13mul_mat_vec_qIN3c104HalfELi32ELi4E10block_q5_1Li2EXadL_ZL17vec_dot_q5_1_q8_1PKvPK10block_q8_1RKiEEEvS4_S4_PT_iii
		.amdhsa_group_segment_fixed_size 0
		.amdhsa_private_segment_fixed_size 0
		.amdhsa_kernarg_size 296
		.amdhsa_user_sgpr_count 6
		.amdhsa_user_sgpr_private_segment_buffer 1
		.amdhsa_user_sgpr_dispatch_ptr 0
		.amdhsa_user_sgpr_queue_ptr 0
		.amdhsa_user_sgpr_kernarg_segment_ptr 1
		.amdhsa_user_sgpr_dispatch_id 0
		.amdhsa_user_sgpr_flat_scratch_init 0
		.amdhsa_user_sgpr_private_segment_size 0
		.amdhsa_wavefront_size32 1
		.amdhsa_uses_dynamic_stack 0
		.amdhsa_system_sgpr_private_segment_wavefront_offset 0
		.amdhsa_system_sgpr_workgroup_id_x 1
		.amdhsa_system_sgpr_workgroup_id_y 1
		.amdhsa_system_sgpr_workgroup_id_z 0
		.amdhsa_system_sgpr_workgroup_info 0
		.amdhsa_system_vgpr_workitem_id 1
		.amdhsa_next_free_vgpr 34
		.amdhsa_next_free_sgpr 13
		.amdhsa_reserve_vcc 1
		.amdhsa_reserve_flat_scratch 0
		.amdhsa_float_round_mode_32 0
		.amdhsa_float_round_mode_16_64 0
		.amdhsa_float_denorm_mode_32 3
		.amdhsa_float_denorm_mode_16_64 3
		.amdhsa_dx10_clamp 1
		.amdhsa_ieee_mode 1
		.amdhsa_fp16_overflow 0
		.amdhsa_workgroup_processor_mode 1
		.amdhsa_memory_ordered 1
		.amdhsa_forward_progress 1
		.amdhsa_shared_vgpr_count 0
		.amdhsa_exception_fp_ieee_invalid_op 0
		.amdhsa_exception_fp_denorm_src 0
		.amdhsa_exception_fp_ieee_div_zero 0
		.amdhsa_exception_fp_ieee_overflow 0
		.amdhsa_exception_fp_ieee_underflow 0
		.amdhsa_exception_fp_ieee_inexact 0
		.amdhsa_exception_int_div_zero 0
	.end_amdhsa_kernel
	.section	.text._ZL13mul_mat_vec_qIN3c104HalfELi32ELi4E10block_q5_1Li2EXadL_ZL17vec_dot_q5_1_q8_1PKvPK10block_q8_1RKiEEEvS4_S4_PT_iii,"axG",@progbits,_ZL13mul_mat_vec_qIN3c104HalfELi32ELi4E10block_q5_1Li2EXadL_ZL17vec_dot_q5_1_q8_1PKvPK10block_q8_1RKiEEEvS4_S4_PT_iii,comdat
.Lfunc_end81:
	.size	_ZL13mul_mat_vec_qIN3c104HalfELi32ELi4E10block_q5_1Li2EXadL_ZL17vec_dot_q5_1_q8_1PKvPK10block_q8_1RKiEEEvS4_S4_PT_iii, .Lfunc_end81-_ZL13mul_mat_vec_qIN3c104HalfELi32ELi4E10block_q5_1Li2EXadL_ZL17vec_dot_q5_1_q8_1PKvPK10block_q8_1RKiEEEvS4_S4_PT_iii
                                        ; -- End function
	.set _ZL13mul_mat_vec_qIN3c104HalfELi32ELi4E10block_q5_1Li2EXadL_ZL17vec_dot_q5_1_q8_1PKvPK10block_q8_1RKiEEEvS4_S4_PT_iii.num_vgpr, 34
	.set _ZL13mul_mat_vec_qIN3c104HalfELi32ELi4E10block_q5_1Li2EXadL_ZL17vec_dot_q5_1_q8_1PKvPK10block_q8_1RKiEEEvS4_S4_PT_iii.num_agpr, 0
	.set _ZL13mul_mat_vec_qIN3c104HalfELi32ELi4E10block_q5_1Li2EXadL_ZL17vec_dot_q5_1_q8_1PKvPK10block_q8_1RKiEEEvS4_S4_PT_iii.numbered_sgpr, 13
	.set _ZL13mul_mat_vec_qIN3c104HalfELi32ELi4E10block_q5_1Li2EXadL_ZL17vec_dot_q5_1_q8_1PKvPK10block_q8_1RKiEEEvS4_S4_PT_iii.num_named_barrier, 0
	.set _ZL13mul_mat_vec_qIN3c104HalfELi32ELi4E10block_q5_1Li2EXadL_ZL17vec_dot_q5_1_q8_1PKvPK10block_q8_1RKiEEEvS4_S4_PT_iii.private_seg_size, 0
	.set _ZL13mul_mat_vec_qIN3c104HalfELi32ELi4E10block_q5_1Li2EXadL_ZL17vec_dot_q5_1_q8_1PKvPK10block_q8_1RKiEEEvS4_S4_PT_iii.uses_vcc, 1
	.set _ZL13mul_mat_vec_qIN3c104HalfELi32ELi4E10block_q5_1Li2EXadL_ZL17vec_dot_q5_1_q8_1PKvPK10block_q8_1RKiEEEvS4_S4_PT_iii.uses_flat_scratch, 0
	.set _ZL13mul_mat_vec_qIN3c104HalfELi32ELi4E10block_q5_1Li2EXadL_ZL17vec_dot_q5_1_q8_1PKvPK10block_q8_1RKiEEEvS4_S4_PT_iii.has_dyn_sized_stack, 0
	.set _ZL13mul_mat_vec_qIN3c104HalfELi32ELi4E10block_q5_1Li2EXadL_ZL17vec_dot_q5_1_q8_1PKvPK10block_q8_1RKiEEEvS4_S4_PT_iii.has_recursion, 0
	.set _ZL13mul_mat_vec_qIN3c104HalfELi32ELi4E10block_q5_1Li2EXadL_ZL17vec_dot_q5_1_q8_1PKvPK10block_q8_1RKiEEEvS4_S4_PT_iii.has_indirect_call, 0
	.section	.AMDGPU.csdata,"",@progbits
; Kernel info:
; codeLenInByte = 904
; TotalNumSgprs: 15
; NumVgprs: 34
; ScratchSize: 0
; MemoryBound: 0
; FloatMode: 240
; IeeeMode: 1
; LDSByteSize: 0 bytes/workgroup (compile time only)
; SGPRBlocks: 0
; VGPRBlocks: 4
; NumSGPRsForWavesPerEU: 15
; NumVGPRsForWavesPerEU: 34
; Occupancy: 16
; WaveLimiterHint : 0
; COMPUTE_PGM_RSRC2:SCRATCH_EN: 0
; COMPUTE_PGM_RSRC2:USER_SGPR: 6
; COMPUTE_PGM_RSRC2:TRAP_HANDLER: 0
; COMPUTE_PGM_RSRC2:TGID_X_EN: 1
; COMPUTE_PGM_RSRC2:TGID_Y_EN: 1
; COMPUTE_PGM_RSRC2:TGID_Z_EN: 0
; COMPUTE_PGM_RSRC2:TIDIG_COMP_CNT: 1
	.section	.text._ZL13mul_mat_vec_qIN3c104HalfELi32ELi8E10block_q8_0Li2EXadL_ZL17vec_dot_q8_0_q8_1PKvPK10block_q8_1RKiEEEvS4_S4_PT_iii,"axG",@progbits,_ZL13mul_mat_vec_qIN3c104HalfELi32ELi8E10block_q8_0Li2EXadL_ZL17vec_dot_q8_0_q8_1PKvPK10block_q8_1RKiEEEvS4_S4_PT_iii,comdat
	.globl	_ZL13mul_mat_vec_qIN3c104HalfELi32ELi8E10block_q8_0Li2EXadL_ZL17vec_dot_q8_0_q8_1PKvPK10block_q8_1RKiEEEvS4_S4_PT_iii ; -- Begin function _ZL13mul_mat_vec_qIN3c104HalfELi32ELi8E10block_q8_0Li2EXadL_ZL17vec_dot_q8_0_q8_1PKvPK10block_q8_1RKiEEEvS4_S4_PT_iii
	.p2align	8
	.type	_ZL13mul_mat_vec_qIN3c104HalfELi32ELi8E10block_q8_0Li2EXadL_ZL17vec_dot_q8_0_q8_1PKvPK10block_q8_1RKiEEEvS4_S4_PT_iii,@function
_ZL13mul_mat_vec_qIN3c104HalfELi32ELi8E10block_q8_0Li2EXadL_ZL17vec_dot_q8_0_q8_1PKvPK10block_q8_1RKiEEEvS4_S4_PT_iii: ; @_ZL13mul_mat_vec_qIN3c104HalfELi32ELi8E10block_q8_0Li2EXadL_ZL17vec_dot_q8_0_q8_1PKvPK10block_q8_1RKiEEEvS4_S4_PT_iii
; %bb.0:
	s_clause 0x1
	s_load_dword s8, s[4:5], 0x34
	s_load_dwordx4 s[0:3], s[4:5], 0x18
	s_waitcnt lgkmcnt(0)
	s_lshr_b32 s3, s8, 16
	s_cmp_lt_u32 s7, s2
	v_mad_u64_u32 v[1:2], null, s6, s3, v[1:2]
	s_cselect_b32 s2, -1, 0
	v_cmp_gt_u32_e32 vcc_lo, s1, v1
	s_and_b32 s2, s2, vcc_lo
	s_and_saveexec_b32 s3, s2
	s_cbranch_execz .LBB82_7
; %bb.1:
	s_load_dwordx2 s[2:3], s[4:5], 0x10
	s_ashr_i32 s6, s0, 31
	v_lshrrev_b32_e32 v3, 2, v0
	s_lshr_b32 s6, s6, 27
	v_mov_b32_e32 v2, 0
	s_add_i32 s6, s0, s6
	s_ashr_i32 s12, s6, 5
	s_mov_b32 s6, exec_lo
	v_cmpx_gt_u32_e64 s12, v3
	s_cbranch_execz .LBB82_5
; %bb.2:
	s_load_dwordx4 s[8:11], s[4:5], 0x0
	s_addk_i32 s0, 0x1ff
	v_lshlrev_b32_e32 v2, 3, v0
	s_ashr_i32 s4, s0, 31
	v_mul_lo_u32 v4, v1, s12
	s_lshr_b32 s4, s4, 23
	s_add_i32 s0, s0, s4
	v_and_b32_e32 v5, 24, v2
	s_ashr_i32 s0, s0, 9
	v_mov_b32_e32 v2, 0
	s_mul_i32 s0, s7, s0
	s_mov_b32 s4, 0
	s_lshl_b32 s0, s0, 4
	s_inst_prefetch 0x1
	.p2align	6
.LBB82_3:                               ; =>This Inner Loop Header: Depth=1
	v_add_nc_u32_e32 v6, v4, v3
	v_add_nc_u32_e32 v8, s0, v3
	;; [unrolled: 1-line block ×3, first 2 shown]
	s_waitcnt lgkmcnt(0)
	v_mad_i64_i32 v[6:7], null, v6, 34, s[8:9]
	v_mad_i64_i32 v[8:9], null, v8, 36, s[10:11]
	v_add_co_u32 v10, vcc_lo, v6, v5
	v_add_co_ci_u32_e64 v11, null, 0, v7, vcc_lo
	v_add_co_u32 v12, vcc_lo, v8, v5
	v_add_co_ci_u32_e64 v13, null, 0, v9, vcc_lo
	global_load_dwordx2 v[10:11], v[10:11], off offset:2
	global_load_dwordx2 v[12:13], v[12:13], off offset:4
	global_load_ushort v6, v[6:7], off
	global_load_dword v7, v[8:9], off
	v_mov_b32_e32 v8, 0
	v_cmp_le_u32_e32 vcc_lo, s12, v3
	s_or_b32 s4, vcc_lo, s4
	s_waitcnt vmcnt(2)
	v_dot4c_i32_i8 v8, v10, v12
	s_waitcnt vmcnt(1)
	v_cvt_f32_f16_e32 v6, v6
	s_waitcnt vmcnt(0)
	v_cvt_f32_f16_e32 v7, v7
	v_dot4c_i32_i8 v8, v11, v13
	v_mul_f32_e32 v6, v6, v7
	v_cvt_f32_i32_e32 v7, v8
	v_fmac_f32_e32 v2, v6, v7
	s_andn2_b32 exec_lo, exec_lo, s4
	s_cbranch_execnz .LBB82_3
; %bb.4:
	s_inst_prefetch 0x2
	s_or_b32 exec_lo, exec_lo, s4
.LBB82_5:
	s_or_b32 exec_lo, exec_lo, s6
	v_mbcnt_lo_u32_b32 v3, -1, 0
	v_xor_b32_e32 v4, 16, v3
	v_xor_b32_e32 v5, 8, v3
	v_cmp_gt_i32_e32 vcc_lo, 32, v4
	v_cndmask_b32_e32 v4, v3, v4, vcc_lo
	v_cmp_gt_i32_e32 vcc_lo, 32, v5
	v_lshlrev_b32_e32 v4, 2, v4
	v_cndmask_b32_e32 v5, v3, v5, vcc_lo
	ds_bpermute_b32 v4, v4, v2
	v_lshlrev_b32_e32 v5, 2, v5
	s_waitcnt lgkmcnt(0)
	v_add_f32_e32 v2, v2, v4
	ds_bpermute_b32 v4, v5, v2
	v_xor_b32_e32 v5, 4, v3
	v_cmp_gt_i32_e32 vcc_lo, 32, v5
	v_cndmask_b32_e32 v5, v3, v5, vcc_lo
	v_lshlrev_b32_e32 v5, 2, v5
	s_waitcnt lgkmcnt(0)
	v_add_f32_e32 v2, v2, v4
	ds_bpermute_b32 v4, v5, v2
	v_xor_b32_e32 v5, 2, v3
	v_cmp_gt_i32_e32 vcc_lo, 32, v5
	v_cndmask_b32_e32 v5, v3, v5, vcc_lo
	;; [unrolled: 7-line block ×3, first 2 shown]
	v_cmp_eq_u32_e32 vcc_lo, 0, v0
	v_lshlrev_b32_e32 v3, 2, v3
	s_waitcnt lgkmcnt(0)
	v_add_f32_e32 v2, v2, v4
	ds_bpermute_b32 v3, v3, v2
	s_and_b32 exec_lo, exec_lo, vcc_lo
	s_cbranch_execz .LBB82_7
; %bb.6:
	v_mad_u64_u32 v[0:1], null, s1, s7, v[1:2]
	v_mov_b32_e32 v1, 0
	s_waitcnt lgkmcnt(0)
	v_add_f32_e32 v2, v2, v3
	v_cvt_f16_f32_e32 v2, v2
	v_lshlrev_b64 v[0:1], 1, v[0:1]
	v_add_co_u32 v0, vcc_lo, s2, v0
	v_add_co_ci_u32_e64 v1, null, s3, v1, vcc_lo
	global_store_short v[0:1], v2, off
.LBB82_7:
	s_endpgm
	.section	.rodata,"a",@progbits
	.p2align	6, 0x0
	.amdhsa_kernel _ZL13mul_mat_vec_qIN3c104HalfELi32ELi8E10block_q8_0Li2EXadL_ZL17vec_dot_q8_0_q8_1PKvPK10block_q8_1RKiEEEvS4_S4_PT_iii
		.amdhsa_group_segment_fixed_size 0
		.amdhsa_private_segment_fixed_size 0
		.amdhsa_kernarg_size 296
		.amdhsa_user_sgpr_count 6
		.amdhsa_user_sgpr_private_segment_buffer 1
		.amdhsa_user_sgpr_dispatch_ptr 0
		.amdhsa_user_sgpr_queue_ptr 0
		.amdhsa_user_sgpr_kernarg_segment_ptr 1
		.amdhsa_user_sgpr_dispatch_id 0
		.amdhsa_user_sgpr_flat_scratch_init 0
		.amdhsa_user_sgpr_private_segment_size 0
		.amdhsa_wavefront_size32 1
		.amdhsa_uses_dynamic_stack 0
		.amdhsa_system_sgpr_private_segment_wavefront_offset 0
		.amdhsa_system_sgpr_workgroup_id_x 1
		.amdhsa_system_sgpr_workgroup_id_y 1
		.amdhsa_system_sgpr_workgroup_id_z 0
		.amdhsa_system_sgpr_workgroup_info 0
		.amdhsa_system_vgpr_workitem_id 1
		.amdhsa_next_free_vgpr 14
		.amdhsa_next_free_sgpr 13
		.amdhsa_reserve_vcc 1
		.amdhsa_reserve_flat_scratch 0
		.amdhsa_float_round_mode_32 0
		.amdhsa_float_round_mode_16_64 0
		.amdhsa_float_denorm_mode_32 3
		.amdhsa_float_denorm_mode_16_64 3
		.amdhsa_dx10_clamp 1
		.amdhsa_ieee_mode 1
		.amdhsa_fp16_overflow 0
		.amdhsa_workgroup_processor_mode 1
		.amdhsa_memory_ordered 1
		.amdhsa_forward_progress 1
		.amdhsa_shared_vgpr_count 0
		.amdhsa_exception_fp_ieee_invalid_op 0
		.amdhsa_exception_fp_denorm_src 0
		.amdhsa_exception_fp_ieee_div_zero 0
		.amdhsa_exception_fp_ieee_overflow 0
		.amdhsa_exception_fp_ieee_underflow 0
		.amdhsa_exception_fp_ieee_inexact 0
		.amdhsa_exception_int_div_zero 0
	.end_amdhsa_kernel
	.section	.text._ZL13mul_mat_vec_qIN3c104HalfELi32ELi8E10block_q8_0Li2EXadL_ZL17vec_dot_q8_0_q8_1PKvPK10block_q8_1RKiEEEvS4_S4_PT_iii,"axG",@progbits,_ZL13mul_mat_vec_qIN3c104HalfELi32ELi8E10block_q8_0Li2EXadL_ZL17vec_dot_q8_0_q8_1PKvPK10block_q8_1RKiEEEvS4_S4_PT_iii,comdat
.Lfunc_end82:
	.size	_ZL13mul_mat_vec_qIN3c104HalfELi32ELi8E10block_q8_0Li2EXadL_ZL17vec_dot_q8_0_q8_1PKvPK10block_q8_1RKiEEEvS4_S4_PT_iii, .Lfunc_end82-_ZL13mul_mat_vec_qIN3c104HalfELi32ELi8E10block_q8_0Li2EXadL_ZL17vec_dot_q8_0_q8_1PKvPK10block_q8_1RKiEEEvS4_S4_PT_iii
                                        ; -- End function
	.set _ZL13mul_mat_vec_qIN3c104HalfELi32ELi8E10block_q8_0Li2EXadL_ZL17vec_dot_q8_0_q8_1PKvPK10block_q8_1RKiEEEvS4_S4_PT_iii.num_vgpr, 14
	.set _ZL13mul_mat_vec_qIN3c104HalfELi32ELi8E10block_q8_0Li2EXadL_ZL17vec_dot_q8_0_q8_1PKvPK10block_q8_1RKiEEEvS4_S4_PT_iii.num_agpr, 0
	.set _ZL13mul_mat_vec_qIN3c104HalfELi32ELi8E10block_q8_0Li2EXadL_ZL17vec_dot_q8_0_q8_1PKvPK10block_q8_1RKiEEEvS4_S4_PT_iii.numbered_sgpr, 13
	.set _ZL13mul_mat_vec_qIN3c104HalfELi32ELi8E10block_q8_0Li2EXadL_ZL17vec_dot_q8_0_q8_1PKvPK10block_q8_1RKiEEEvS4_S4_PT_iii.num_named_barrier, 0
	.set _ZL13mul_mat_vec_qIN3c104HalfELi32ELi8E10block_q8_0Li2EXadL_ZL17vec_dot_q8_0_q8_1PKvPK10block_q8_1RKiEEEvS4_S4_PT_iii.private_seg_size, 0
	.set _ZL13mul_mat_vec_qIN3c104HalfELi32ELi8E10block_q8_0Li2EXadL_ZL17vec_dot_q8_0_q8_1PKvPK10block_q8_1RKiEEEvS4_S4_PT_iii.uses_vcc, 1
	.set _ZL13mul_mat_vec_qIN3c104HalfELi32ELi8E10block_q8_0Li2EXadL_ZL17vec_dot_q8_0_q8_1PKvPK10block_q8_1RKiEEEvS4_S4_PT_iii.uses_flat_scratch, 0
	.set _ZL13mul_mat_vec_qIN3c104HalfELi32ELi8E10block_q8_0Li2EXadL_ZL17vec_dot_q8_0_q8_1PKvPK10block_q8_1RKiEEEvS4_S4_PT_iii.has_dyn_sized_stack, 0
	.set _ZL13mul_mat_vec_qIN3c104HalfELi32ELi8E10block_q8_0Li2EXadL_ZL17vec_dot_q8_0_q8_1PKvPK10block_q8_1RKiEEEvS4_S4_PT_iii.has_recursion, 0
	.set _ZL13mul_mat_vec_qIN3c104HalfELi32ELi8E10block_q8_0Li2EXadL_ZL17vec_dot_q8_0_q8_1PKvPK10block_q8_1RKiEEEvS4_S4_PT_iii.has_indirect_call, 0
	.section	.AMDGPU.csdata,"",@progbits
; Kernel info:
; codeLenInByte = 592
; TotalNumSgprs: 15
; NumVgprs: 14
; ScratchSize: 0
; MemoryBound: 0
; FloatMode: 240
; IeeeMode: 1
; LDSByteSize: 0 bytes/workgroup (compile time only)
; SGPRBlocks: 0
; VGPRBlocks: 1
; NumSGPRsForWavesPerEU: 15
; NumVGPRsForWavesPerEU: 14
; Occupancy: 16
; WaveLimiterHint : 0
; COMPUTE_PGM_RSRC2:SCRATCH_EN: 0
; COMPUTE_PGM_RSRC2:USER_SGPR: 6
; COMPUTE_PGM_RSRC2:TRAP_HANDLER: 0
; COMPUTE_PGM_RSRC2:TGID_X_EN: 1
; COMPUTE_PGM_RSRC2:TGID_Y_EN: 1
; COMPUTE_PGM_RSRC2:TGID_Z_EN: 0
; COMPUTE_PGM_RSRC2:TIDIG_COMP_CNT: 1
	.section	.text._ZL13mul_mat_vec_qIN3c104HalfELi256ELi16E10block_q2_KLi1EXadL_ZL17vec_dot_q2_K_q8_1PKvPK10block_q8_1RKiEEEvS4_S4_PT_iii,"axG",@progbits,_ZL13mul_mat_vec_qIN3c104HalfELi256ELi16E10block_q2_KLi1EXadL_ZL17vec_dot_q2_K_q8_1PKvPK10block_q8_1RKiEEEvS4_S4_PT_iii,comdat
	.globl	_ZL13mul_mat_vec_qIN3c104HalfELi256ELi16E10block_q2_KLi1EXadL_ZL17vec_dot_q2_K_q8_1PKvPK10block_q8_1RKiEEEvS4_S4_PT_iii ; -- Begin function _ZL13mul_mat_vec_qIN3c104HalfELi256ELi16E10block_q2_KLi1EXadL_ZL17vec_dot_q2_K_q8_1PKvPK10block_q8_1RKiEEEvS4_S4_PT_iii
	.p2align	8
	.type	_ZL13mul_mat_vec_qIN3c104HalfELi256ELi16E10block_q2_KLi1EXadL_ZL17vec_dot_q2_K_q8_1PKvPK10block_q8_1RKiEEEvS4_S4_PT_iii,@function
_ZL13mul_mat_vec_qIN3c104HalfELi256ELi16E10block_q2_KLi1EXadL_ZL17vec_dot_q2_K_q8_1PKvPK10block_q8_1RKiEEEvS4_S4_PT_iii: ; @_ZL13mul_mat_vec_qIN3c104HalfELi256ELi16E10block_q2_KLi1EXadL_ZL17vec_dot_q2_K_q8_1PKvPK10block_q8_1RKiEEEvS4_S4_PT_iii
; %bb.0:
	s_clause 0x1
	s_load_dword s8, s[4:5], 0x34
	s_load_dwordx4 s[0:3], s[4:5], 0x18
	s_waitcnt lgkmcnt(0)
	s_lshr_b32 s3, s8, 16
	s_cmp_lt_u32 s7, s2
	v_mad_u64_u32 v[1:2], null, s6, s3, v[1:2]
	s_cselect_b32 s2, -1, 0
	v_cmp_gt_u32_e32 vcc_lo, s1, v1
	s_and_b32 s2, s2, vcc_lo
	s_and_saveexec_b32 s3, s2
	s_cbranch_execz .LBB83_7
; %bb.1:
	s_load_dwordx2 s[2:3], s[4:5], 0x10
	s_ashr_i32 s6, s0, 31
	v_lshrrev_b32_e32 v8, 4, v0
	s_lshr_b32 s6, s6, 24
	v_mov_b32_e32 v3, 0
	s_add_i32 s6, s0, s6
	s_ashr_i32 s12, s6, 8
	s_mov_b32 s6, exec_lo
	v_cmpx_gt_u32_e64 s12, v8
	s_cbranch_execz .LBB83_5
; %bb.2:
	v_and_b32_e32 v3, 15, v0
	s_load_dwordx4 s[8:11], s[4:5], 0x0
	v_lshrrev_b32_e32 v4, 1, v0
	s_addk_i32 s0, 0x1ff
	v_lshlrev_b32_e32 v12, 3, v8
	v_sub_co_u32 v2, vcc_lo, v3, 8
	s_ashr_i32 s13, s0, 31
	v_and_b32_e32 v4, 4, v4
	s_lshr_b32 s4, s13, 23
	v_cndmask_b32_e32 v2, v2, v3, vcc_lo
	s_add_i32 s0, s0, s4
	v_lshlrev_b32_e32 v10, 2, v3
	s_ashr_i32 s0, s0, 9
	v_mul_lo_u32 v9, v1, s12
	v_sub_nc_u32_e32 v5, v3, v2
	v_cmp_lt_u32_e32 vcc_lo, 3, v2
	v_mov_b32_e32 v3, 0
	s_mul_i32 s0, s7, s0
	v_lshl_add_u32 v12, s0, 4, v12
	v_add_co_ci_u32_e64 v11, null, 0, v5, vcc_lo
	s_waitcnt lgkmcnt(0)
	v_mad_u64_u32 v[4:5], null, v4, 36, s[10:11]
	v_lshlrev_b64 v[6:7], 2, v[2:3]
	v_ashrrev_i32_e32 v2, 31, v11
	s_mov_b32 s0, 0
.LBB83_3:                               ; =>This Inner Loop Header: Depth=1
	v_add_nc_u32_e32 v15, v9, v8
	v_mad_i64_i32 v[13:14], null, v12, 36, v[4:5]
	v_mov_b32_e32 v29, 0
	v_mov_b32_e32 v30, 0
	v_mad_i64_i32 v[15:16], null, 0x54, v15, s[8:9]
	v_mov_b32_e32 v31, 0
	v_mov_b32_e32 v33, 0
	v_add_co_u32 v17, vcc_lo, v13, v6
	v_add_co_ci_u32_e64 v18, null, v14, v7, vcc_lo
	v_add_co_u32 v19, vcc_lo, v15, v10
	v_add_co_ci_u32_e64 v20, null, 0, v16, vcc_lo
	;; [unrolled: 2-line block ×3, first 2 shown]
	s_clause 0x3
	global_load_dword v23, v[13:14], off
	global_load_dword v24, v[17:18], off offset:4
	global_load_dword v25, v[17:18], off offset:40
	;; [unrolled: 1-line block ×3, first 2 shown]
	s_clause 0x4
	global_load_dword v19, v[19:20], off offset:16
	global_load_ubyte v20, v[21:22], off
	global_load_ubyte v27, v[21:22], off offset:2
	global_load_ubyte v28, v[21:22], off offset:4
	global_load_ubyte v21, v[21:22], off offset:6
	s_clause 0x3
	global_load_dword v17, v[17:18], off offset:112
	global_load_dword v18, v[13:14], off offset:36
	;; [unrolled: 1-line block ×5, first 2 shown]
	v_mov_b32_e32 v15, 0
	v_mov_b32_e32 v16, 0
	;; [unrolled: 1-line block ×4, first 2 shown]
	v_add_nc_u32_e32 v8, 2, v8
	v_add_nc_u32_e32 v12, 16, v12
	v_cmp_le_u32_e32 vcc_lo, s12, v8
	s_or_b32 s0, vcc_lo, s0
	s_waitcnt vmcnt(9)
	v_and_b32_e32 v35, 0x3030303, v19
	s_waitcnt vmcnt(8)
	v_and_b32_e32 v36, 15, v20
	v_lshrrev_b32_e32 v20, 4, v20
	v_lshrrev_b32_e32 v37, 2, v19
	s_waitcnt vmcnt(7)
	v_and_b32_e32 v38, 15, v27
	v_lshrrev_b32_e32 v27, 4, v27
	s_waitcnt vmcnt(5)
	v_and_b32_e32 v41, 15, v21
	v_mul_lo_u32 v20, 0x1010101, v20
	v_lshrrev_b32_e32 v21, 4, v21
	v_lshrrev_b32_e32 v39, 4, v19
	v_and_b32_e32 v40, 15, v28
	v_lshrrev_b32_e32 v28, 4, v28
	v_lshrrev_b32_e32 v19, 6, v19
	v_dot4c_i32_i8 v15, v35, v24
	v_and_b32_e32 v35, 0x3030303, v37
	v_mul_lo_u32 v27, 0x1010101, v27
	v_mul_lo_u32 v21, 0x1010101, v21
	v_dot4c_i32_i8 v16, v20, v24
	v_and_b32_e32 v37, 0x3030303, v39
	v_mul_lo_u32 v28, 0x1010101, v28
	v_and_b32_e32 v19, 0x3030303, v19
	v_mul_lo_u32 v15, v36, v15
	v_dot4c_i32_i8 v29, v35, v25
	v_dot4c_i32_i8 v30, v27, v25
	v_cvt_f32_i32_e32 v16, v16
	v_dot4c_i32_i8 v31, v37, v26
	s_waitcnt vmcnt(4)
	v_dot4c_i32_i8 v33, v19, v17
	v_dot4c_i32_i8 v34, v21, v17
	v_mul_lo_u32 v17, v38, v29
	v_dot4c_i32_i8 v32, v28, v26
	v_cvt_f32_i32_e32 v15, v15
	v_cvt_f32_i32_e32 v20, v30
	v_fma_mix_f32 v16, v23, v16, 0 op_sel_hi:[1,0,0]
	v_mul_lo_u32 v19, v40, v31
	v_cvt_f32_i32_e32 v21, v32
	v_fma_mix_f32 v15, v23, v15, 0 op_sel_hi:[1,0,0]
	v_cvt_f32_i32_e32 v17, v17
	s_waitcnt vmcnt(3)
	v_fma_mix_f32 v16, v18, v20, v16 op_sel_hi:[1,0,0]
	v_mul_lo_u32 v20, v41, v33
	v_cvt_f32_i32_e32 v23, v34
	v_cvt_f32_i32_e32 v19, v19
	v_fma_mix_f32 v15, v18, v17, v15 op_sel_hi:[1,0,0]
	s_waitcnt vmcnt(2)
	v_fma_mix_f32 v16, v22, v21, v16 op_sel_hi:[1,0,0]
	s_waitcnt vmcnt(0)
	v_cvt_f32_f16_sdwa v17, v14 dst_sel:DWORD dst_unused:UNUSED_PAD src0_sel:WORD_1
	v_cvt_f32_i32_e32 v18, v20
	v_fma_mix_f32 v15, v22, v19, v15 op_sel_hi:[1,0,0]
	v_fma_mix_f32 v16, v13, v23, v16 op_sel_hi:[1,0,0]
	;; [unrolled: 1-line block ×3, first 2 shown]
	v_mul_f32_e32 v15, v16, v17
	v_fma_mix_f32 v13, v13, v14, -v15 op_sel_hi:[0,1,0]
	v_add_f32_e32 v3, v3, v13
	s_andn2_b32 exec_lo, exec_lo, s0
	s_cbranch_execnz .LBB83_3
; %bb.4:
	s_or_b32 exec_lo, exec_lo, s0
.LBB83_5:
	s_or_b32 exec_lo, exec_lo, s6
	v_mbcnt_lo_u32_b32 v2, -1, 0
	v_xor_b32_e32 v4, 16, v2
	v_xor_b32_e32 v5, 8, v2
	v_cmp_gt_i32_e32 vcc_lo, 32, v4
	v_cndmask_b32_e32 v4, v2, v4, vcc_lo
	v_cmp_gt_i32_e32 vcc_lo, 32, v5
	v_lshlrev_b32_e32 v4, 2, v4
	v_cndmask_b32_e32 v5, v2, v5, vcc_lo
	ds_bpermute_b32 v4, v4, v3
	v_lshlrev_b32_e32 v5, 2, v5
	s_waitcnt lgkmcnt(0)
	v_add_f32_e32 v3, v3, v4
	ds_bpermute_b32 v4, v5, v3
	v_xor_b32_e32 v5, 4, v2
	v_cmp_gt_i32_e32 vcc_lo, 32, v5
	v_cndmask_b32_e32 v5, v2, v5, vcc_lo
	v_lshlrev_b32_e32 v5, 2, v5
	s_waitcnt lgkmcnt(0)
	v_add_f32_e32 v3, v3, v4
	ds_bpermute_b32 v4, v5, v3
	v_xor_b32_e32 v5, 2, v2
	v_cmp_gt_i32_e32 vcc_lo, 32, v5
	v_cndmask_b32_e32 v5, v2, v5, vcc_lo
	;; [unrolled: 7-line block ×3, first 2 shown]
	v_cmp_eq_u32_e32 vcc_lo, 0, v0
	s_waitcnt lgkmcnt(0)
	v_add_f32_e32 v2, v3, v4
	v_lshlrev_b32_e32 v3, 2, v5
	ds_bpermute_b32 v3, v3, v2
	s_and_b32 exec_lo, exec_lo, vcc_lo
	s_cbranch_execz .LBB83_7
; %bb.6:
	v_mad_u64_u32 v[0:1], null, s1, s7, v[1:2]
	v_mov_b32_e32 v1, 0
	s_waitcnt lgkmcnt(0)
	v_add_f32_e32 v2, v2, v3
	v_cvt_f16_f32_e32 v2, v2
	v_lshlrev_b64 v[0:1], 1, v[0:1]
	v_add_co_u32 v0, vcc_lo, s2, v0
	v_add_co_ci_u32_e64 v1, null, s3, v1, vcc_lo
	global_store_short v[0:1], v2, off
.LBB83_7:
	s_endpgm
	.section	.rodata,"a",@progbits
	.p2align	6, 0x0
	.amdhsa_kernel _ZL13mul_mat_vec_qIN3c104HalfELi256ELi16E10block_q2_KLi1EXadL_ZL17vec_dot_q2_K_q8_1PKvPK10block_q8_1RKiEEEvS4_S4_PT_iii
		.amdhsa_group_segment_fixed_size 0
		.amdhsa_private_segment_fixed_size 0
		.amdhsa_kernarg_size 296
		.amdhsa_user_sgpr_count 6
		.amdhsa_user_sgpr_private_segment_buffer 1
		.amdhsa_user_sgpr_dispatch_ptr 0
		.amdhsa_user_sgpr_queue_ptr 0
		.amdhsa_user_sgpr_kernarg_segment_ptr 1
		.amdhsa_user_sgpr_dispatch_id 0
		.amdhsa_user_sgpr_flat_scratch_init 0
		.amdhsa_user_sgpr_private_segment_size 0
		.amdhsa_wavefront_size32 1
		.amdhsa_uses_dynamic_stack 0
		.amdhsa_system_sgpr_private_segment_wavefront_offset 0
		.amdhsa_system_sgpr_workgroup_id_x 1
		.amdhsa_system_sgpr_workgroup_id_y 1
		.amdhsa_system_sgpr_workgroup_id_z 0
		.amdhsa_system_sgpr_workgroup_info 0
		.amdhsa_system_vgpr_workitem_id 1
		.amdhsa_next_free_vgpr 42
		.amdhsa_next_free_sgpr 14
		.amdhsa_reserve_vcc 1
		.amdhsa_reserve_flat_scratch 0
		.amdhsa_float_round_mode_32 0
		.amdhsa_float_round_mode_16_64 0
		.amdhsa_float_denorm_mode_32 3
		.amdhsa_float_denorm_mode_16_64 3
		.amdhsa_dx10_clamp 1
		.amdhsa_ieee_mode 1
		.amdhsa_fp16_overflow 0
		.amdhsa_workgroup_processor_mode 1
		.amdhsa_memory_ordered 1
		.amdhsa_forward_progress 1
		.amdhsa_shared_vgpr_count 0
		.amdhsa_exception_fp_ieee_invalid_op 0
		.amdhsa_exception_fp_denorm_src 0
		.amdhsa_exception_fp_ieee_div_zero 0
		.amdhsa_exception_fp_ieee_overflow 0
		.amdhsa_exception_fp_ieee_underflow 0
		.amdhsa_exception_fp_ieee_inexact 0
		.amdhsa_exception_int_div_zero 0
	.end_amdhsa_kernel
	.section	.text._ZL13mul_mat_vec_qIN3c104HalfELi256ELi16E10block_q2_KLi1EXadL_ZL17vec_dot_q2_K_q8_1PKvPK10block_q8_1RKiEEEvS4_S4_PT_iii,"axG",@progbits,_ZL13mul_mat_vec_qIN3c104HalfELi256ELi16E10block_q2_KLi1EXadL_ZL17vec_dot_q2_K_q8_1PKvPK10block_q8_1RKiEEEvS4_S4_PT_iii,comdat
.Lfunc_end83:
	.size	_ZL13mul_mat_vec_qIN3c104HalfELi256ELi16E10block_q2_KLi1EXadL_ZL17vec_dot_q2_K_q8_1PKvPK10block_q8_1RKiEEEvS4_S4_PT_iii, .Lfunc_end83-_ZL13mul_mat_vec_qIN3c104HalfELi256ELi16E10block_q2_KLi1EXadL_ZL17vec_dot_q2_K_q8_1PKvPK10block_q8_1RKiEEEvS4_S4_PT_iii
                                        ; -- End function
	.set _ZL13mul_mat_vec_qIN3c104HalfELi256ELi16E10block_q2_KLi1EXadL_ZL17vec_dot_q2_K_q8_1PKvPK10block_q8_1RKiEEEvS4_S4_PT_iii.num_vgpr, 42
	.set _ZL13mul_mat_vec_qIN3c104HalfELi256ELi16E10block_q2_KLi1EXadL_ZL17vec_dot_q2_K_q8_1PKvPK10block_q8_1RKiEEEvS4_S4_PT_iii.num_agpr, 0
	.set _ZL13mul_mat_vec_qIN3c104HalfELi256ELi16E10block_q2_KLi1EXadL_ZL17vec_dot_q2_K_q8_1PKvPK10block_q8_1RKiEEEvS4_S4_PT_iii.numbered_sgpr, 14
	.set _ZL13mul_mat_vec_qIN3c104HalfELi256ELi16E10block_q2_KLi1EXadL_ZL17vec_dot_q2_K_q8_1PKvPK10block_q8_1RKiEEEvS4_S4_PT_iii.num_named_barrier, 0
	.set _ZL13mul_mat_vec_qIN3c104HalfELi256ELi16E10block_q2_KLi1EXadL_ZL17vec_dot_q2_K_q8_1PKvPK10block_q8_1RKiEEEvS4_S4_PT_iii.private_seg_size, 0
	.set _ZL13mul_mat_vec_qIN3c104HalfELi256ELi16E10block_q2_KLi1EXadL_ZL17vec_dot_q2_K_q8_1PKvPK10block_q8_1RKiEEEvS4_S4_PT_iii.uses_vcc, 1
	.set _ZL13mul_mat_vec_qIN3c104HalfELi256ELi16E10block_q2_KLi1EXadL_ZL17vec_dot_q2_K_q8_1PKvPK10block_q8_1RKiEEEvS4_S4_PT_iii.uses_flat_scratch, 0
	.set _ZL13mul_mat_vec_qIN3c104HalfELi256ELi16E10block_q2_KLi1EXadL_ZL17vec_dot_q2_K_q8_1PKvPK10block_q8_1RKiEEEvS4_S4_PT_iii.has_dyn_sized_stack, 0
	.set _ZL13mul_mat_vec_qIN3c104HalfELi256ELi16E10block_q2_KLi1EXadL_ZL17vec_dot_q2_K_q8_1PKvPK10block_q8_1RKiEEEvS4_S4_PT_iii.has_recursion, 0
	.set _ZL13mul_mat_vec_qIN3c104HalfELi256ELi16E10block_q2_KLi1EXadL_ZL17vec_dot_q2_K_q8_1PKvPK10block_q8_1RKiEEEvS4_S4_PT_iii.has_indirect_call, 0
	.section	.AMDGPU.csdata,"",@progbits
; Kernel info:
; codeLenInByte = 1068
; TotalNumSgprs: 16
; NumVgprs: 42
; ScratchSize: 0
; MemoryBound: 0
; FloatMode: 240
; IeeeMode: 1
; LDSByteSize: 0 bytes/workgroup (compile time only)
; SGPRBlocks: 0
; VGPRBlocks: 5
; NumSGPRsForWavesPerEU: 16
; NumVGPRsForWavesPerEU: 42
; Occupancy: 16
; WaveLimiterHint : 0
; COMPUTE_PGM_RSRC2:SCRATCH_EN: 0
; COMPUTE_PGM_RSRC2:USER_SGPR: 6
; COMPUTE_PGM_RSRC2:TRAP_HANDLER: 0
; COMPUTE_PGM_RSRC2:TGID_X_EN: 1
; COMPUTE_PGM_RSRC2:TGID_Y_EN: 1
; COMPUTE_PGM_RSRC2:TGID_Z_EN: 0
; COMPUTE_PGM_RSRC2:TIDIG_COMP_CNT: 1
	.section	.text._ZL13mul_mat_vec_qIN3c104HalfELi256ELi16E10block_q3_KLi1EXadL_ZL17vec_dot_q3_K_q8_1PKvPK10block_q8_1RKiEEEvS4_S4_PT_iii,"axG",@progbits,_ZL13mul_mat_vec_qIN3c104HalfELi256ELi16E10block_q3_KLi1EXadL_ZL17vec_dot_q3_K_q8_1PKvPK10block_q8_1RKiEEEvS4_S4_PT_iii,comdat
	.globl	_ZL13mul_mat_vec_qIN3c104HalfELi256ELi16E10block_q3_KLi1EXadL_ZL17vec_dot_q3_K_q8_1PKvPK10block_q8_1RKiEEEvS4_S4_PT_iii ; -- Begin function _ZL13mul_mat_vec_qIN3c104HalfELi256ELi16E10block_q3_KLi1EXadL_ZL17vec_dot_q3_K_q8_1PKvPK10block_q8_1RKiEEEvS4_S4_PT_iii
	.p2align	8
	.type	_ZL13mul_mat_vec_qIN3c104HalfELi256ELi16E10block_q3_KLi1EXadL_ZL17vec_dot_q3_K_q8_1PKvPK10block_q8_1RKiEEEvS4_S4_PT_iii,@function
_ZL13mul_mat_vec_qIN3c104HalfELi256ELi16E10block_q3_KLi1EXadL_ZL17vec_dot_q3_K_q8_1PKvPK10block_q8_1RKiEEEvS4_S4_PT_iii: ; @_ZL13mul_mat_vec_qIN3c104HalfELi256ELi16E10block_q3_KLi1EXadL_ZL17vec_dot_q3_K_q8_1PKvPK10block_q8_1RKiEEEvS4_S4_PT_iii
; %bb.0:
	s_clause 0x1
	s_load_dword s8, s[4:5], 0x34
	s_load_dwordx4 s[0:3], s[4:5], 0x18
	s_waitcnt lgkmcnt(0)
	s_lshr_b32 s3, s8, 16
	s_cmp_lt_u32 s7, s2
	v_mad_u64_u32 v[1:2], null, s6, s3, v[1:2]
	s_cselect_b32 s2, -1, 0
	v_cmp_gt_u32_e32 vcc_lo, s1, v1
	s_and_b32 s2, s2, vcc_lo
	s_and_saveexec_b32 s3, s2
	s_cbranch_execz .LBB84_7
; %bb.1:
	s_load_dwordx2 s[2:3], s[4:5], 0x10
	s_ashr_i32 s6, s0, 31
	v_lshrrev_b32_e32 v10, 4, v0
	s_lshr_b32 s6, s6, 24
	v_mov_b32_e32 v3, 0
	s_add_i32 s6, s0, s6
	s_ashr_i32 s12, s6, 8
	s_mov_b32 s6, exec_lo
	v_cmpx_gt_u32_e64 s12, v10
	s_cbranch_execz .LBB84_5
; %bb.2:
	v_and_b32_e32 v4, 15, v0
	v_lshrrev_b32_e32 v6, 1, v0
	v_mov_b32_e32 v3, 0
	v_mov_b32_e32 v35, 1
	;; [unrolled: 1-line block ×3, first 2 shown]
	v_sub_co_u32 v2, vcc_lo, v4, 8
	v_lshlrev_b32_e32 v13, 2, v4
	v_and_b32_e32 v12, 4, v6
	s_load_dwordx4 s[8:11], s[4:5], 0x0
	v_cndmask_b32_e32 v2, v2, v4, vcc_lo
	s_addk_i32 s0, 0x1ff
	v_mul_lo_u32 v11, v1, s12
	s_ashr_i32 s4, s0, 31
	s_lshr_b32 s4, s4, 23
	v_sub_nc_u32_e32 v5, v4, v2
	v_cmp_lt_u32_e32 vcc_lo, 3, v2
	s_add_i32 s0, s0, s4
	s_ashr_i32 s0, s0, 9
	v_add_co_ci_u32_e64 v8, null, 0, v5, vcc_lo
	s_mul_i32 s0, s7, s0
	v_bfe_i32 v5, v8, 0, 8
	v_add_nc_u16 v22, v8, 2
	v_add_nc_u16 v27, v8, 4
	v_lshrrev_b16 v4, 7, v5
	v_bfe_i32 v5, v22, 0, 8
	v_bfe_i32 v6, v27, 0, 8
	v_and_b32_e32 v7, 0xff, v4
	v_lshrrev_b16 v14, 7, v5
	v_lshlrev_b64 v[4:5], 2, v[2:3]
	v_lshrrev_b16 v2, 7, v6
	v_lshrrev_b16 v15, 5, v7
	;; [unrolled: 1-line block ×3, first 2 shown]
	v_and_b32_e32 v14, 0xff, v14
	v_and_b32_e32 v23, 0xff, v2
	s_waitcnt lgkmcnt(0)
	v_mad_u64_u32 v[6:7], null, v12, 36, s[10:11]
	v_add_nc_u16 v15, v8, v15
	v_add_nc_u16 v2, v8, v16
	v_lshrrev_b16 v16, 5, v14
	v_lshrrev_b16 v14, 6, v14
	;; [unrolled: 1-line block ×3, first 2 shown]
	v_bfe_i32 v17, v15, 0, 8
	v_and_b32_e32 v15, 0xf8, v15
	v_bfe_i32 v18, v2, 0, 8
	v_and_b32_e32 v2, 0xfc, v2
	v_add_nc_u16 v21, v22, v14
	v_add_nc_u16 v16, v22, v16
	v_sub_nc_u16 v14, v8, v15
	v_add_nc_u16 v25, v27, v25
	v_sub_nc_u16 v15, v8, v2
	v_add_nc_u16 v8, v8, 6
	v_bfe_i32 v24, v21, 0, 8
	v_and_b32_e32 v20, 0xf8, v16
	v_and_b32_e32 v26, 0xfc, v21
	v_lshrrev_b16 v29, 6, v23
	v_bfe_i32 v28, v8, 0, 8
	v_ashrrev_i16 v24, 2, v24
	v_sub_nc_u16 v20, v22, v20
	v_sub_nc_u16 v26, v22, v26
	v_add_nc_u16 v29, v27, v29
	v_lshrrev_b16 v28, 7, v28
	v_lshlrev_b32_sdwa v22, v35, sext(v24) dst_sel:DWORD dst_unused:UNUSED_PAD src0_sel:DWORD src1_sel:WORD_0
	v_bfe_i32 v24, v25, 0, 8
	v_and_b32_e32 v25, 0xf8, v25
	v_bfe_i32 v23, v26, 0, 8
	v_and_b32_e32 v28, 0xff, v28
	v_bfe_i32 v32, v29, 0, 8
	v_lshrrev_b16 v26, 3, v24
	v_sub_nc_u16 v30, v27, v25
	v_and_b32_e32 v29, 0xfc, v29
	v_lshrrev_b16 v31, 5, v28
	v_lshrrev_b16 v28, 6, v28
	v_lshlrev_b32_sdwa v25, v9, v26 dst_sel:DWORD dst_unused:UNUSED_PAD src0_sel:DWORD src1_sel:BYTE_0
	v_bfe_i32 v26, v30, 0, 8
	v_bfe_i32 v19, v16, 0, 8
	v_add_nc_u16 v30, v8, v31
	v_lshrrev_b16 v31, 2, v32
	v_add_nc_u16 v32, v8, v28
	v_sub_nc_u16 v29, v27, v29
	v_lshrrev_b16 v17, 3, v17
	v_and_b32_e32 v33, 0xf8, v30
	v_lshlrev_b32_sdwa v28, v35, v31 dst_sel:DWORD dst_unused:UNUSED_PAD src0_sel:DWORD src1_sel:BYTE_0
	v_and_b32_e32 v31, 0xfc, v32
	v_bfe_i32 v34, v30, 0, 8
	v_bfe_i32 v32, v32, 0, 8
	v_sub_nc_u16 v33, v8, v33
	v_ashrrev_i16 v18, 2, v18
	v_sub_nc_u16 v8, v8, v31
	v_bfe_i32 v2, v14, 0, 8
	v_bfe_i32 v14, v15, 0, 8
	v_lshrrev_b16 v19, 3, v19
	v_bfe_i32 v20, v20, 0, 8
	v_bfe_i32 v29, v29, 0, 8
	v_lshrrev_b16 v34, 3, v34
	v_bfe_i32 v31, v33, 0, 8
	v_lshrrev_b16 v36, 2, v32
	v_bfe_i32 v32, v8, 0, 8
	v_lshlrev_b32_e32 v8, 3, v10
	v_lshlrev_b32_sdwa v15, v9, v17 dst_sel:DWORD dst_unused:UNUSED_PAD src0_sel:DWORD src1_sel:BYTE_0
	v_lshlrev_b32_sdwa v16, v35, sext(v18) dst_sel:DWORD dst_unused:UNUSED_PAD src0_sel:DWORD src1_sel:WORD_0
	v_ashrrev_i32_e32 v17, 31, v2
	v_ashrrev_i32_e32 v18, 31, v14
	v_lshlrev_b32_sdwa v19, v9, v19 dst_sel:DWORD dst_unused:UNUSED_PAD src0_sel:DWORD src1_sel:BYTE_0
	v_ashrrev_i32_e32 v21, 31, v20
	v_ashrrev_i32_e32 v24, 31, v23
	;; [unrolled: 1-line block ×4, first 2 shown]
	v_lshlrev_b32_sdwa v33, v9, v34 dst_sel:DWORD dst_unused:UNUSED_PAD src0_sel:DWORD src1_sel:BYTE_0
	v_ashrrev_i32_e32 v34, 31, v31
	v_lshlrev_b32_sdwa v35, v35, v36 dst_sel:DWORD dst_unused:UNUSED_PAD src0_sel:DWORD src1_sel:BYTE_0
	v_ashrrev_i32_e32 v36, 31, v32
	v_lshl_add_u32 v37, s0, 4, v8
	s_mov_b32 s0, 0
.LBB84_3:                               ; =>This Inner Loop Header: Depth=1
	v_add_nc_u32_e32 v8, v11, v10
	v_mad_i64_i32 v[42:43], null, v37, 36, v[6:7]
	v_add_nc_u32_e32 v10, 2, v10
	v_add_nc_u32_e32 v37, 16, v37
	v_mad_i64_i32 v[8:9], null, 0x6e, v8, s[8:9]
	v_add_co_u32 v39, vcc_lo, v8, v13
	v_add_co_ci_u32_e64 v40, null, 0, v9, vcc_lo
	s_clause 0x1
	global_load_ushort v38, v[8:9], off offset:108
	global_load_dword v41, v[39:40], off offset:32
	v_add_co_u32 v39, vcc_lo, v8, v4
	v_add_co_ci_u32_e64 v40, null, v9, v5, vcc_lo
	global_load_dword v44, v[39:40], off
	v_add_co_u32 v39, vcc_lo, v42, v4
	v_add_co_ci_u32_e64 v40, null, v43, v5, vcc_lo
	s_clause 0x7
	global_load_dword v45, v[39:40], off offset:4
	global_load_dword v46, v[42:43], off
	global_load_dword v47, v[39:40], off offset:40
	global_load_dword v48, v[42:43], off offset:36
	;; [unrolled: 1-line block ×6, first 2 shown]
	v_add_co_u32 v43, vcc_lo, v8, v2
	s_waitcnt vmcnt(9)
	v_bfe_u32 v52, v41, 24, 2
	s_waitcnt vmcnt(8)
	v_ashrrev_i32_e32 v42, v12, v44
	v_add_co_ci_u32_e64 v44, null, v9, v17, vcc_lo
	v_not_b32_e32 v42, v42
	global_load_ubyte v43, v[43:44], off offset:96
	v_lshlrev_b32_e32 v54, 2, v42
	v_and_b32_e32 v54, 0x4040404, v54
	v_lshrrev_b32_e32 v56, 24, v54
	v_lshrrev_b16 v57, 8, v54
	v_lshrrev_b32_e32 v55, 16, v54
	v_sub_nc_u16 v52, v52, v56
	v_lshlrev_b16 v52, 8, v52
	s_waitcnt vmcnt(0)
	v_bfe_u32 v51, v43, v15, 4
	v_add_co_u32 v43, vcc_lo, v8, v14
	v_add_co_ci_u32_e64 v44, null, v9, v18, vcc_lo
	global_load_ubyte v43, v[43:44], off offset:104
	v_and_b32_e32 v44, 0x3030303, v41
	v_lshrrev_b16 v53, 8, v44
	v_sub_nc_u16 v53, v53, v57
	v_lshlrev_b16 v53, 8, v53
	s_waitcnt vmcnt(0)
	v_lshrrev_b32_e32 v43, v16, v43
	v_lshlrev_b32_e32 v43, 4, v43
	v_and_or_b32 v43, v43, 48, v51
	v_lshrrev_b32_e32 v51, 16, v44
	v_sub_nc_u16 v44, v44, v54
	v_subrev_nc_u32_e32 v43, 32, v43
	v_sub_nc_u16 v51, v51, v55
	v_or_b32_sdwa v44, v44, v53 dst_sel:DWORD dst_unused:UNUSED_PAD src0_sel:BYTE_0 src1_sel:DWORD
	v_lshlrev_b32_e32 v53, 1, v42
	v_or_b32_sdwa v51, v51, v52 dst_sel:WORD_1 dst_unused:UNUSED_PAD src0_sel:BYTE_0 src1_sel:DWORD
	v_and_b32_e32 v53, 0x4040404, v53
	v_or_b32_sdwa v44, v44, v51 dst_sel:DWORD dst_unused:UNUSED_PAD src0_sel:WORD_0 src1_sel:DWORD
	v_mov_b32_e32 v51, 0
	v_lshrrev_b32_e32 v55, 24, v53
	v_lshrrev_b16 v56, 8, v53
	v_lshrrev_b32_e32 v54, 16, v53
	v_dot4c_i32_i8 v51, v44, v45
	v_mul_lo_u32 v43, v43, v51
	v_cvt_f32_i32_e32 v43, v43
	v_fma_mix_f32 v45, v46, v43, 0 op_sel_hi:[1,0,0]
	v_add_co_u32 v43, vcc_lo, v8, v20
	v_add_co_ci_u32_e64 v44, null, v9, v21, vcc_lo
	global_load_ubyte v43, v[43:44], off offset:96
	s_waitcnt vmcnt(0)
	v_bfe_u32 v46, v43, v19, 4
	v_add_co_u32 v43, vcc_lo, v8, v23
	v_add_co_ci_u32_e64 v44, null, v9, v24, vcc_lo
	global_load_ubyte v43, v[43:44], off offset:104
	v_lshrrev_b32_e32 v44, 2, v41
	s_waitcnt vmcnt(0)
	v_lshrrev_b32_e32 v43, v22, v43
	v_lshlrev_b32_e32 v43, 4, v43
	v_and_or_b32 v43, v43, 48, v46
	v_and_b32_e32 v46, 0x3030303, v44
	v_bfe_u32 v44, v44, 24, 2
	v_subrev_nc_u32_e32 v43, 32, v43
	v_lshrrev_b16 v52, 8, v46
	v_lshrrev_b32_e32 v51, 16, v46
	v_sub_nc_u16 v44, v44, v55
	v_sub_nc_u16 v46, v46, v53
	;; [unrolled: 1-line block ×4, first 2 shown]
	v_lshlrev_b16 v44, 8, v44
	v_lshlrev_b16 v52, 8, v52
	v_or_b32_sdwa v44, v51, v44 dst_sel:WORD_1 dst_unused:UNUSED_PAD src0_sel:BYTE_0 src1_sel:DWORD
	v_and_b32_e32 v51, 0x4040404, v42
	v_lshrrev_b32_e32 v42, 1, v42
	v_or_b32_sdwa v46, v46, v52 dst_sel:DWORD dst_unused:UNUSED_PAD src0_sel:BYTE_0 src1_sel:DWORD
	v_lshrrev_b32_e32 v53, 24, v51
	v_lshrrev_b16 v54, 8, v51
	v_or_b32_sdwa v44, v46, v44 dst_sel:DWORD dst_unused:UNUSED_PAD src0_sel:WORD_0 src1_sel:DWORD
	v_mov_b32_e32 v46, 0
	v_lshrrev_b32_e32 v52, 16, v51
	v_and_b32_e32 v42, 0x4040404, v42
	v_dot4c_i32_i8 v46, v44, v47
	v_mul_lo_u32 v43, v43, v46
	v_cvt_f32_i32_e32 v43, v43
	v_fma_mix_f32 v45, v48, v43, v45 op_sel_hi:[1,0,0]
	v_add_co_u32 v43, vcc_lo, v8, v26
	v_add_co_ci_u32_e64 v44, null, v9, v27, vcc_lo
	global_load_ubyte v43, v[43:44], off offset:96
	s_waitcnt vmcnt(0)
	v_bfe_u32 v46, v43, v25, 4
	v_add_co_u32 v43, vcc_lo, v8, v29
	v_add_co_ci_u32_e64 v44, null, v9, v30, vcc_lo
	global_load_ubyte v43, v[43:44], off offset:104
	v_lshrrev_b32_e32 v44, 4, v41
	s_waitcnt vmcnt(0)
	v_lshrrev_b32_e32 v43, v28, v43
	v_lshlrev_b32_e32 v43, 4, v43
	v_and_or_b32 v43, v43, 48, v46
	v_and_b32_e32 v46, 0x3030303, v44
	v_bfe_u32 v44, v44, 24, 2
	v_subrev_nc_u32_e32 v43, 32, v43
	v_lshrrev_b16 v48, 8, v46
	v_lshrrev_b32_e32 v47, 16, v46
	v_sub_nc_u16 v44, v44, v53
	v_sub_nc_u16 v46, v46, v51
	;; [unrolled: 1-line block ×4, first 2 shown]
	v_lshlrev_b16 v44, 8, v44
	v_lshlrev_b16 v48, 8, v48
	v_or_b32_sdwa v44, v47, v44 dst_sel:WORD_1 dst_unused:UNUSED_PAD src0_sel:BYTE_0 src1_sel:DWORD
	v_lshrrev_b32_e32 v47, 24, v42
	v_or_b32_sdwa v46, v46, v48 dst_sel:DWORD dst_unused:UNUSED_PAD src0_sel:BYTE_0 src1_sel:DWORD
	v_lshrrev_b16 v48, 8, v42
	v_or_b32_sdwa v44, v46, v44 dst_sel:DWORD dst_unused:UNUSED_PAD src0_sel:WORD_0 src1_sel:DWORD
	v_mov_b32_e32 v46, 0
	v_dot4c_i32_i8 v46, v44, v49
	v_mul_lo_u32 v43, v43, v46
	v_lshrrev_b32_e32 v46, 16, v42
	v_cvt_f32_i32_e32 v43, v43
	v_fma_mix_f32 v45, v50, v43, v45 op_sel_hi:[1,0,0]
	v_add_co_u32 v43, vcc_lo, v8, v31
	v_add_co_ci_u32_e64 v44, null, v9, v34, vcc_lo
	v_add_co_u32 v8, vcc_lo, v8, v32
	v_add_co_ci_u32_e64 v9, null, v9, v36, vcc_lo
	global_load_ubyte v43, v[43:44], off offset:96
	v_cmp_le_u32_e32 vcc_lo, s12, v10
	global_load_ubyte v8, v[8:9], off offset:104
	v_lshrrev_b32_e32 v9, 6, v41
	v_lshrrev_b32_e32 v41, 30, v41
	s_or_b32 s0, vcc_lo, s0
	v_and_b32_e32 v9, 0x3030303, v9
	v_sub_nc_u16 v41, v41, v47
	v_lshrrev_b16 v44, 8, v9
	v_lshlrev_b16 v41, 8, v41
	s_waitcnt vmcnt(1)
	v_bfe_u32 v43, v43, v33, 4
	s_waitcnt vmcnt(0)
	v_lshrrev_b32_e32 v8, v35, v8
	v_lshlrev_b32_e32 v8, 4, v8
	v_and_or_b32 v8, v8, 48, v43
	v_lshrrev_b32_e32 v43, 16, v9
	v_sub_nc_u16 v9, v9, v42
	v_sub_nc_u16 v42, v44, v48
	v_subrev_nc_u32_e32 v8, 32, v8
	v_lshlrev_b16 v42, 8, v42
	v_or_b32_sdwa v9, v9, v42 dst_sel:DWORD dst_unused:UNUSED_PAD src0_sel:BYTE_0 src1_sel:DWORD
	v_sub_nc_u16 v42, v43, v46
	v_or_b32_sdwa v41, v42, v41 dst_sel:WORD_1 dst_unused:UNUSED_PAD src0_sel:BYTE_0 src1_sel:DWORD
	v_or_b32_sdwa v9, v9, v41 dst_sel:DWORD dst_unused:UNUSED_PAD src0_sel:WORD_0 src1_sel:DWORD
	v_mov_b32_e32 v41, 0
	v_dot4c_i32_i8 v41, v9, v40
	v_mul_lo_u32 v8, v8, v41
	v_cvt_f32_i32_e32 v8, v8
	v_fma_mix_f32 v8, v39, v8, v45 op_sel_hi:[1,0,0]
	v_fma_mix_f32 v3, v8, v38, v3 op_sel_hi:[0,1,0]
	s_andn2_b32 exec_lo, exec_lo, s0
	s_cbranch_execnz .LBB84_3
; %bb.4:
	s_or_b32 exec_lo, exec_lo, s0
.LBB84_5:
	s_or_b32 exec_lo, exec_lo, s6
	v_mbcnt_lo_u32_b32 v2, -1, 0
	v_xor_b32_e32 v4, 16, v2
	v_xor_b32_e32 v5, 8, v2
	v_cmp_gt_i32_e32 vcc_lo, 32, v4
	v_cndmask_b32_e32 v4, v2, v4, vcc_lo
	v_cmp_gt_i32_e32 vcc_lo, 32, v5
	v_lshlrev_b32_e32 v4, 2, v4
	v_cndmask_b32_e32 v5, v2, v5, vcc_lo
	ds_bpermute_b32 v4, v4, v3
	v_lshlrev_b32_e32 v5, 2, v5
	s_waitcnt lgkmcnt(0)
	v_add_f32_e32 v3, v3, v4
	ds_bpermute_b32 v4, v5, v3
	v_xor_b32_e32 v5, 4, v2
	v_cmp_gt_i32_e32 vcc_lo, 32, v5
	v_cndmask_b32_e32 v5, v2, v5, vcc_lo
	v_lshlrev_b32_e32 v5, 2, v5
	s_waitcnt lgkmcnt(0)
	v_add_f32_e32 v3, v3, v4
	ds_bpermute_b32 v4, v5, v3
	v_xor_b32_e32 v5, 2, v2
	v_cmp_gt_i32_e32 vcc_lo, 32, v5
	v_cndmask_b32_e32 v5, v2, v5, vcc_lo
	;; [unrolled: 7-line block ×3, first 2 shown]
	v_cmp_eq_u32_e32 vcc_lo, 0, v0
	s_waitcnt lgkmcnt(0)
	v_add_f32_e32 v2, v3, v4
	v_lshlrev_b32_e32 v3, 2, v5
	ds_bpermute_b32 v3, v3, v2
	s_and_b32 exec_lo, exec_lo, vcc_lo
	s_cbranch_execz .LBB84_7
; %bb.6:
	v_mad_u64_u32 v[0:1], null, s1, s7, v[1:2]
	v_mov_b32_e32 v1, 0
	s_waitcnt lgkmcnt(0)
	v_add_f32_e32 v2, v2, v3
	v_cvt_f16_f32_e32 v2, v2
	v_lshlrev_b64 v[0:1], 1, v[0:1]
	v_add_co_u32 v0, vcc_lo, s2, v0
	v_add_co_ci_u32_e64 v1, null, s3, v1, vcc_lo
	global_store_short v[0:1], v2, off
.LBB84_7:
	s_endpgm
	.section	.rodata,"a",@progbits
	.p2align	6, 0x0
	.amdhsa_kernel _ZL13mul_mat_vec_qIN3c104HalfELi256ELi16E10block_q3_KLi1EXadL_ZL17vec_dot_q3_K_q8_1PKvPK10block_q8_1RKiEEEvS4_S4_PT_iii
		.amdhsa_group_segment_fixed_size 0
		.amdhsa_private_segment_fixed_size 0
		.amdhsa_kernarg_size 296
		.amdhsa_user_sgpr_count 6
		.amdhsa_user_sgpr_private_segment_buffer 1
		.amdhsa_user_sgpr_dispatch_ptr 0
		.amdhsa_user_sgpr_queue_ptr 0
		.amdhsa_user_sgpr_kernarg_segment_ptr 1
		.amdhsa_user_sgpr_dispatch_id 0
		.amdhsa_user_sgpr_flat_scratch_init 0
		.amdhsa_user_sgpr_private_segment_size 0
		.amdhsa_wavefront_size32 1
		.amdhsa_uses_dynamic_stack 0
		.amdhsa_system_sgpr_private_segment_wavefront_offset 0
		.amdhsa_system_sgpr_workgroup_id_x 1
		.amdhsa_system_sgpr_workgroup_id_y 1
		.amdhsa_system_sgpr_workgroup_id_z 0
		.amdhsa_system_sgpr_workgroup_info 0
		.amdhsa_system_vgpr_workitem_id 1
		.amdhsa_next_free_vgpr 58
		.amdhsa_next_free_sgpr 13
		.amdhsa_reserve_vcc 1
		.amdhsa_reserve_flat_scratch 0
		.amdhsa_float_round_mode_32 0
		.amdhsa_float_round_mode_16_64 0
		.amdhsa_float_denorm_mode_32 3
		.amdhsa_float_denorm_mode_16_64 3
		.amdhsa_dx10_clamp 1
		.amdhsa_ieee_mode 1
		.amdhsa_fp16_overflow 0
		.amdhsa_workgroup_processor_mode 1
		.amdhsa_memory_ordered 1
		.amdhsa_forward_progress 1
		.amdhsa_shared_vgpr_count 0
		.amdhsa_exception_fp_ieee_invalid_op 0
		.amdhsa_exception_fp_denorm_src 0
		.amdhsa_exception_fp_ieee_div_zero 0
		.amdhsa_exception_fp_ieee_overflow 0
		.amdhsa_exception_fp_ieee_underflow 0
		.amdhsa_exception_fp_ieee_inexact 0
		.amdhsa_exception_int_div_zero 0
	.end_amdhsa_kernel
	.section	.text._ZL13mul_mat_vec_qIN3c104HalfELi256ELi16E10block_q3_KLi1EXadL_ZL17vec_dot_q3_K_q8_1PKvPK10block_q8_1RKiEEEvS4_S4_PT_iii,"axG",@progbits,_ZL13mul_mat_vec_qIN3c104HalfELi256ELi16E10block_q3_KLi1EXadL_ZL17vec_dot_q3_K_q8_1PKvPK10block_q8_1RKiEEEvS4_S4_PT_iii,comdat
.Lfunc_end84:
	.size	_ZL13mul_mat_vec_qIN3c104HalfELi256ELi16E10block_q3_KLi1EXadL_ZL17vec_dot_q3_K_q8_1PKvPK10block_q8_1RKiEEEvS4_S4_PT_iii, .Lfunc_end84-_ZL13mul_mat_vec_qIN3c104HalfELi256ELi16E10block_q3_KLi1EXadL_ZL17vec_dot_q3_K_q8_1PKvPK10block_q8_1RKiEEEvS4_S4_PT_iii
                                        ; -- End function
	.set _ZL13mul_mat_vec_qIN3c104HalfELi256ELi16E10block_q3_KLi1EXadL_ZL17vec_dot_q3_K_q8_1PKvPK10block_q8_1RKiEEEvS4_S4_PT_iii.num_vgpr, 58
	.set _ZL13mul_mat_vec_qIN3c104HalfELi256ELi16E10block_q3_KLi1EXadL_ZL17vec_dot_q3_K_q8_1PKvPK10block_q8_1RKiEEEvS4_S4_PT_iii.num_agpr, 0
	.set _ZL13mul_mat_vec_qIN3c104HalfELi256ELi16E10block_q3_KLi1EXadL_ZL17vec_dot_q3_K_q8_1PKvPK10block_q8_1RKiEEEvS4_S4_PT_iii.numbered_sgpr, 13
	.set _ZL13mul_mat_vec_qIN3c104HalfELi256ELi16E10block_q3_KLi1EXadL_ZL17vec_dot_q3_K_q8_1PKvPK10block_q8_1RKiEEEvS4_S4_PT_iii.num_named_barrier, 0
	.set _ZL13mul_mat_vec_qIN3c104HalfELi256ELi16E10block_q3_KLi1EXadL_ZL17vec_dot_q3_K_q8_1PKvPK10block_q8_1RKiEEEvS4_S4_PT_iii.private_seg_size, 0
	.set _ZL13mul_mat_vec_qIN3c104HalfELi256ELi16E10block_q3_KLi1EXadL_ZL17vec_dot_q3_K_q8_1PKvPK10block_q8_1RKiEEEvS4_S4_PT_iii.uses_vcc, 1
	.set _ZL13mul_mat_vec_qIN3c104HalfELi256ELi16E10block_q3_KLi1EXadL_ZL17vec_dot_q3_K_q8_1PKvPK10block_q8_1RKiEEEvS4_S4_PT_iii.uses_flat_scratch, 0
	.set _ZL13mul_mat_vec_qIN3c104HalfELi256ELi16E10block_q3_KLi1EXadL_ZL17vec_dot_q3_K_q8_1PKvPK10block_q8_1RKiEEEvS4_S4_PT_iii.has_dyn_sized_stack, 0
	.set _ZL13mul_mat_vec_qIN3c104HalfELi256ELi16E10block_q3_KLi1EXadL_ZL17vec_dot_q3_K_q8_1PKvPK10block_q8_1RKiEEEvS4_S4_PT_iii.has_recursion, 0
	.set _ZL13mul_mat_vec_qIN3c104HalfELi256ELi16E10block_q3_KLi1EXadL_ZL17vec_dot_q3_K_q8_1PKvPK10block_q8_1RKiEEEvS4_S4_PT_iii.has_indirect_call, 0
	.section	.AMDGPU.csdata,"",@progbits
; Kernel info:
; codeLenInByte = 2324
; TotalNumSgprs: 15
; NumVgprs: 58
; ScratchSize: 0
; MemoryBound: 0
; FloatMode: 240
; IeeeMode: 1
; LDSByteSize: 0 bytes/workgroup (compile time only)
; SGPRBlocks: 0
; VGPRBlocks: 7
; NumSGPRsForWavesPerEU: 15
; NumVGPRsForWavesPerEU: 58
; Occupancy: 16
; WaveLimiterHint : 0
; COMPUTE_PGM_RSRC2:SCRATCH_EN: 0
; COMPUTE_PGM_RSRC2:USER_SGPR: 6
; COMPUTE_PGM_RSRC2:TRAP_HANDLER: 0
; COMPUTE_PGM_RSRC2:TGID_X_EN: 1
; COMPUTE_PGM_RSRC2:TGID_Y_EN: 1
; COMPUTE_PGM_RSRC2:TGID_Z_EN: 0
; COMPUTE_PGM_RSRC2:TIDIG_COMP_CNT: 1
	.section	.text._ZL13mul_mat_vec_qIN3c104HalfELi256ELi32E10block_q4_KLi2EXadL_ZL17vec_dot_q4_K_q8_1PKvPK10block_q8_1RKiEEEvS4_S4_PT_iii,"axG",@progbits,_ZL13mul_mat_vec_qIN3c104HalfELi256ELi32E10block_q4_KLi2EXadL_ZL17vec_dot_q4_K_q8_1PKvPK10block_q8_1RKiEEEvS4_S4_PT_iii,comdat
	.globl	_ZL13mul_mat_vec_qIN3c104HalfELi256ELi32E10block_q4_KLi2EXadL_ZL17vec_dot_q4_K_q8_1PKvPK10block_q8_1RKiEEEvS4_S4_PT_iii ; -- Begin function _ZL13mul_mat_vec_qIN3c104HalfELi256ELi32E10block_q4_KLi2EXadL_ZL17vec_dot_q4_K_q8_1PKvPK10block_q8_1RKiEEEvS4_S4_PT_iii
	.p2align	8
	.type	_ZL13mul_mat_vec_qIN3c104HalfELi256ELi32E10block_q4_KLi2EXadL_ZL17vec_dot_q4_K_q8_1PKvPK10block_q8_1RKiEEEvS4_S4_PT_iii,@function
_ZL13mul_mat_vec_qIN3c104HalfELi256ELi32E10block_q4_KLi2EXadL_ZL17vec_dot_q4_K_q8_1PKvPK10block_q8_1RKiEEEvS4_S4_PT_iii: ; @_ZL13mul_mat_vec_qIN3c104HalfELi256ELi32E10block_q4_KLi2EXadL_ZL17vec_dot_q4_K_q8_1PKvPK10block_q8_1RKiEEEvS4_S4_PT_iii
; %bb.0:
	s_clause 0x1
	s_load_dword s8, s[4:5], 0x34
	s_load_dwordx4 s[0:3], s[4:5], 0x18
	s_waitcnt lgkmcnt(0)
	s_lshr_b32 s3, s8, 16
	s_cmp_lt_u32 s7, s2
	v_mad_u64_u32 v[1:2], null, s6, s3, v[1:2]
	s_cselect_b32 s2, -1, 0
	v_cmp_gt_u32_e32 vcc_lo, s1, v1
	s_and_b32 s2, s2, vcc_lo
	s_and_saveexec_b32 s3, s2
	s_cbranch_execz .LBB85_11
; %bb.1:
	s_load_dwordx2 s[2:3], s[4:5], 0x10
	s_ashr_i32 s6, s0, 31
	v_lshrrev_b32_e32 v9, 4, v0
	s_lshr_b32 s6, s6, 24
	v_mov_b32_e32 v8, 0
	s_add_i32 s6, s0, s6
	s_ashr_i32 s12, s6, 8
	s_mov_b32 s6, exec_lo
	v_cmpx_gt_u32_e64 s12, v9
	s_cbranch_execz .LBB85_9
; %bb.2:
	s_load_dwordx4 s[8:11], s[4:5], 0x0
	v_lshlrev_b32_e32 v2, 1, v0
	s_addk_i32 s0, 0x1ff
	v_and_b32_e32 v4, 3, v0
	s_ashr_i32 s4, s0, 31
	v_lshlrev_b32_e32 v5, 3, v9
	v_bfe_u32 v6, v2, 3, 2
	s_lshr_b32 s4, s4, 23
	v_and_b32_e32 v2, 30, v2
	s_add_i32 s0, s0, s4
	v_mul_lo_u32 v10, v1, s12
	v_lshlrev_b32_e32 v3, 1, v6
	s_ashr_i32 s0, s0, 9
	v_cmp_lt_u32_e32 vcc_lo, 15, v2
	s_mul_i32 s0, s7, s0
	v_mov_b32_e32 v8, 0
	v_lshlrev_b32_e32 v11, 2, v4
	v_lshlrev_b32_e32 v12, 5, v6
	v_lshl_add_u32 v13, s0, 4, v5
	v_lshlrev_b32_e32 v14, 1, v6
	s_waitcnt lgkmcnt(0)
	v_mad_u64_u32 v[2:3], null, v3, 36, s[10:11]
	v_lshlrev_b32_e32 v15, 2, v4
	v_mov_b32_e32 v16, 0xffff
	s_mov_b32 s4, 0
	s_branch .LBB85_4
.LBB85_3:                               ;   in Loop: Header=BB85_4 Depth=1
	s_or_b32 exec_lo, exec_lo, s0
	v_mad_i64_i32 v[6:7], null, v13, 36, v[2:3]
	v_mov_b32_e32 v27, 0
	v_mov_b32_e32 v26, 0
	;; [unrolled: 1-line block ×3, first 2 shown]
	s_waitcnt vmcnt(0)
	v_and_b32_e32 v25, 0xf0f0f0f, v17
	v_and_b32_e32 v28, 0xff, v18
	v_lshrrev_b32_e32 v17, 4, v17
	v_add_co_u32 v20, s0, v6, v15
	v_add_co_ci_u32_e64 v21, null, 0, v7, s0
	v_mov_b32_e32 v29, 0
	v_bfe_u32 v31, v18, 16, 8
	v_add_nc_u32_e32 v9, 2, v9
	s_clause 0x4
	global_load_dword v22, v[20:21], off offset:4
	global_load_dword v23, v[20:21], off offset:40
	;; [unrolled: 1-line block ×4, first 2 shown]
	global_load_dword v21, v[6:7], off
	global_load_dword v4, v[4:5], off
	global_load_dword v5, v[6:7], off offset:36
	v_and_b32_e32 v7, 0xf0f0f0f, v19
	v_lshrrev_b32_e32 v19, 4, v19
	v_and_b32_sdwa v6, v16, v18 dst_sel:DWORD dst_unused:UNUSED_PAD src0_sel:DWORD src1_sel:BYTE_1
	v_lshrrev_b32_e32 v18, 24, v18
	v_cmp_le_u32_e64 s0, s12, v9
	v_add_nc_u32_e32 v13, 16, v13
	v_and_b32_e32 v19, 0xf0f0f0f, v19
	s_or_b32 s4, s0, s4
	s_waitcnt vmcnt(6)
	v_dot4c_i32_i8 v27, 0x1010101, v22
	v_dot4c_i32_i8 v26, v7, v22
	s_waitcnt vmcnt(5)
	v_dot4c_i32_i8 v30, 0x1010101, v23
	v_and_b32_e32 v7, 0xf0f0f0f, v17
	v_dot4c_i32_i8 v29, v19, v23
	s_waitcnt vmcnt(4)
	v_dot4c_i32_i8 v27, 0x1010101, v24
	v_dot4c_i32_i8 v26, v25, v24
	s_waitcnt vmcnt(3)
	v_dot4c_i32_i8 v30, 0x1010101, v20
	s_waitcnt vmcnt(1)
	v_cvt_f32_f16_sdwa v19, v4 dst_sel:DWORD dst_unused:UNUSED_PAD src0_sel:WORD_1
	v_dot4c_i32_i8 v29, v7, v20
	v_mul_lo_u32 v17, v27, v28
	v_mul_lo_u32 v7, v26, v31
	;; [unrolled: 1-line block ×4, first 2 shown]
	v_cvt_f32_i32_e32 v17, v17
	v_cvt_f32_i32_e32 v7, v7
	v_cvt_f32_i32_e32 v6, v6
	v_cvt_f32_i32_e32 v18, v18
	v_fma_mix_f32 v17, v21, v17, 0 op_sel_hi:[1,0,0]
	v_fma_mix_f32 v7, v21, v7, 0 op_sel_hi:[1,0,0]
	s_waitcnt vmcnt(0)
	v_fma_mix_f32 v6, v5, v6, v17 op_sel_hi:[1,0,0]
	v_fma_mix_f32 v5, v5, v18, v7 op_sel_hi:[1,0,0]
	v_mul_f32_e32 v6, v6, v19
	v_fma_mix_f32 v4, v5, v4, -v6 op_sel_hi:[0,1,0]
	v_add_f32_e32 v8, v8, v4
	s_andn2_b32 exec_lo, exec_lo, s4
	s_cbranch_execz .LBB85_8
.LBB85_4:                               ; =>This Inner Loop Header: Depth=1
	v_add_nc_u32_e32 v4, v10, v9
                                        ; implicit-def: $vgpr18
	v_mad_i64_i32 v[4:5], null, 0x90, v4, s[8:9]
	v_add_co_u32 v6, s0, v4, v12
	v_add_co_ci_u32_e64 v7, null, 0, v5, s0
	v_add_co_u32 v6, s0, v6, v11
	v_add_co_ci_u32_e64 v7, null, 0, v7, s0
	s_clause 0x1
	global_load_dword v19, v[6:7], off offset:16
	global_load_dword v17, v[6:7], off offset:32
	v_add_co_u32 v6, s0, v4, v14
	v_add_co_ci_u32_e64 v7, null, 0, v5, s0
	s_and_saveexec_b32 s0, vcc_lo
	s_xor_b32 s0, exec_lo, s0
	s_cbranch_execz .LBB85_6
; %bb.5:                                ;   in Loop: Header=BB85_4 Depth=1
	s_clause 0x1
	global_load_ushort v18, v[6:7], off offset:8
	global_load_ushort v20, v[6:7], off offset:4
	s_waitcnt vmcnt(1)
	v_mov_b32_e32 v21, v18
	global_load_short_d16_hi v21, v[6:7], off
	s_waitcnt vmcnt(1)
	v_perm_b32 v6, v18, v20, 0x5040100
	v_pk_lshrrev_b16 v6, 2, v6
	v_and_b32_e32 v6, 0xf0f3030, v6
	s_waitcnt vmcnt(0)
	v_pk_lshrrev_b16 v7, 0x20004, v21
	v_and_or_b32 v18, 0x30300f0f, v7, v6
                                        ; implicit-def: $vgpr6_vgpr7
.LBB85_6:                               ;   in Loop: Header=BB85_4 Depth=1
	s_andn2_saveexec_b32 s0, s0
	s_cbranch_execz .LBB85_3
; %bb.7:                                ;   in Loop: Header=BB85_4 Depth=1
	s_clause 0x1
	global_load_ushort v18, v[6:7], off offset:8
	global_load_short_d16_hi v18, v[6:7], off offset:4
	s_waitcnt vmcnt(0)
	v_and_b32_e32 v18, 0x3f3f3f3f, v18
	s_branch .LBB85_3
.LBB85_8:
	s_or_b32 exec_lo, exec_lo, s4
.LBB85_9:
	s_or_b32 exec_lo, exec_lo, s6
	v_mbcnt_lo_u32_b32 v2, -1, 0
	v_xor_b32_e32 v3, 16, v2
	v_xor_b32_e32 v4, 8, v2
	;; [unrolled: 1-line block ×3, first 2 shown]
	v_cmp_gt_i32_e32 vcc_lo, 32, v3
	v_cndmask_b32_e32 v3, v2, v3, vcc_lo
	v_cmp_gt_i32_e32 vcc_lo, 32, v4
	v_lshlrev_b32_e32 v3, 2, v3
	v_cndmask_b32_e32 v4, v2, v4, vcc_lo
	v_cmp_gt_i32_e32 vcc_lo, 32, v5
	ds_bpermute_b32 v3, v3, v8
	v_lshlrev_b32_e32 v4, 2, v4
	v_cndmask_b32_e32 v5, v2, v5, vcc_lo
	v_lshlrev_b32_e32 v5, 2, v5
	s_waitcnt lgkmcnt(0)
	v_add_f32_e32 v3, v8, v3
	ds_bpermute_b32 v4, v4, v3
	s_waitcnt lgkmcnt(0)
	v_add_f32_e32 v3, v3, v4
	ds_bpermute_b32 v4, v5, v3
	v_xor_b32_e32 v5, 2, v2
	v_cmp_gt_i32_e32 vcc_lo, 32, v5
	v_cndmask_b32_e32 v5, v2, v5, vcc_lo
	v_lshlrev_b32_e32 v5, 2, v5
	s_waitcnt lgkmcnt(0)
	v_add_f32_e32 v3, v3, v4
	ds_bpermute_b32 v4, v5, v3
	v_xor_b32_e32 v5, 1, v2
	v_cmp_gt_i32_e32 vcc_lo, 32, v5
	v_cndmask_b32_e32 v5, v2, v5, vcc_lo
	v_cmp_eq_u32_e32 vcc_lo, 0, v0
	s_waitcnt lgkmcnt(0)
	v_add_f32_e32 v2, v3, v4
	v_lshlrev_b32_e32 v3, 2, v5
	ds_bpermute_b32 v3, v3, v2
	s_and_b32 exec_lo, exec_lo, vcc_lo
	s_cbranch_execz .LBB85_11
; %bb.10:
	v_mad_u64_u32 v[0:1], null, s1, s7, v[1:2]
	v_mov_b32_e32 v1, 0
	s_waitcnt lgkmcnt(0)
	v_add_f32_e32 v2, v2, v3
	v_cvt_f16_f32_e32 v2, v2
	v_lshlrev_b64 v[0:1], 1, v[0:1]
	v_add_co_u32 v0, vcc_lo, s2, v0
	v_add_co_ci_u32_e64 v1, null, s3, v1, vcc_lo
	global_store_short v[0:1], v2, off
.LBB85_11:
	s_endpgm
	.section	.rodata,"a",@progbits
	.p2align	6, 0x0
	.amdhsa_kernel _ZL13mul_mat_vec_qIN3c104HalfELi256ELi32E10block_q4_KLi2EXadL_ZL17vec_dot_q4_K_q8_1PKvPK10block_q8_1RKiEEEvS4_S4_PT_iii
		.amdhsa_group_segment_fixed_size 0
		.amdhsa_private_segment_fixed_size 0
		.amdhsa_kernarg_size 296
		.amdhsa_user_sgpr_count 6
		.amdhsa_user_sgpr_private_segment_buffer 1
		.amdhsa_user_sgpr_dispatch_ptr 0
		.amdhsa_user_sgpr_queue_ptr 0
		.amdhsa_user_sgpr_kernarg_segment_ptr 1
		.amdhsa_user_sgpr_dispatch_id 0
		.amdhsa_user_sgpr_flat_scratch_init 0
		.amdhsa_user_sgpr_private_segment_size 0
		.amdhsa_wavefront_size32 1
		.amdhsa_uses_dynamic_stack 0
		.amdhsa_system_sgpr_private_segment_wavefront_offset 0
		.amdhsa_system_sgpr_workgroup_id_x 1
		.amdhsa_system_sgpr_workgroup_id_y 1
		.amdhsa_system_sgpr_workgroup_id_z 0
		.amdhsa_system_sgpr_workgroup_info 0
		.amdhsa_system_vgpr_workitem_id 1
		.amdhsa_next_free_vgpr 32
		.amdhsa_next_free_sgpr 13
		.amdhsa_reserve_vcc 1
		.amdhsa_reserve_flat_scratch 0
		.amdhsa_float_round_mode_32 0
		.amdhsa_float_round_mode_16_64 0
		.amdhsa_float_denorm_mode_32 3
		.amdhsa_float_denorm_mode_16_64 3
		.amdhsa_dx10_clamp 1
		.amdhsa_ieee_mode 1
		.amdhsa_fp16_overflow 0
		.amdhsa_workgroup_processor_mode 1
		.amdhsa_memory_ordered 1
		.amdhsa_forward_progress 1
		.amdhsa_shared_vgpr_count 0
		.amdhsa_exception_fp_ieee_invalid_op 0
		.amdhsa_exception_fp_denorm_src 0
		.amdhsa_exception_fp_ieee_div_zero 0
		.amdhsa_exception_fp_ieee_overflow 0
		.amdhsa_exception_fp_ieee_underflow 0
		.amdhsa_exception_fp_ieee_inexact 0
		.amdhsa_exception_int_div_zero 0
	.end_amdhsa_kernel
	.section	.text._ZL13mul_mat_vec_qIN3c104HalfELi256ELi32E10block_q4_KLi2EXadL_ZL17vec_dot_q4_K_q8_1PKvPK10block_q8_1RKiEEEvS4_S4_PT_iii,"axG",@progbits,_ZL13mul_mat_vec_qIN3c104HalfELi256ELi32E10block_q4_KLi2EXadL_ZL17vec_dot_q4_K_q8_1PKvPK10block_q8_1RKiEEEvS4_S4_PT_iii,comdat
.Lfunc_end85:
	.size	_ZL13mul_mat_vec_qIN3c104HalfELi256ELi32E10block_q4_KLi2EXadL_ZL17vec_dot_q4_K_q8_1PKvPK10block_q8_1RKiEEEvS4_S4_PT_iii, .Lfunc_end85-_ZL13mul_mat_vec_qIN3c104HalfELi256ELi32E10block_q4_KLi2EXadL_ZL17vec_dot_q4_K_q8_1PKvPK10block_q8_1RKiEEEvS4_S4_PT_iii
                                        ; -- End function
	.set _ZL13mul_mat_vec_qIN3c104HalfELi256ELi32E10block_q4_KLi2EXadL_ZL17vec_dot_q4_K_q8_1PKvPK10block_q8_1RKiEEEvS4_S4_PT_iii.num_vgpr, 32
	.set _ZL13mul_mat_vec_qIN3c104HalfELi256ELi32E10block_q4_KLi2EXadL_ZL17vec_dot_q4_K_q8_1PKvPK10block_q8_1RKiEEEvS4_S4_PT_iii.num_agpr, 0
	.set _ZL13mul_mat_vec_qIN3c104HalfELi256ELi32E10block_q4_KLi2EXadL_ZL17vec_dot_q4_K_q8_1PKvPK10block_q8_1RKiEEEvS4_S4_PT_iii.numbered_sgpr, 13
	.set _ZL13mul_mat_vec_qIN3c104HalfELi256ELi32E10block_q4_KLi2EXadL_ZL17vec_dot_q4_K_q8_1PKvPK10block_q8_1RKiEEEvS4_S4_PT_iii.num_named_barrier, 0
	.set _ZL13mul_mat_vec_qIN3c104HalfELi256ELi32E10block_q4_KLi2EXadL_ZL17vec_dot_q4_K_q8_1PKvPK10block_q8_1RKiEEEvS4_S4_PT_iii.private_seg_size, 0
	.set _ZL13mul_mat_vec_qIN3c104HalfELi256ELi32E10block_q4_KLi2EXadL_ZL17vec_dot_q4_K_q8_1PKvPK10block_q8_1RKiEEEvS4_S4_PT_iii.uses_vcc, 1
	.set _ZL13mul_mat_vec_qIN3c104HalfELi256ELi32E10block_q4_KLi2EXadL_ZL17vec_dot_q4_K_q8_1PKvPK10block_q8_1RKiEEEvS4_S4_PT_iii.uses_flat_scratch, 0
	.set _ZL13mul_mat_vec_qIN3c104HalfELi256ELi32E10block_q4_KLi2EXadL_ZL17vec_dot_q4_K_q8_1PKvPK10block_q8_1RKiEEEvS4_S4_PT_iii.has_dyn_sized_stack, 0
	.set _ZL13mul_mat_vec_qIN3c104HalfELi256ELi32E10block_q4_KLi2EXadL_ZL17vec_dot_q4_K_q8_1PKvPK10block_q8_1RKiEEEvS4_S4_PT_iii.has_recursion, 0
	.set _ZL13mul_mat_vec_qIN3c104HalfELi256ELi32E10block_q4_KLi2EXadL_ZL17vec_dot_q4_K_q8_1PKvPK10block_q8_1RKiEEEvS4_S4_PT_iii.has_indirect_call, 0
	.section	.AMDGPU.csdata,"",@progbits
; Kernel info:
; codeLenInByte = 1092
; TotalNumSgprs: 15
; NumVgprs: 32
; ScratchSize: 0
; MemoryBound: 0
; FloatMode: 240
; IeeeMode: 1
; LDSByteSize: 0 bytes/workgroup (compile time only)
; SGPRBlocks: 0
; VGPRBlocks: 3
; NumSGPRsForWavesPerEU: 15
; NumVGPRsForWavesPerEU: 32
; Occupancy: 16
; WaveLimiterHint : 0
; COMPUTE_PGM_RSRC2:SCRATCH_EN: 0
; COMPUTE_PGM_RSRC2:USER_SGPR: 6
; COMPUTE_PGM_RSRC2:TRAP_HANDLER: 0
; COMPUTE_PGM_RSRC2:TGID_X_EN: 1
; COMPUTE_PGM_RSRC2:TGID_Y_EN: 1
; COMPUTE_PGM_RSRC2:TGID_Z_EN: 0
; COMPUTE_PGM_RSRC2:TIDIG_COMP_CNT: 1
	.section	.text._ZL13mul_mat_vec_qIN3c104HalfELi256ELi32E10block_q5_KLi2EXadL_ZL17vec_dot_q5_K_q8_1PKvPK10block_q8_1RKiEEEvS4_S4_PT_iii,"axG",@progbits,_ZL13mul_mat_vec_qIN3c104HalfELi256ELi32E10block_q5_KLi2EXadL_ZL17vec_dot_q5_K_q8_1PKvPK10block_q8_1RKiEEEvS4_S4_PT_iii,comdat
	.globl	_ZL13mul_mat_vec_qIN3c104HalfELi256ELi32E10block_q5_KLi2EXadL_ZL17vec_dot_q5_K_q8_1PKvPK10block_q8_1RKiEEEvS4_S4_PT_iii ; -- Begin function _ZL13mul_mat_vec_qIN3c104HalfELi256ELi32E10block_q5_KLi2EXadL_ZL17vec_dot_q5_K_q8_1PKvPK10block_q8_1RKiEEEvS4_S4_PT_iii
	.p2align	8
	.type	_ZL13mul_mat_vec_qIN3c104HalfELi256ELi32E10block_q5_KLi2EXadL_ZL17vec_dot_q5_K_q8_1PKvPK10block_q8_1RKiEEEvS4_S4_PT_iii,@function
_ZL13mul_mat_vec_qIN3c104HalfELi256ELi32E10block_q5_KLi2EXadL_ZL17vec_dot_q5_K_q8_1PKvPK10block_q8_1RKiEEEvS4_S4_PT_iii: ; @_ZL13mul_mat_vec_qIN3c104HalfELi256ELi32E10block_q5_KLi2EXadL_ZL17vec_dot_q5_K_q8_1PKvPK10block_q8_1RKiEEEvS4_S4_PT_iii
; %bb.0:
	s_clause 0x1
	s_load_dword s8, s[4:5], 0x34
	s_load_dwordx4 s[0:3], s[4:5], 0x18
	s_waitcnt lgkmcnt(0)
	s_lshr_b32 s3, s8, 16
	s_cmp_lt_u32 s7, s2
	v_mad_u64_u32 v[1:2], null, s6, s3, v[1:2]
	s_cselect_b32 s2, -1, 0
	v_cmp_gt_u32_e32 vcc_lo, s1, v1
	s_and_b32 s2, s2, vcc_lo
	s_and_saveexec_b32 s3, s2
	s_cbranch_execz .LBB86_11
; %bb.1:
	s_load_dwordx2 s[2:3], s[4:5], 0x10
	s_ashr_i32 s6, s0, 31
	v_lshrrev_b32_e32 v9, 4, v0
	s_lshr_b32 s6, s6, 24
	v_mov_b32_e32 v8, 0
	s_add_i32 s6, s0, s6
	s_ashr_i32 s12, s6, 8
	s_mov_b32 s6, exec_lo
	v_cmpx_gt_u32_e64 s12, v9
	s_cbranch_execz .LBB86_9
; %bb.2:
	s_load_dwordx4 s[8:11], s[4:5], 0x0
	v_lshlrev_b32_e32 v2, 1, v0
	s_addk_i32 s0, 0x1ff
	v_and_b32_e32 v4, 3, v0
	s_ashr_i32 s4, s0, 31
	v_lshlrev_b32_e32 v5, 3, v9
	v_bfe_u32 v6, v2, 3, 2
	s_lshr_b32 s4, s4, 23
	v_and_b32_e32 v2, 30, v2
	s_add_i32 s0, s0, s4
	v_mul_lo_u32 v10, v1, s12
	v_lshlrev_b32_e32 v12, 1, v6
	s_ashr_i32 s0, s0, 9
	v_cmp_lt_u32_e32 vcc_lo, 15, v2
	s_mul_i32 s0, s7, s0
	v_mov_b32_e32 v8, 0
	v_lshlrev_b32_e32 v11, 2, v4
	v_lshlrev_b32_e32 v13, 5, v6
	v_lshl_add_u32 v14, s0, 4, v5
	v_lshlrev_b32_e32 v15, 1, v6
	s_waitcnt lgkmcnt(0)
	v_mad_u64_u32 v[2:3], null, v12, 36, s[10:11]
	v_lshlrev_b32_e32 v16, 2, v4
	v_mov_b32_e32 v17, 0xffff
	s_mov_b32 s4, 0
	s_branch .LBB86_4
.LBB86_3:                               ;   in Loop: Header=BB86_4 Depth=1
	s_or_b32 exec_lo, exec_lo, s0
	v_mad_i64_i32 v[6:7], null, v14, 36, v[2:3]
	s_waitcnt vmcnt(1)
	v_ashrrev_i32_e32 v21, v12, v21
	v_and_b32_e32 v28, 0xf0f0f0f, v19
	v_mov_b32_e32 v30, 0
	v_lshrrev_b32_e32 v19, 4, v19
	v_mov_b32_e32 v29, 0
	v_mov_b32_e32 v33, 0
	v_add_co_u32 v23, s0, v6, v16
	v_add_co_ci_u32_e64 v24, null, 0, v7, s0
	v_lshlrev_b32_e32 v36, 4, v21
	v_and_b32_e32 v19, 0xf0f0f0f, v19
	v_and_b32_e32 v31, 0xff, v18
	s_clause 0x4
	global_load_dword v25, v[23:24], off offset:20
	global_load_dword v26, v[23:24], off offset:56
	;; [unrolled: 1-line block ×4, first 2 shown]
	global_load_dword v24, v[6:7], off
	global_load_dword v4, v[4:5], off
	global_load_dword v5, v[6:7], off offset:36
	s_waitcnt vmcnt(7)
	v_ashrrev_i32_e32 v7, v12, v22
	v_and_b32_e32 v22, 0xf0f0f0f, v20
	v_lshrrev_b32_e32 v20, 4, v20
	v_mov_b32_e32 v32, 0
	v_lshlrev_b32_e32 v21, 3, v21
	v_lshlrev_b32_e32 v35, 4, v7
	;; [unrolled: 1-line block ×3, first 2 shown]
	v_and_b32_e32 v20, 0xf0f0f0f, v20
	v_and_or_b32 v22, 0x10101010, v36, v22
	v_and_b32_sdwa v6, v17, v18 dst_sel:DWORD dst_unused:UNUSED_PAD src0_sel:DWORD src1_sel:BYTE_1
	v_and_or_b32 v28, 0x10101010, v35, v28
	v_and_or_b32 v7, 0x10101010, v7, v19
	v_bfe_u32 v34, v18, 16, 8
	v_and_or_b32 v19, 0x10101010, v21, v20
	v_lshrrev_b32_e32 v18, 24, v18
	v_add_nc_u32_e32 v9, 2, v9
	v_add_nc_u32_e32 v14, 16, v14
	v_cmp_le_u32_e64 s0, s12, v9
	s_or_b32 s4, s0, s4
	s_waitcnt vmcnt(6)
	v_dot4c_i32_i8 v30, 0x1010101, v25
	v_dot4c_i32_i8 v29, v28, v25
	s_waitcnt vmcnt(5)
	v_dot4c_i32_i8 v33, 0x1010101, v26
	v_dot4c_i32_i8 v32, v7, v26
	;; [unrolled: 3-line block ×4, first 2 shown]
	s_waitcnt vmcnt(1)
	v_cvt_f32_f16_sdwa v20, v4 dst_sel:DWORD dst_unused:UNUSED_PAD src0_sel:WORD_1
	v_mul_lo_u32 v7, v30, v31
	v_mul_lo_u32 v19, v29, v34
	;; [unrolled: 1-line block ×4, first 2 shown]
	v_cvt_f32_i32_e32 v7, v7
	v_cvt_f32_i32_e32 v19, v19
	;; [unrolled: 1-line block ×4, first 2 shown]
	v_fma_mix_f32 v7, v24, v7, 0 op_sel_hi:[1,0,0]
	v_fma_mix_f32 v19, v24, v19, 0 op_sel_hi:[1,0,0]
	s_waitcnt vmcnt(0)
	v_fma_mix_f32 v6, v5, v6, v7 op_sel_hi:[1,0,0]
	v_fma_mix_f32 v5, v5, v18, v19 op_sel_hi:[1,0,0]
	v_mul_f32_e32 v6, v6, v20
	v_fma_mix_f32 v4, v5, v4, -v6 op_sel_hi:[0,1,0]
	v_add_f32_e32 v8, v8, v4
	s_andn2_b32 exec_lo, exec_lo, s4
	s_cbranch_execz .LBB86_8
.LBB86_4:                               ; =>This Inner Loop Header: Depth=1
	v_add_nc_u32_e32 v4, v10, v9
                                        ; implicit-def: $vgpr18
	v_mad_i64_i32 v[4:5], null, 0xb0, v4, s[8:9]
	v_add_co_u32 v6, s0, v4, v13
	v_add_co_ci_u32_e64 v7, null, 0, v5, s0
	v_add_co_u32 v6, s0, v6, v11
	v_add_co_ci_u32_e64 v7, null, 0, v7, s0
	;; [unrolled: 2-line block ×3, first 2 shown]
	s_clause 0x3
	global_load_dword v20, v[6:7], off offset:48
	global_load_dword v19, v[6:7], off offset:64
	;; [unrolled: 1-line block ×4, first 2 shown]
	v_add_co_u32 v6, s0, v4, v15
	v_add_co_ci_u32_e64 v7, null, 0, v5, s0
	s_and_saveexec_b32 s0, vcc_lo
	s_xor_b32 s0, exec_lo, s0
	s_cbranch_execz .LBB86_6
; %bb.5:                                ;   in Loop: Header=BB86_4 Depth=1
	s_clause 0x1
	global_load_ushort v18, v[6:7], off offset:8
	global_load_ushort v23, v[6:7], off offset:4
	s_waitcnt vmcnt(1)
	v_mov_b32_e32 v24, v18
	global_load_short_d16_hi v24, v[6:7], off
	s_waitcnt vmcnt(1)
	v_perm_b32 v6, v18, v23, 0x5040100
	v_pk_lshrrev_b16 v6, 2, v6
	v_and_b32_e32 v6, 0xf0f3030, v6
	s_waitcnt vmcnt(0)
	v_pk_lshrrev_b16 v7, 0x20004, v24
	v_and_or_b32 v18, 0x30300f0f, v7, v6
                                        ; implicit-def: $vgpr6_vgpr7
.LBB86_6:                               ;   in Loop: Header=BB86_4 Depth=1
	s_andn2_saveexec_b32 s0, s0
	s_cbranch_execz .LBB86_3
; %bb.7:                                ;   in Loop: Header=BB86_4 Depth=1
	s_clause 0x1
	global_load_ushort v18, v[6:7], off offset:8
	global_load_short_d16_hi v18, v[6:7], off offset:4
	s_waitcnt vmcnt(0)
	v_and_b32_e32 v18, 0x3f3f3f3f, v18
	s_branch .LBB86_3
.LBB86_8:
	s_or_b32 exec_lo, exec_lo, s4
.LBB86_9:
	s_or_b32 exec_lo, exec_lo, s6
	v_mbcnt_lo_u32_b32 v2, -1, 0
	v_xor_b32_e32 v3, 16, v2
	v_xor_b32_e32 v4, 8, v2
	;; [unrolled: 1-line block ×3, first 2 shown]
	v_cmp_gt_i32_e32 vcc_lo, 32, v3
	v_cndmask_b32_e32 v3, v2, v3, vcc_lo
	v_cmp_gt_i32_e32 vcc_lo, 32, v4
	v_lshlrev_b32_e32 v3, 2, v3
	v_cndmask_b32_e32 v4, v2, v4, vcc_lo
	v_cmp_gt_i32_e32 vcc_lo, 32, v5
	ds_bpermute_b32 v3, v3, v8
	v_lshlrev_b32_e32 v4, 2, v4
	v_cndmask_b32_e32 v5, v2, v5, vcc_lo
	v_lshlrev_b32_e32 v5, 2, v5
	s_waitcnt lgkmcnt(0)
	v_add_f32_e32 v3, v8, v3
	ds_bpermute_b32 v4, v4, v3
	s_waitcnt lgkmcnt(0)
	v_add_f32_e32 v3, v3, v4
	ds_bpermute_b32 v4, v5, v3
	v_xor_b32_e32 v5, 2, v2
	v_cmp_gt_i32_e32 vcc_lo, 32, v5
	v_cndmask_b32_e32 v5, v2, v5, vcc_lo
	v_lshlrev_b32_e32 v5, 2, v5
	s_waitcnt lgkmcnt(0)
	v_add_f32_e32 v3, v3, v4
	ds_bpermute_b32 v4, v5, v3
	v_xor_b32_e32 v5, 1, v2
	v_cmp_gt_i32_e32 vcc_lo, 32, v5
	v_cndmask_b32_e32 v5, v2, v5, vcc_lo
	v_cmp_eq_u32_e32 vcc_lo, 0, v0
	s_waitcnt lgkmcnt(0)
	v_add_f32_e32 v2, v3, v4
	v_lshlrev_b32_e32 v3, 2, v5
	ds_bpermute_b32 v3, v3, v2
	s_and_b32 exec_lo, exec_lo, vcc_lo
	s_cbranch_execz .LBB86_11
; %bb.10:
	v_mad_u64_u32 v[0:1], null, s1, s7, v[1:2]
	v_mov_b32_e32 v1, 0
	s_waitcnt lgkmcnt(0)
	v_add_f32_e32 v2, v2, v3
	v_cvt_f16_f32_e32 v2, v2
	v_lshlrev_b64 v[0:1], 1, v[0:1]
	v_add_co_u32 v0, vcc_lo, s2, v0
	v_add_co_ci_u32_e64 v1, null, s3, v1, vcc_lo
	global_store_short v[0:1], v2, off
.LBB86_11:
	s_endpgm
	.section	.rodata,"a",@progbits
	.p2align	6, 0x0
	.amdhsa_kernel _ZL13mul_mat_vec_qIN3c104HalfELi256ELi32E10block_q5_KLi2EXadL_ZL17vec_dot_q5_K_q8_1PKvPK10block_q8_1RKiEEEvS4_S4_PT_iii
		.amdhsa_group_segment_fixed_size 0
		.amdhsa_private_segment_fixed_size 0
		.amdhsa_kernarg_size 296
		.amdhsa_user_sgpr_count 6
		.amdhsa_user_sgpr_private_segment_buffer 1
		.amdhsa_user_sgpr_dispatch_ptr 0
		.amdhsa_user_sgpr_queue_ptr 0
		.amdhsa_user_sgpr_kernarg_segment_ptr 1
		.amdhsa_user_sgpr_dispatch_id 0
		.amdhsa_user_sgpr_flat_scratch_init 0
		.amdhsa_user_sgpr_private_segment_size 0
		.amdhsa_wavefront_size32 1
		.amdhsa_uses_dynamic_stack 0
		.amdhsa_system_sgpr_private_segment_wavefront_offset 0
		.amdhsa_system_sgpr_workgroup_id_x 1
		.amdhsa_system_sgpr_workgroup_id_y 1
		.amdhsa_system_sgpr_workgroup_id_z 0
		.amdhsa_system_sgpr_workgroup_info 0
		.amdhsa_system_vgpr_workitem_id 1
		.amdhsa_next_free_vgpr 37
		.amdhsa_next_free_sgpr 13
		.amdhsa_reserve_vcc 1
		.amdhsa_reserve_flat_scratch 0
		.amdhsa_float_round_mode_32 0
		.amdhsa_float_round_mode_16_64 0
		.amdhsa_float_denorm_mode_32 3
		.amdhsa_float_denorm_mode_16_64 3
		.amdhsa_dx10_clamp 1
		.amdhsa_ieee_mode 1
		.amdhsa_fp16_overflow 0
		.amdhsa_workgroup_processor_mode 1
		.amdhsa_memory_ordered 1
		.amdhsa_forward_progress 1
		.amdhsa_shared_vgpr_count 0
		.amdhsa_exception_fp_ieee_invalid_op 0
		.amdhsa_exception_fp_denorm_src 0
		.amdhsa_exception_fp_ieee_div_zero 0
		.amdhsa_exception_fp_ieee_overflow 0
		.amdhsa_exception_fp_ieee_underflow 0
		.amdhsa_exception_fp_ieee_inexact 0
		.amdhsa_exception_int_div_zero 0
	.end_amdhsa_kernel
	.section	.text._ZL13mul_mat_vec_qIN3c104HalfELi256ELi32E10block_q5_KLi2EXadL_ZL17vec_dot_q5_K_q8_1PKvPK10block_q8_1RKiEEEvS4_S4_PT_iii,"axG",@progbits,_ZL13mul_mat_vec_qIN3c104HalfELi256ELi32E10block_q5_KLi2EXadL_ZL17vec_dot_q5_K_q8_1PKvPK10block_q8_1RKiEEEvS4_S4_PT_iii,comdat
.Lfunc_end86:
	.size	_ZL13mul_mat_vec_qIN3c104HalfELi256ELi32E10block_q5_KLi2EXadL_ZL17vec_dot_q5_K_q8_1PKvPK10block_q8_1RKiEEEvS4_S4_PT_iii, .Lfunc_end86-_ZL13mul_mat_vec_qIN3c104HalfELi256ELi32E10block_q5_KLi2EXadL_ZL17vec_dot_q5_K_q8_1PKvPK10block_q8_1RKiEEEvS4_S4_PT_iii
                                        ; -- End function
	.set _ZL13mul_mat_vec_qIN3c104HalfELi256ELi32E10block_q5_KLi2EXadL_ZL17vec_dot_q5_K_q8_1PKvPK10block_q8_1RKiEEEvS4_S4_PT_iii.num_vgpr, 37
	.set _ZL13mul_mat_vec_qIN3c104HalfELi256ELi32E10block_q5_KLi2EXadL_ZL17vec_dot_q5_K_q8_1PKvPK10block_q8_1RKiEEEvS4_S4_PT_iii.num_agpr, 0
	.set _ZL13mul_mat_vec_qIN3c104HalfELi256ELi32E10block_q5_KLi2EXadL_ZL17vec_dot_q5_K_q8_1PKvPK10block_q8_1RKiEEEvS4_S4_PT_iii.numbered_sgpr, 13
	.set _ZL13mul_mat_vec_qIN3c104HalfELi256ELi32E10block_q5_KLi2EXadL_ZL17vec_dot_q5_K_q8_1PKvPK10block_q8_1RKiEEEvS4_S4_PT_iii.num_named_barrier, 0
	.set _ZL13mul_mat_vec_qIN3c104HalfELi256ELi32E10block_q5_KLi2EXadL_ZL17vec_dot_q5_K_q8_1PKvPK10block_q8_1RKiEEEvS4_S4_PT_iii.private_seg_size, 0
	.set _ZL13mul_mat_vec_qIN3c104HalfELi256ELi32E10block_q5_KLi2EXadL_ZL17vec_dot_q5_K_q8_1PKvPK10block_q8_1RKiEEEvS4_S4_PT_iii.uses_vcc, 1
	.set _ZL13mul_mat_vec_qIN3c104HalfELi256ELi32E10block_q5_KLi2EXadL_ZL17vec_dot_q5_K_q8_1PKvPK10block_q8_1RKiEEEvS4_S4_PT_iii.uses_flat_scratch, 0
	.set _ZL13mul_mat_vec_qIN3c104HalfELi256ELi32E10block_q5_KLi2EXadL_ZL17vec_dot_q5_K_q8_1PKvPK10block_q8_1RKiEEEvS4_S4_PT_iii.has_dyn_sized_stack, 0
	.set _ZL13mul_mat_vec_qIN3c104HalfELi256ELi32E10block_q5_KLi2EXadL_ZL17vec_dot_q5_K_q8_1PKvPK10block_q8_1RKiEEEvS4_S4_PT_iii.has_recursion, 0
	.set _ZL13mul_mat_vec_qIN3c104HalfELi256ELi32E10block_q5_KLi2EXadL_ZL17vec_dot_q5_K_q8_1PKvPK10block_q8_1RKiEEEvS4_S4_PT_iii.has_indirect_call, 0
	.section	.AMDGPU.csdata,"",@progbits
; Kernel info:
; codeLenInByte = 1200
; TotalNumSgprs: 15
; NumVgprs: 37
; ScratchSize: 0
; MemoryBound: 0
; FloatMode: 240
; IeeeMode: 1
; LDSByteSize: 0 bytes/workgroup (compile time only)
; SGPRBlocks: 0
; VGPRBlocks: 4
; NumSGPRsForWavesPerEU: 15
; NumVGPRsForWavesPerEU: 37
; Occupancy: 16
; WaveLimiterHint : 0
; COMPUTE_PGM_RSRC2:SCRATCH_EN: 0
; COMPUTE_PGM_RSRC2:USER_SGPR: 6
; COMPUTE_PGM_RSRC2:TRAP_HANDLER: 0
; COMPUTE_PGM_RSRC2:TGID_X_EN: 1
; COMPUTE_PGM_RSRC2:TGID_Y_EN: 1
; COMPUTE_PGM_RSRC2:TGID_Z_EN: 0
; COMPUTE_PGM_RSRC2:TIDIG_COMP_CNT: 1
	.section	.text._ZL13mul_mat_vec_qIN3c104HalfELi256ELi32E10block_q6_KLi1EXadL_ZL17vec_dot_q6_K_q8_1PKvPK10block_q8_1RKiEEEvS4_S4_PT_iii,"axG",@progbits,_ZL13mul_mat_vec_qIN3c104HalfELi256ELi32E10block_q6_KLi1EXadL_ZL17vec_dot_q6_K_q8_1PKvPK10block_q8_1RKiEEEvS4_S4_PT_iii,comdat
	.globl	_ZL13mul_mat_vec_qIN3c104HalfELi256ELi32E10block_q6_KLi1EXadL_ZL17vec_dot_q6_K_q8_1PKvPK10block_q8_1RKiEEEvS4_S4_PT_iii ; -- Begin function _ZL13mul_mat_vec_qIN3c104HalfELi256ELi32E10block_q6_KLi1EXadL_ZL17vec_dot_q6_K_q8_1PKvPK10block_q8_1RKiEEEvS4_S4_PT_iii
	.p2align	8
	.type	_ZL13mul_mat_vec_qIN3c104HalfELi256ELi32E10block_q6_KLi1EXadL_ZL17vec_dot_q6_K_q8_1PKvPK10block_q8_1RKiEEEvS4_S4_PT_iii,@function
_ZL13mul_mat_vec_qIN3c104HalfELi256ELi32E10block_q6_KLi1EXadL_ZL17vec_dot_q6_K_q8_1PKvPK10block_q8_1RKiEEEvS4_S4_PT_iii: ; @_ZL13mul_mat_vec_qIN3c104HalfELi256ELi32E10block_q6_KLi1EXadL_ZL17vec_dot_q6_K_q8_1PKvPK10block_q8_1RKiEEEvS4_S4_PT_iii
; %bb.0:
	s_clause 0x1
	s_load_dword s8, s[4:5], 0x34
	s_load_dwordx4 s[0:3], s[4:5], 0x18
	s_waitcnt lgkmcnt(0)
	s_lshr_b32 s3, s8, 16
	s_cmp_lt_u32 s7, s2
	v_mad_u64_u32 v[1:2], null, s6, s3, v[1:2]
	s_cselect_b32 s2, -1, 0
	v_cmp_gt_u32_e32 vcc_lo, s1, v1
	s_and_b32 s2, s2, vcc_lo
	s_and_saveexec_b32 s3, s2
	s_cbranch_execz .LBB87_7
; %bb.1:
	s_load_dwordx2 s[2:3], s[4:5], 0x10
	s_ashr_i32 s6, s0, 31
	v_lshrrev_b32_e32 v4, 5, v0
	s_lshr_b32 s6, s6, 24
	v_mov_b32_e32 v5, 0
	s_add_i32 s6, s0, s6
	s_ashr_i32 s12, s6, 8
	s_mov_b32 s6, exec_lo
	v_cmpx_gt_u32_e64 s12, v4
	s_cbranch_execz .LBB87_5
; %bb.2:
	v_and_b32_e32 v2, 31, v0
	s_load_dwordx4 s[8:11], s[4:5], 0x0
	s_addk_i32 s0, 0x1ff
	v_and_b32_e32 v9, 7, v0
	s_ashr_i32 s4, s0, 31
	v_add_nc_u32_e32 v3, 0xf0, v2
	v_cmp_gt_u32_e32 vcc_lo, 16, v2
	v_lshlrev_b32_e32 v7, 2, v2
	s_lshr_b32 s4, s4, 23
	v_lshlrev_b32_e32 v14, 3, v4
	s_add_i32 s0, s0, s4
	v_cndmask_b32_e32 v10, v3, v2, vcc_lo
	v_cmp_lt_u32_e32 vcc_lo, 15, v2
	s_ashr_i32 s0, s0, 9
	v_mul_lo_u32 v6, v1, s12
	s_mul_i32 s0, s7, s0
	v_and_b32_e32 v12, 0xf8, v10
	v_cndmask_b32_e64 v3, 0, 4, vcc_lo
	v_cndmask_b32_e64 v11, 0, 8, vcc_lo
	v_bfe_u32 v13, v10, 2, 6
	v_mov_b32_e32 v5, 0
	v_cmp_ne_u32_e32 vcc_lo, 0, v12
	s_waitcnt lgkmcnt(0)
	v_mad_u64_u32 v[2:3], null, v3, 36, s[10:11]
	v_or_b32_e32 v8, v11, v9
	v_lshlrev_b32_e32 v9, 2, v9
	v_cndmask_b32_e64 v12, 0, 1, vcc_lo
	v_cndmask_b32_e64 v10, 0, 2, vcc_lo
	v_add_nc_u32_e32 v11, v13, v11
	v_lshlrev_b32_e32 v8, 2, v8
	v_mad_u64_u32 v[2:3], null, v12, 36, v[2:3]
	v_lshl_add_u32 v12, s0, 4, v14
	s_mov_b32 s0, 0
.LBB87_3:                               ; =>This Inner Loop Header: Depth=1
	v_add_nc_u32_e32 v13, v6, v4
	v_add_nc_u32_e32 v4, 1, v4
	v_mad_i64_i32 v[13:14], null, 0xd2, v13, s[8:9]
	v_add_co_u32 v15, vcc_lo, v13, v8
	v_add_co_ci_u32_e64 v16, null, 0, v14, vcc_lo
	v_add_co_u32 v17, vcc_lo, v13, v7
	v_add_co_ci_u32_e64 v18, null, 0, v14, vcc_lo
	s_clause 0x1
	global_load_dword v21, v[15:16], off offset:128
	global_load_dword v22, v[17:18], off
	v_mad_i64_i32 v[15:16], null, v12, 36, v[2:3]
	v_add_nc_u32_e32 v12, 8, v12
	v_add_co_u32 v17, vcc_lo, v15, v9
	v_add_co_ci_u32_e64 v18, null, 0, v16, vcc_lo
	v_add_co_u32 v19, vcc_lo, v13, v11
	v_add_co_ci_u32_e64 v20, null, 0, v14, vcc_lo
	s_clause 0x1
	global_load_dword v23, v[17:18], off offset:4
	global_load_dword v17, v[17:18], off offset:76
	s_clause 0x1
	global_load_sbyte v18, v[19:20], off offset:192
	global_load_sbyte v19, v[19:20], off offset:196
	s_clause 0x1
	global_load_dword v20, v[15:16], off
	global_load_dword v15, v[15:16], off offset:72
	global_load_ushort v13, v[13:14], off offset:208
	v_cmp_le_u32_e32 vcc_lo, s12, v4
	s_or_b32 s0, vcc_lo, s0
	s_waitcnt vmcnt(8)
	v_ashrrev_i32_e32 v14, v10, v21
	s_waitcnt vmcnt(7)
	v_and_b32_e32 v16, 0xf0f0f0f, v22
	v_lshrrev_b32_e32 v21, 4, v22
	v_lshlrev_b32_e32 v22, 4, v14
	v_and_b32_e32 v21, 0xf0f0f0f, v21
	v_and_or_b32 v16, 0x30303030, v22, v16
	v_and_or_b32 v14, 0x30303030, v14, v21
	v_lshrrev_b32_e32 v21, 16, v16
	v_and_b32_e32 v25, 0x3f00, v16
	v_lshrrev_b32_e32 v22, 16, v14
	v_lshlrev_b16 v16, 8, v16
	v_lshlrev_b16 v27, 8, v14
	;; [unrolled: 1-line block ×3, first 2 shown]
	v_and_b32_e32 v21, 0x3f00, v21
	v_lshlrev_b16 v26, 8, v22
	v_add_nc_u16 v16, 0xe000, v16
	v_and_b32_e32 v22, 0x3f00, v22
	v_add_nc_u16 v24, 0xe000, v24
	v_and_b32_e32 v14, 0x3f00, v14
	v_add_nc_u16 v26, 0xe000, v26
	v_or_b32_sdwa v16, v25, v16 dst_sel:DWORD dst_unused:UNUSED_PAD src0_sel:DWORD src1_sel:BYTE_1
	v_or_b32_sdwa v21, v21, v24 dst_sel:DWORD dst_unused:UNUSED_PAD src0_sel:DWORD src1_sel:BYTE_1
	v_add_nc_u16 v24, 0xe000, v27
	v_or_b32_sdwa v22, v22, v26 dst_sel:DWORD dst_unused:UNUSED_PAD src0_sel:DWORD src1_sel:BYTE_1
	v_add_nc_u16 v16, 0xe000, v16
	v_add_nc_u16 v21, 0xe000, v21
	v_or_b32_sdwa v14, v14, v24 dst_sel:DWORD dst_unused:UNUSED_PAD src0_sel:DWORD src1_sel:BYTE_1
	v_add_nc_u16 v22, 0xe000, v22
	v_mov_b32_e32 v24, 0
	v_lshlrev_b32_e32 v21, 16, v21
	v_add_nc_u16 v14, 0xe000, v14
	v_lshlrev_b32_e32 v22, 16, v22
	v_or_b32_sdwa v16, v16, v21 dst_sel:DWORD dst_unused:UNUSED_PAD src0_sel:WORD_0 src1_sel:DWORD
	v_mov_b32_e32 v21, 0
	v_or_b32_sdwa v14, v14, v22 dst_sel:DWORD dst_unused:UNUSED_PAD src0_sel:WORD_0 src1_sel:DWORD
	s_waitcnt vmcnt(6)
	v_dot4c_i32_i8 v24, v16, v23
	s_waitcnt vmcnt(5)
	v_dot4c_i32_i8 v21, v14, v17
	s_waitcnt vmcnt(4)
	v_mul_lo_u32 v14, v24, v18
	s_waitcnt vmcnt(3)
	v_mul_lo_u32 v16, v21, v19
	v_cvt_f32_i32_e32 v14, v14
	v_cvt_f32_i32_e32 v16, v16
	s_waitcnt vmcnt(2)
	v_fma_mix_f32 v14, v20, v14, 0 op_sel_hi:[1,0,0]
	s_waitcnt vmcnt(1)
	v_fma_mix_f32 v14, v15, v16, v14 op_sel_hi:[1,0,0]
	;; [unrolled: 2-line block ×3, first 2 shown]
	s_andn2_b32 exec_lo, exec_lo, s0
	s_cbranch_execnz .LBB87_3
; %bb.4:
	s_or_b32 exec_lo, exec_lo, s0
.LBB87_5:
	s_or_b32 exec_lo, exec_lo, s6
	v_mbcnt_lo_u32_b32 v2, -1, 0
	v_xor_b32_e32 v3, 16, v2
	v_xor_b32_e32 v4, 8, v2
	v_cmp_gt_i32_e32 vcc_lo, 32, v3
	v_cndmask_b32_e32 v3, v2, v3, vcc_lo
	v_cmp_gt_i32_e32 vcc_lo, 32, v4
	v_lshlrev_b32_e32 v3, 2, v3
	v_cndmask_b32_e32 v4, v2, v4, vcc_lo
	ds_bpermute_b32 v3, v3, v5
	v_lshlrev_b32_e32 v4, 2, v4
	s_waitcnt lgkmcnt(0)
	v_add_f32_e32 v3, v5, v3
	v_xor_b32_e32 v5, 4, v2
	ds_bpermute_b32 v4, v4, v3
	v_cmp_gt_i32_e32 vcc_lo, 32, v5
	v_cndmask_b32_e32 v5, v2, v5, vcc_lo
	v_lshlrev_b32_e32 v5, 2, v5
	s_waitcnt lgkmcnt(0)
	v_add_f32_e32 v3, v3, v4
	ds_bpermute_b32 v4, v5, v3
	v_xor_b32_e32 v5, 2, v2
	v_cmp_gt_i32_e32 vcc_lo, 32, v5
	v_cndmask_b32_e32 v5, v2, v5, vcc_lo
	v_lshlrev_b32_e32 v5, 2, v5
	s_waitcnt lgkmcnt(0)
	v_add_f32_e32 v3, v3, v4
	ds_bpermute_b32 v4, v5, v3
	v_xor_b32_e32 v5, 1, v2
	v_cmp_gt_i32_e32 vcc_lo, 32, v5
	v_cndmask_b32_e32 v5, v2, v5, vcc_lo
	v_cmp_eq_u32_e32 vcc_lo, 0, v0
	s_waitcnt lgkmcnt(0)
	v_add_f32_e32 v2, v3, v4
	v_lshlrev_b32_e32 v3, 2, v5
	ds_bpermute_b32 v3, v3, v2
	s_and_b32 exec_lo, exec_lo, vcc_lo
	s_cbranch_execz .LBB87_7
; %bb.6:
	v_mad_u64_u32 v[0:1], null, s1, s7, v[1:2]
	v_mov_b32_e32 v1, 0
	s_waitcnt lgkmcnt(0)
	v_add_f32_e32 v2, v2, v3
	v_cvt_f16_f32_e32 v2, v2
	v_lshlrev_b64 v[0:1], 1, v[0:1]
	v_add_co_u32 v0, vcc_lo, s2, v0
	v_add_co_ci_u32_e64 v1, null, s3, v1, vcc_lo
	global_store_short v[0:1], v2, off
.LBB87_7:
	s_endpgm
	.section	.rodata,"a",@progbits
	.p2align	6, 0x0
	.amdhsa_kernel _ZL13mul_mat_vec_qIN3c104HalfELi256ELi32E10block_q6_KLi1EXadL_ZL17vec_dot_q6_K_q8_1PKvPK10block_q8_1RKiEEEvS4_S4_PT_iii
		.amdhsa_group_segment_fixed_size 0
		.amdhsa_private_segment_fixed_size 0
		.amdhsa_kernarg_size 296
		.amdhsa_user_sgpr_count 6
		.amdhsa_user_sgpr_private_segment_buffer 1
		.amdhsa_user_sgpr_dispatch_ptr 0
		.amdhsa_user_sgpr_queue_ptr 0
		.amdhsa_user_sgpr_kernarg_segment_ptr 1
		.amdhsa_user_sgpr_dispatch_id 0
		.amdhsa_user_sgpr_flat_scratch_init 0
		.amdhsa_user_sgpr_private_segment_size 0
		.amdhsa_wavefront_size32 1
		.amdhsa_uses_dynamic_stack 0
		.amdhsa_system_sgpr_private_segment_wavefront_offset 0
		.amdhsa_system_sgpr_workgroup_id_x 1
		.amdhsa_system_sgpr_workgroup_id_y 1
		.amdhsa_system_sgpr_workgroup_id_z 0
		.amdhsa_system_sgpr_workgroup_info 0
		.amdhsa_system_vgpr_workitem_id 1
		.amdhsa_next_free_vgpr 28
		.amdhsa_next_free_sgpr 13
		.amdhsa_reserve_vcc 1
		.amdhsa_reserve_flat_scratch 0
		.amdhsa_float_round_mode_32 0
		.amdhsa_float_round_mode_16_64 0
		.amdhsa_float_denorm_mode_32 3
		.amdhsa_float_denorm_mode_16_64 3
		.amdhsa_dx10_clamp 1
		.amdhsa_ieee_mode 1
		.amdhsa_fp16_overflow 0
		.amdhsa_workgroup_processor_mode 1
		.amdhsa_memory_ordered 1
		.amdhsa_forward_progress 1
		.amdhsa_shared_vgpr_count 0
		.amdhsa_exception_fp_ieee_invalid_op 0
		.amdhsa_exception_fp_denorm_src 0
		.amdhsa_exception_fp_ieee_div_zero 0
		.amdhsa_exception_fp_ieee_overflow 0
		.amdhsa_exception_fp_ieee_underflow 0
		.amdhsa_exception_fp_ieee_inexact 0
		.amdhsa_exception_int_div_zero 0
	.end_amdhsa_kernel
	.section	.text._ZL13mul_mat_vec_qIN3c104HalfELi256ELi32E10block_q6_KLi1EXadL_ZL17vec_dot_q6_K_q8_1PKvPK10block_q8_1RKiEEEvS4_S4_PT_iii,"axG",@progbits,_ZL13mul_mat_vec_qIN3c104HalfELi256ELi32E10block_q6_KLi1EXadL_ZL17vec_dot_q6_K_q8_1PKvPK10block_q8_1RKiEEEvS4_S4_PT_iii,comdat
.Lfunc_end87:
	.size	_ZL13mul_mat_vec_qIN3c104HalfELi256ELi32E10block_q6_KLi1EXadL_ZL17vec_dot_q6_K_q8_1PKvPK10block_q8_1RKiEEEvS4_S4_PT_iii, .Lfunc_end87-_ZL13mul_mat_vec_qIN3c104HalfELi256ELi32E10block_q6_KLi1EXadL_ZL17vec_dot_q6_K_q8_1PKvPK10block_q8_1RKiEEEvS4_S4_PT_iii
                                        ; -- End function
	.set _ZL13mul_mat_vec_qIN3c104HalfELi256ELi32E10block_q6_KLi1EXadL_ZL17vec_dot_q6_K_q8_1PKvPK10block_q8_1RKiEEEvS4_S4_PT_iii.num_vgpr, 28
	.set _ZL13mul_mat_vec_qIN3c104HalfELi256ELi32E10block_q6_KLi1EXadL_ZL17vec_dot_q6_K_q8_1PKvPK10block_q8_1RKiEEEvS4_S4_PT_iii.num_agpr, 0
	.set _ZL13mul_mat_vec_qIN3c104HalfELi256ELi32E10block_q6_KLi1EXadL_ZL17vec_dot_q6_K_q8_1PKvPK10block_q8_1RKiEEEvS4_S4_PT_iii.numbered_sgpr, 13
	.set _ZL13mul_mat_vec_qIN3c104HalfELi256ELi32E10block_q6_KLi1EXadL_ZL17vec_dot_q6_K_q8_1PKvPK10block_q8_1RKiEEEvS4_S4_PT_iii.num_named_barrier, 0
	.set _ZL13mul_mat_vec_qIN3c104HalfELi256ELi32E10block_q6_KLi1EXadL_ZL17vec_dot_q6_K_q8_1PKvPK10block_q8_1RKiEEEvS4_S4_PT_iii.private_seg_size, 0
	.set _ZL13mul_mat_vec_qIN3c104HalfELi256ELi32E10block_q6_KLi1EXadL_ZL17vec_dot_q6_K_q8_1PKvPK10block_q8_1RKiEEEvS4_S4_PT_iii.uses_vcc, 1
	.set _ZL13mul_mat_vec_qIN3c104HalfELi256ELi32E10block_q6_KLi1EXadL_ZL17vec_dot_q6_K_q8_1PKvPK10block_q8_1RKiEEEvS4_S4_PT_iii.uses_flat_scratch, 0
	.set _ZL13mul_mat_vec_qIN3c104HalfELi256ELi32E10block_q6_KLi1EXadL_ZL17vec_dot_q6_K_q8_1PKvPK10block_q8_1RKiEEEvS4_S4_PT_iii.has_dyn_sized_stack, 0
	.set _ZL13mul_mat_vec_qIN3c104HalfELi256ELi32E10block_q6_KLi1EXadL_ZL17vec_dot_q6_K_q8_1PKvPK10block_q8_1RKiEEEvS4_S4_PT_iii.has_recursion, 0
	.set _ZL13mul_mat_vec_qIN3c104HalfELi256ELi32E10block_q6_KLi1EXadL_ZL17vec_dot_q6_K_q8_1PKvPK10block_q8_1RKiEEEvS4_S4_PT_iii.has_indirect_call, 0
	.section	.AMDGPU.csdata,"",@progbits
; Kernel info:
; codeLenInByte = 1104
; TotalNumSgprs: 15
; NumVgprs: 28
; ScratchSize: 0
; MemoryBound: 0
; FloatMode: 240
; IeeeMode: 1
; LDSByteSize: 0 bytes/workgroup (compile time only)
; SGPRBlocks: 0
; VGPRBlocks: 3
; NumSGPRsForWavesPerEU: 15
; NumVGPRsForWavesPerEU: 28
; Occupancy: 16
; WaveLimiterHint : 0
; COMPUTE_PGM_RSRC2:SCRATCH_EN: 0
; COMPUTE_PGM_RSRC2:USER_SGPR: 6
; COMPUTE_PGM_RSRC2:TRAP_HANDLER: 0
; COMPUTE_PGM_RSRC2:TGID_X_EN: 1
; COMPUTE_PGM_RSRC2:TGID_Y_EN: 1
; COMPUTE_PGM_RSRC2:TGID_Z_EN: 0
; COMPUTE_PGM_RSRC2:TIDIG_COMP_CNT: 1
	.section	.text._ZL13mul_mat_vec_qIN3c104HalfELi256ELi8E13block_iq2_xxsLi1EXadL_ZL20vec_dot_iq2_xxs_q8_1PKvPK10block_q8_1RKiEEEvS4_S4_PT_iii,"axG",@progbits,_ZL13mul_mat_vec_qIN3c104HalfELi256ELi8E13block_iq2_xxsLi1EXadL_ZL20vec_dot_iq2_xxs_q8_1PKvPK10block_q8_1RKiEEEvS4_S4_PT_iii,comdat
	.globl	_ZL13mul_mat_vec_qIN3c104HalfELi256ELi8E13block_iq2_xxsLi1EXadL_ZL20vec_dot_iq2_xxs_q8_1PKvPK10block_q8_1RKiEEEvS4_S4_PT_iii ; -- Begin function _ZL13mul_mat_vec_qIN3c104HalfELi256ELi8E13block_iq2_xxsLi1EXadL_ZL20vec_dot_iq2_xxs_q8_1PKvPK10block_q8_1RKiEEEvS4_S4_PT_iii
	.p2align	8
	.type	_ZL13mul_mat_vec_qIN3c104HalfELi256ELi8E13block_iq2_xxsLi1EXadL_ZL20vec_dot_iq2_xxs_q8_1PKvPK10block_q8_1RKiEEEvS4_S4_PT_iii,@function
_ZL13mul_mat_vec_qIN3c104HalfELi256ELi8E13block_iq2_xxsLi1EXadL_ZL20vec_dot_iq2_xxs_q8_1PKvPK10block_q8_1RKiEEEvS4_S4_PT_iii: ; @_ZL13mul_mat_vec_qIN3c104HalfELi256ELi8E13block_iq2_xxsLi1EXadL_ZL20vec_dot_iq2_xxs_q8_1PKvPK10block_q8_1RKiEEEvS4_S4_PT_iii
; %bb.0:
	s_clause 0x1
	s_load_dword s0, s[4:5], 0x34
	s_load_dwordx4 s[8:11], s[4:5], 0x18
	s_waitcnt lgkmcnt(0)
	s_lshr_b32 s0, s0, 16
	s_cmp_lt_u32 s7, s10
	v_mad_u64_u32 v[1:2], null, s6, s0, v[1:2]
	s_cselect_b32 s0, -1, 0
	v_cmp_gt_u32_e32 vcc_lo, s9, v1
	s_and_b32 s0, s0, vcc_lo
	s_and_saveexec_b32 s1, s0
	s_cbranch_execz .LBB88_7
; %bb.1:
	s_load_dwordx2 s[10:11], s[4:5], 0x10
	s_ashr_i32 s0, s8, 31
	v_lshrrev_b32_e32 v4, 3, v0
	s_lshr_b32 s0, s0, 24
	v_mov_b32_e32 v5, 0
	s_add_i32 s0, s8, s0
	s_mov_b32 s16, exec_lo
	s_ashr_i32 s17, s0, 8
	v_cmpx_gt_u32_e64 s17, v4
	s_cbranch_execz .LBB88_5
; %bb.2:
	s_load_dwordx4 s[12:15], s[4:5], 0x0
	s_add_i32 s0, s8, 0x1ff
	v_and_b32_e32 v2, 7, v0
	s_ashr_i32 s1, s0, 31
	v_lshlrev_b32_e32 v7, 3, v4
	s_lshr_b32 s1, s1, 23
	v_mul_lo_u32 v6, v1, s17
	s_add_i32 s0, s0, s1
	v_lshlrev_b32_e32 v8, 2, v2
	s_ashr_i32 s0, s0, 9
	v_mov_b32_e32 v5, 0
	s_mul_i32 s0, s7, s0
	v_mov_b32_e32 v9, 3
	v_lshl_add_u32 v7, s0, 4, v7
	v_lshlrev_b32_e32 v8, 1, v8
	s_waitcnt lgkmcnt(0)
	v_mad_u64_u32 v[2:3], null, v2, 36, s[14:15]
	s_mov_b32 s14, 0
.LBB88_3:                               ; =>This Inner Loop Header: Depth=1
	v_add_nc_u32_e32 v10, v6, v4
	v_mad_i64_i32 v[20:21], null, v7, 36, v[2:3]
	s_getpc_b64 s[0:1]
	s_add_u32 s0, s0, _ZL11iq2xxs_grid@rel32@lo+4
	s_addc_u32 s1, s1, _ZL11iq2xxs_grid@rel32@hi+12
	s_getpc_b64 s[2:3]
	s_add_u32 s2, s2, _ZL12ksigns_iq2xs@rel32@lo+4
	s_addc_u32 s3, s3, _ZL12ksigns_iq2xs@rel32@hi+12
	v_mad_i64_i32 v[18:19], null, 0x42, v10, s[12:13]
	v_add_nc_u32_e32 v4, 4, v4
	v_add_nc_u32_e32 v7, 32, v7
	v_add_co_u32 v10, vcc_lo, v18, v8
	v_add_co_ci_u32_e64 v11, null, 0, v19, vcc_lo
	s_clause 0x1
	global_load_dword v22, v[10:11], off offset:2
	global_load_dword v28, v[10:11], off offset:6
	s_clause 0x1
	global_load_dwordx4 v[10:13], v[20:21], off offset:4
	global_load_dwordx4 v[14:17], v[20:21], off offset:20
	global_load_ushort v29, v[18:19], off
	s_waitcnt vmcnt(4)
	v_lshlrev_b32_sdwa v18, v9, v22 dst_sel:DWORD dst_unused:UNUSED_PAD src0_sel:DWORD src1_sel:BYTE_0
	s_waitcnt vmcnt(3)
	v_and_b32_e32 v30, 0x7f, v28
	v_bfe_u32 v31, v28, 7, 7
	v_lshlrev_b32_sdwa v23, v9, v22 dst_sel:DWORD dst_unused:UNUSED_PAD src0_sel:DWORD src1_sel:BYTE_1
	v_lshlrev_b32_sdwa v24, v9, v22 dst_sel:DWORD dst_unused:UNUSED_PAD src0_sel:DWORD src1_sel:BYTE_2
	v_bfe_u32 v32, v28, 14, 7
	v_lshlrev_b32_sdwa v26, v9, v22 dst_sel:DWORD dst_unused:UNUSED_PAD src0_sel:DWORD src1_sel:BYTE_3
	v_bfe_u32 v33, v28, 21, 7
	global_load_sbyte v34, v30, s[2:3]
	global_load_dwordx2 v[18:19], v18, s[0:1]
	global_load_sbyte v35, v31, s[2:3]
	global_load_dwordx2 v[22:23], v23, s[0:1]
	;; [unrolled: 2-line block ×4, first 2 shown]
	global_load_ushort v20, v[20:21], off
	v_lshrrev_b32_e32 v21, 28, v28
	s_waitcnt vmcnt(9)
	v_cvt_f32_f16_e32 v28, v29
	v_cvt_f32_ubyte0_e32 v21, v21
	v_add_f32_e32 v21, 0.5, v21
	v_mul_f32_e32 v21, v21, v28
	s_waitcnt vmcnt(8)
	v_and_b32_e32 v29, 1, v34
	s_waitcnt vmcnt(7)
	v_mul_i32_i24_sdwa v28, v18, sext(v10) dst_sel:DWORD dst_unused:UNUSED_PAD src0_sel:BYTE_0 src1_sel:BYTE_0
	v_mul_i32_i24_sdwa v38, v18, sext(v10) dst_sel:DWORD dst_unused:UNUSED_PAD src0_sel:BYTE_1 src1_sel:BYTE_1
	v_and_b32_e32 v39, 2, v34
	v_mul_i32_i24_sdwa v40, v18, sext(v10) dst_sel:DWORD dst_unused:UNUSED_PAD src0_sel:BYTE_2 src1_sel:BYTE_2
	v_and_b32_e32 v41, 4, v34
	v_mul_i32_i24_sdwa v10, v18, sext(v10) dst_sel:DWORD dst_unused:UNUSED_PAD src0_sel:BYTE_3 src1_sel:BYTE_3
	v_and_b32_e32 v18, 8, v34
	v_sub_nc_u32_e32 v61, 0, v28
	v_cmp_eq_u16_e32 vcc_lo, 0, v29
	v_sub_nc_u32_e32 v29, 0, v38
	v_cmp_eq_u16_e64 s0, 0, v39
	v_sub_nc_u32_e32 v39, 0, v40
	v_cmp_eq_u16_e64 s1, 0, v41
	;; [unrolled: 2-line block ×3, first 2 shown]
	v_cndmask_b32_e32 v28, v61, v28, vcc_lo
	v_cndmask_b32_e64 v29, v29, v38, s0
	v_mul_i32_i24_sdwa v42, v19, sext(v11) dst_sel:DWORD dst_unused:UNUSED_PAD src0_sel:BYTE_0 src1_sel:BYTE_0
	v_and_b32_e32 v43, 16, v34
	v_mul_i32_i24_sdwa v44, v19, sext(v11) dst_sel:DWORD dst_unused:UNUSED_PAD src0_sel:BYTE_1 src1_sel:BYTE_1
	v_mul_i32_i24_sdwa v45, v19, sext(v11) dst_sel:DWORD dst_unused:UNUSED_PAD src0_sel:BYTE_2 src1_sel:BYTE_2
	v_mul_i32_i24_sdwa v11, v19, sext(v11) dst_sel:DWORD dst_unused:UNUSED_PAD src0_sel:BYTE_3 src1_sel:BYTE_3
	s_waitcnt vmcnt(5)
	v_mul_i32_i24_sdwa v19, v22, sext(v12) dst_sel:DWORD dst_unused:UNUSED_PAD src0_sel:BYTE_0 src1_sel:BYTE_0
	v_mul_i32_i24_sdwa v46, v22, sext(v12) dst_sel:DWORD dst_unused:UNUSED_PAD src0_sel:BYTE_1 src1_sel:BYTE_1
	v_mul_i32_i24_sdwa v47, v22, sext(v12) dst_sel:DWORD dst_unused:UNUSED_PAD src0_sel:BYTE_2 src1_sel:BYTE_2
	v_mul_i32_i24_sdwa v12, v22, sext(v12) dst_sel:DWORD dst_unused:UNUSED_PAD src0_sel:BYTE_3 src1_sel:BYTE_3
	v_mul_i32_i24_sdwa v22, v23, sext(v13) dst_sel:DWORD dst_unused:UNUSED_PAD src0_sel:BYTE_0 src1_sel:BYTE_0
	v_mul_i32_i24_sdwa v48, v23, sext(v13) dst_sel:DWORD dst_unused:UNUSED_PAD src0_sel:BYTE_1 src1_sel:BYTE_1
	v_mul_i32_i24_sdwa v49, v23, sext(v13) dst_sel:DWORD dst_unused:UNUSED_PAD src0_sel:BYTE_2 src1_sel:BYTE_2
	v_mul_i32_i24_sdwa v13, v23, sext(v13) dst_sel:DWORD dst_unused:UNUSED_PAD src0_sel:BYTE_3 src1_sel:BYTE_3
	s_waitcnt vmcnt(3)
	v_mul_i32_i24_sdwa v23, v24, sext(v14) dst_sel:DWORD dst_unused:UNUSED_PAD src0_sel:BYTE_0 src1_sel:BYTE_0
	v_mul_i32_i24_sdwa v50, v24, sext(v14) dst_sel:DWORD dst_unused:UNUSED_PAD src0_sel:BYTE_1 src1_sel:BYTE_1
	v_mul_i32_i24_sdwa v51, v24, sext(v14) dst_sel:DWORD dst_unused:UNUSED_PAD src0_sel:BYTE_2 src1_sel:BYTE_2
	v_mul_i32_i24_sdwa v14, v24, sext(v14) dst_sel:DWORD dst_unused:UNUSED_PAD src0_sel:BYTE_3 src1_sel:BYTE_3
	v_mul_i32_i24_sdwa v24, v25, sext(v15) dst_sel:DWORD dst_unused:UNUSED_PAD src0_sel:BYTE_0 src1_sel:BYTE_0
	;; [unrolled: 9-line block ×3, first 2 shown]
	v_mul_i32_i24_sdwa v56, v27, sext(v17) dst_sel:DWORD dst_unused:UNUSED_PAD src0_sel:BYTE_1 src1_sel:BYTE_1
	v_mul_i32_i24_sdwa v57, v27, sext(v17) dst_sel:DWORD dst_unused:UNUSED_PAD src0_sel:BYTE_2 src1_sel:BYTE_2
	v_mul_i32_i24_sdwa v17, v27, sext(v17) dst_sel:DWORD dst_unused:UNUSED_PAD src0_sel:BYTE_3 src1_sel:BYTE_3
	v_and_b32_e32 v27, 32, v34
	v_cndmask_b32_e64 v39, v39, v40, s1
	v_cndmask_b32_e64 v10, v41, v10, s2
	v_add_nc_u32_e32 v28, v29, v28
	v_cmp_eq_u16_e32 vcc_lo, 0, v43
	v_sub_nc_u32_e32 v43, 0, v44
	v_cmp_eq_u16_e64 s0, 0, v27
	v_and_b32_e32 v58, 1, v35
	v_add3_u32 v10, v28, v39, v10
	v_sub_nc_u32_e32 v39, 0, v42
	v_and_b32_e32 v59, 2, v35
	v_cndmask_b32_e64 v43, v43, v44, s0
	v_cmp_gt_i16_e64 s0, 0, v34
	v_and_b32_e32 v60, 4, v35
	v_cndmask_b32_e32 v39, v39, v42, vcc_lo
	v_cmp_gt_u32_e32 vcc_lo, 64, v30
	v_sub_nc_u32_e32 v30, 0, v11
	v_and_b32_e32 v18, 8, v35
	v_and_b32_e32 v61, 16, v35
	v_add3_u32 v10, v10, v39, v43
	v_sub_nc_u32_e32 v43, 0, v45
	v_cndmask_b32_e64 v11, v11, v30, s0
	v_cmp_eq_u16_e64 s0, 0, v59
	v_and_b32_e32 v38, 32, v35
	v_and_b32_e32 v41, 2, v36
	v_cndmask_b32_e32 v43, v43, v45, vcc_lo
	v_cmp_eq_u16_e32 vcc_lo, 0, v58
	v_sub_nc_u32_e32 v58, 0, v46
	v_sub_nc_u32_e32 v59, 0, v47
	v_cmp_eq_u16_e64 s1, 0, v60
	v_add3_u32 v10, v10, v43, v11
	v_sub_nc_u32_e32 v43, 0, v19
	v_sub_nc_u32_e32 v60, 0, v12
	v_cmp_eq_u16_e64 s2, 0, v18
	v_cndmask_b32_e64 v46, v58, v46, s0
	v_sub_nc_u32_e32 v18, 0, v48
	v_cndmask_b32_e32 v19, v43, v19, vcc_lo
	v_cmp_eq_u16_e64 s3, 0, v38
	v_cmp_eq_u16_e64 s5, 0, v41
	v_sub_nc_u32_e32 v41, 0, v22
	v_cndmask_b32_e64 v47, v59, v47, s1
	v_add3_u32 v10, v10, v19, v46
	v_cndmask_b32_e64 v12, v60, v12, s2
	v_cmp_eq_u16_e64 s1, 0, v61
	v_and_b32_e32 v40, 1, v36
	v_sub_nc_u32_e32 v38, 0, v13
	v_cmp_gt_i16_e64 s4, 0, v35
	v_sub_nc_u32_e32 v43, 0, v49
	v_cndmask_b32_e64 v22, v41, v22, s1
	v_cndmask_b32_e64 v18, v18, v48, s3
	v_add3_u32 v10, v10, v47, v12
	v_cmp_gt_u32_e64 s1, 64, v31
	v_and_b32_e32 v29, 4, v36
	v_and_b32_e32 v28, 8, v36
	v_sub_nc_u32_e32 v35, 0, v50
	v_sub_nc_u32_e32 v58, 0, v23
	v_cndmask_b32_e64 v31, v43, v49, s1
	v_cndmask_b32_e64 v13, v13, v38, s4
	v_add3_u32 v10, v10, v22, v18
	v_cmp_eq_u16_e64 s1, 0, v40
	v_and_b32_e32 v27, 16, v36
	v_and_b32_e32 v42, 32, v36
	;; [unrolled: 1-line block ×3, first 2 shown]
	v_sub_nc_u32_e32 v19, 0, v51
	v_sub_nc_u32_e32 v46, 0, v14
	v_cmp_eq_u16_e32 vcc_lo, 0, v28
	v_cndmask_b32_e64 v22, v58, v23, s1
	v_cndmask_b32_e64 v23, v35, v50, s5
	v_add3_u32 v10, v10, v31, v13
	v_cmp_eq_u16_e64 s2, 0, v29
	v_sub_nc_u32_e32 v28, 0, v52
	v_cmp_eq_u16_e64 s0, 0, v42
	v_cmp_eq_u16_e64 s8, 0, v39
	v_sub_nc_u32_e32 v39, 0, v24
	v_cndmask_b32_e64 v13, v19, v51, s2
	v_cndmask_b32_e32 v14, v46, v14, vcc_lo
	v_add3_u32 v10, v10, v22, v23
	v_cmp_eq_u16_e32 vcc_lo, 0, v27
	v_and_b32_e32 v44, 1, v37
	v_sub_nc_u32_e32 v42, 0, v15
	v_cmp_gt_i16_e64 s6, 0, v36
	v_sub_nc_u32_e32 v59, 0, v53
	v_cndmask_b32_e32 v22, v39, v24, vcc_lo
	v_cndmask_b32_e64 v23, v28, v52, s0
	v_add3_u32 v10, v10, v13, v14
	v_cmp_gt_u32_e32 vcc_lo, 64, v32
	v_and_b32_e32 v34, 4, v37
	v_and_b32_e32 v45, 8, v37
	;; [unrolled: 1-line block ×3, first 2 shown]
	v_sub_nc_u32_e32 v36, 0, v54
	v_sub_nc_u32_e32 v60, 0, v25
	v_cndmask_b32_e32 v14, v59, v53, vcc_lo
	v_cndmask_b32_e64 v15, v15, v42, s6
	v_add3_u32 v10, v10, v22, v23
	v_cmp_eq_u16_e64 s0, 0, v44
	v_and_b32_e32 v30, 16, v37
	v_sub_nc_u32_e32 v12, 0, v55
	v_sub_nc_u32_e32 v18, 0, v16
	v_cmp_eq_u16_e64 s1, 0, v45
	v_cmp_eq_u16_e32 vcc_lo, 0, v11
	v_cndmask_b32_e64 v11, v60, v25, s0
	v_cndmask_b32_e64 v22, v36, v54, s8
	v_add3_u32 v10, v10, v14, v15
	v_cmp_eq_u16_e64 s0, 0, v34
	v_sub_nc_u32_e32 v19, 0, v26
	v_sub_nc_u32_e32 v13, 0, v56
	v_cndmask_b32_e64 v15, v18, v16, s1
	v_add3_u32 v10, v10, v11, v22
	v_cndmask_b32_e64 v12, v12, v55, s0
	v_cmp_eq_u16_e64 s0, 0, v30
	v_sub_nc_u32_e32 v14, 0, v57
	v_sub_nc_u32_e32 v11, 0, v17
	v_cndmask_b32_e32 v13, v13, v56, vcc_lo
	v_add3_u32 v10, v10, v12, v15
	v_cndmask_b32_e64 v16, v19, v26, s0
	v_cmp_gt_i16_e32 vcc_lo, 0, v37
	v_cmp_gt_u32_e64 s0, 64, v33
	s_waitcnt vmcnt(0)
	v_cvt_f32_f16_e32 v20, v20
	v_add3_u32 v10, v10, v16, v13
	v_cndmask_b32_e32 v11, v17, v11, vcc_lo
	v_cndmask_b32_e64 v12, v14, v57, s0
	v_mul_f32_e32 v13, v21, v20
	v_cmp_le_u32_e32 vcc_lo, s17, v4
	v_add3_u32 v10, v10, v12, v11
	v_mul_f32_e32 v11, 0x3e800000, v13
	s_or_b32 s14, vcc_lo, s14
	v_cvt_f32_i32_e32 v10, v10
	v_fmac_f32_e32 v5, v11, v10
	s_andn2_b32 exec_lo, exec_lo, s14
	s_cbranch_execnz .LBB88_3
; %bb.4:
	s_or_b32 exec_lo, exec_lo, s14
.LBB88_5:
	s_or_b32 exec_lo, exec_lo, s16
	v_mbcnt_lo_u32_b32 v2, -1, 0
	v_xor_b32_e32 v3, 16, v2
	v_xor_b32_e32 v4, 8, v2
	v_cmp_gt_i32_e32 vcc_lo, 32, v3
	v_cndmask_b32_e32 v3, v2, v3, vcc_lo
	v_cmp_gt_i32_e32 vcc_lo, 32, v4
	v_lshlrev_b32_e32 v3, 2, v3
	v_cndmask_b32_e32 v4, v2, v4, vcc_lo
	ds_bpermute_b32 v3, v3, v5
	v_lshlrev_b32_e32 v4, 2, v4
	s_waitcnt lgkmcnt(0)
	v_add_f32_e32 v3, v5, v3
	v_xor_b32_e32 v5, 4, v2
	ds_bpermute_b32 v4, v4, v3
	v_cmp_gt_i32_e32 vcc_lo, 32, v5
	v_cndmask_b32_e32 v5, v2, v5, vcc_lo
	v_lshlrev_b32_e32 v5, 2, v5
	s_waitcnt lgkmcnt(0)
	v_add_f32_e32 v3, v3, v4
	ds_bpermute_b32 v4, v5, v3
	v_xor_b32_e32 v5, 2, v2
	v_cmp_gt_i32_e32 vcc_lo, 32, v5
	v_cndmask_b32_e32 v5, v2, v5, vcc_lo
	v_lshlrev_b32_e32 v5, 2, v5
	s_waitcnt lgkmcnt(0)
	v_add_f32_e32 v3, v3, v4
	ds_bpermute_b32 v4, v5, v3
	v_xor_b32_e32 v5, 1, v2
	v_cmp_gt_i32_e32 vcc_lo, 32, v5
	v_cndmask_b32_e32 v5, v2, v5, vcc_lo
	v_cmp_eq_u32_e32 vcc_lo, 0, v0
	s_waitcnt lgkmcnt(0)
	v_add_f32_e32 v2, v3, v4
	v_lshlrev_b32_e32 v3, 2, v5
	ds_bpermute_b32 v3, v3, v2
	s_and_b32 exec_lo, exec_lo, vcc_lo
	s_cbranch_execz .LBB88_7
; %bb.6:
	v_mad_u64_u32 v[0:1], null, s9, s7, v[1:2]
	v_mov_b32_e32 v1, 0
	s_waitcnt lgkmcnt(0)
	v_add_f32_e32 v2, v2, v3
	v_cvt_f16_f32_e32 v2, v2
	v_lshlrev_b64 v[0:1], 1, v[0:1]
	v_add_co_u32 v0, vcc_lo, s10, v0
	v_add_co_ci_u32_e64 v1, null, s11, v1, vcc_lo
	global_store_short v[0:1], v2, off
.LBB88_7:
	s_endpgm
	.section	.rodata,"a",@progbits
	.p2align	6, 0x0
	.amdhsa_kernel _ZL13mul_mat_vec_qIN3c104HalfELi256ELi8E13block_iq2_xxsLi1EXadL_ZL20vec_dot_iq2_xxs_q8_1PKvPK10block_q8_1RKiEEEvS4_S4_PT_iii
		.amdhsa_group_segment_fixed_size 0
		.amdhsa_private_segment_fixed_size 0
		.amdhsa_kernarg_size 296
		.amdhsa_user_sgpr_count 6
		.amdhsa_user_sgpr_private_segment_buffer 1
		.amdhsa_user_sgpr_dispatch_ptr 0
		.amdhsa_user_sgpr_queue_ptr 0
		.amdhsa_user_sgpr_kernarg_segment_ptr 1
		.amdhsa_user_sgpr_dispatch_id 0
		.amdhsa_user_sgpr_flat_scratch_init 0
		.amdhsa_user_sgpr_private_segment_size 0
		.amdhsa_wavefront_size32 1
		.amdhsa_uses_dynamic_stack 0
		.amdhsa_system_sgpr_private_segment_wavefront_offset 0
		.amdhsa_system_sgpr_workgroup_id_x 1
		.amdhsa_system_sgpr_workgroup_id_y 1
		.amdhsa_system_sgpr_workgroup_id_z 0
		.amdhsa_system_sgpr_workgroup_info 0
		.amdhsa_system_vgpr_workitem_id 1
		.amdhsa_next_free_vgpr 62
		.amdhsa_next_free_sgpr 18
		.amdhsa_reserve_vcc 1
		.amdhsa_reserve_flat_scratch 0
		.amdhsa_float_round_mode_32 0
		.amdhsa_float_round_mode_16_64 0
		.amdhsa_float_denorm_mode_32 3
		.amdhsa_float_denorm_mode_16_64 3
		.amdhsa_dx10_clamp 1
		.amdhsa_ieee_mode 1
		.amdhsa_fp16_overflow 0
		.amdhsa_workgroup_processor_mode 1
		.amdhsa_memory_ordered 1
		.amdhsa_forward_progress 1
		.amdhsa_shared_vgpr_count 0
		.amdhsa_exception_fp_ieee_invalid_op 0
		.amdhsa_exception_fp_denorm_src 0
		.amdhsa_exception_fp_ieee_div_zero 0
		.amdhsa_exception_fp_ieee_overflow 0
		.amdhsa_exception_fp_ieee_underflow 0
		.amdhsa_exception_fp_ieee_inexact 0
		.amdhsa_exception_int_div_zero 0
	.end_amdhsa_kernel
	.section	.text._ZL13mul_mat_vec_qIN3c104HalfELi256ELi8E13block_iq2_xxsLi1EXadL_ZL20vec_dot_iq2_xxs_q8_1PKvPK10block_q8_1RKiEEEvS4_S4_PT_iii,"axG",@progbits,_ZL13mul_mat_vec_qIN3c104HalfELi256ELi8E13block_iq2_xxsLi1EXadL_ZL20vec_dot_iq2_xxs_q8_1PKvPK10block_q8_1RKiEEEvS4_S4_PT_iii,comdat
.Lfunc_end88:
	.size	_ZL13mul_mat_vec_qIN3c104HalfELi256ELi8E13block_iq2_xxsLi1EXadL_ZL20vec_dot_iq2_xxs_q8_1PKvPK10block_q8_1RKiEEEvS4_S4_PT_iii, .Lfunc_end88-_ZL13mul_mat_vec_qIN3c104HalfELi256ELi8E13block_iq2_xxsLi1EXadL_ZL20vec_dot_iq2_xxs_q8_1PKvPK10block_q8_1RKiEEEvS4_S4_PT_iii
                                        ; -- End function
	.set _ZL13mul_mat_vec_qIN3c104HalfELi256ELi8E13block_iq2_xxsLi1EXadL_ZL20vec_dot_iq2_xxs_q8_1PKvPK10block_q8_1RKiEEEvS4_S4_PT_iii.num_vgpr, 62
	.set _ZL13mul_mat_vec_qIN3c104HalfELi256ELi8E13block_iq2_xxsLi1EXadL_ZL20vec_dot_iq2_xxs_q8_1PKvPK10block_q8_1RKiEEEvS4_S4_PT_iii.num_agpr, 0
	.set _ZL13mul_mat_vec_qIN3c104HalfELi256ELi8E13block_iq2_xxsLi1EXadL_ZL20vec_dot_iq2_xxs_q8_1PKvPK10block_q8_1RKiEEEvS4_S4_PT_iii.numbered_sgpr, 18
	.set _ZL13mul_mat_vec_qIN3c104HalfELi256ELi8E13block_iq2_xxsLi1EXadL_ZL20vec_dot_iq2_xxs_q8_1PKvPK10block_q8_1RKiEEEvS4_S4_PT_iii.num_named_barrier, 0
	.set _ZL13mul_mat_vec_qIN3c104HalfELi256ELi8E13block_iq2_xxsLi1EXadL_ZL20vec_dot_iq2_xxs_q8_1PKvPK10block_q8_1RKiEEEvS4_S4_PT_iii.private_seg_size, 0
	.set _ZL13mul_mat_vec_qIN3c104HalfELi256ELi8E13block_iq2_xxsLi1EXadL_ZL20vec_dot_iq2_xxs_q8_1PKvPK10block_q8_1RKiEEEvS4_S4_PT_iii.uses_vcc, 1
	.set _ZL13mul_mat_vec_qIN3c104HalfELi256ELi8E13block_iq2_xxsLi1EXadL_ZL20vec_dot_iq2_xxs_q8_1PKvPK10block_q8_1RKiEEEvS4_S4_PT_iii.uses_flat_scratch, 0
	.set _ZL13mul_mat_vec_qIN3c104HalfELi256ELi8E13block_iq2_xxsLi1EXadL_ZL20vec_dot_iq2_xxs_q8_1PKvPK10block_q8_1RKiEEEvS4_S4_PT_iii.has_dyn_sized_stack, 0
	.set _ZL13mul_mat_vec_qIN3c104HalfELi256ELi8E13block_iq2_xxsLi1EXadL_ZL20vec_dot_iq2_xxs_q8_1PKvPK10block_q8_1RKiEEEvS4_S4_PT_iii.has_recursion, 0
	.set _ZL13mul_mat_vec_qIN3c104HalfELi256ELi8E13block_iq2_xxsLi1EXadL_ZL20vec_dot_iq2_xxs_q8_1PKvPK10block_q8_1RKiEEEvS4_S4_PT_iii.has_indirect_call, 0
	.section	.AMDGPU.csdata,"",@progbits
; Kernel info:
; codeLenInByte = 1852
; TotalNumSgprs: 20
; NumVgprs: 62
; ScratchSize: 0
; MemoryBound: 0
; FloatMode: 240
; IeeeMode: 1
; LDSByteSize: 0 bytes/workgroup (compile time only)
; SGPRBlocks: 0
; VGPRBlocks: 7
; NumSGPRsForWavesPerEU: 20
; NumVGPRsForWavesPerEU: 62
; Occupancy: 16
; WaveLimiterHint : 0
; COMPUTE_PGM_RSRC2:SCRATCH_EN: 0
; COMPUTE_PGM_RSRC2:USER_SGPR: 6
; COMPUTE_PGM_RSRC2:TRAP_HANDLER: 0
; COMPUTE_PGM_RSRC2:TGID_X_EN: 1
; COMPUTE_PGM_RSRC2:TGID_Y_EN: 1
; COMPUTE_PGM_RSRC2:TGID_Z_EN: 0
; COMPUTE_PGM_RSRC2:TIDIG_COMP_CNT: 1
	.section	.text._ZL13mul_mat_vec_qIN3c104HalfELi256ELi8E12block_iq2_xsLi1EXadL_ZL19vec_dot_iq2_xs_q8_1PKvPK10block_q8_1RKiEEEvS4_S4_PT_iii,"axG",@progbits,_ZL13mul_mat_vec_qIN3c104HalfELi256ELi8E12block_iq2_xsLi1EXadL_ZL19vec_dot_iq2_xs_q8_1PKvPK10block_q8_1RKiEEEvS4_S4_PT_iii,comdat
	.globl	_ZL13mul_mat_vec_qIN3c104HalfELi256ELi8E12block_iq2_xsLi1EXadL_ZL19vec_dot_iq2_xs_q8_1PKvPK10block_q8_1RKiEEEvS4_S4_PT_iii ; -- Begin function _ZL13mul_mat_vec_qIN3c104HalfELi256ELi8E12block_iq2_xsLi1EXadL_ZL19vec_dot_iq2_xs_q8_1PKvPK10block_q8_1RKiEEEvS4_S4_PT_iii
	.p2align	8
	.type	_ZL13mul_mat_vec_qIN3c104HalfELi256ELi8E12block_iq2_xsLi1EXadL_ZL19vec_dot_iq2_xs_q8_1PKvPK10block_q8_1RKiEEEvS4_S4_PT_iii,@function
_ZL13mul_mat_vec_qIN3c104HalfELi256ELi8E12block_iq2_xsLi1EXadL_ZL19vec_dot_iq2_xs_q8_1PKvPK10block_q8_1RKiEEEvS4_S4_PT_iii: ; @_ZL13mul_mat_vec_qIN3c104HalfELi256ELi8E12block_iq2_xsLi1EXadL_ZL19vec_dot_iq2_xs_q8_1PKvPK10block_q8_1RKiEEEvS4_S4_PT_iii
; %bb.0:
	s_clause 0x1
	s_load_dword s8, s[4:5], 0x34
	s_load_dwordx4 s[0:3], s[4:5], 0x18
	s_waitcnt lgkmcnt(0)
	s_lshr_b32 s3, s8, 16
	s_cmp_lt_u32 s7, s2
	v_mad_u64_u32 v[1:2], null, s6, s3, v[1:2]
	s_cselect_b32 s2, -1, 0
	v_cmp_gt_u32_e32 vcc_lo, s1, v1
	s_and_b32 s2, s2, vcc_lo
	s_and_saveexec_b32 s3, s2
	s_cbranch_execz .LBB89_7
; %bb.1:
	s_load_dwordx2 s[2:3], s[4:5], 0x10
	s_ashr_i32 s6, s0, 31
	v_lshrrev_b32_e32 v10, 3, v0
	s_lshr_b32 s6, s6, 24
	v_mov_b32_e32 v11, 0
	s_add_i32 s6, s0, s6
	s_ashr_i32 s12, s6, 8
	s_mov_b32 s6, exec_lo
	v_cmpx_gt_u32_e64 s12, v10
	s_cbranch_execz .LBB89_5
; %bb.2:
	s_load_dwordx4 s[8:11], s[4:5], 0x0
	s_addk_i32 s0, 0x1ff
	v_and_b32_e32 v12, 7, v0
	s_ashr_i32 s4, s0, 31
	v_lshlrev_b32_e32 v4, 3, v10
	s_lshr_b32 s4, s4, 23
	v_mul_lo_u32 v13, v1, s12
	s_add_i32 s0, s0, s4
	v_lshlrev_b32_e32 v5, 2, v12
	s_ashr_i32 s0, s0, 9
	v_mov_b32_e32 v14, 0
	s_mul_i32 s0, s7, s0
	v_mov_b32_e32 v11, 0
	v_lshl_add_u32 v15, s0, 4, v4
	v_lshlrev_b32_e32 v16, 1, v5
	s_mov_b32 s0, 0
	s_getpc_b64 s[4:5]
	s_add_u32 s4, s4, _ZL10iq2xs_grid@rel32@lo+4
	s_addc_u32 s5, s5, _ZL10iq2xs_grid@rel32@hi+12
	s_waitcnt lgkmcnt(0)
	v_mad_u64_u32 v[2:3], null, v12, 36, s[10:11]
.LBB89_3:                               ; =>This Inner Loop Header: Depth=1
	v_add_nc_u32_e32 v4, v13, v10
	s_getpc_b64 s[10:11]
	s_add_u32 s10, s10, _ZL12ksigns_iq2xs@rel32@lo+4
	s_addc_u32 s11, s11, _ZL12ksigns_iq2xs@rel32@hi+12
	v_add_nc_u32_e32 v10, 4, v10
	v_mad_i64_i32 v[6:7], null, 0x4a, v4, s[8:9]
	v_mad_i64_i32 v[4:5], null, v15, 36, v[2:3]
	v_add_nc_u32_e32 v15, 32, v15
	v_add_co_u32 v8, vcc_lo, v6, v16
	v_add_co_ci_u32_e64 v9, null, 0, v7, vcc_lo
	v_add_co_u32 v17, vcc_lo, v6, v12
	v_add_co_ci_u32_e64 v18, null, 0, v7, vcc_lo
	s_clause 0x1
	global_load_ubyte v17, v[17:18], off offset:66
	global_load_dwordx2 v[8:9], v[8:9], off offset:2
	s_waitcnt vmcnt(0)
	v_and_b32_e32 v18, 0x1ff, v8
	v_lshlrev_b32_e32 v22, 3, v18
	v_bfe_u32 v18, v8, 9, 7
	global_load_sbyte v24, v18, s[10:11]
	global_load_dwordx4 v[18:21], v[4:5], off offset:4
	global_load_dwordx2 v[22:23], v22, s[4:5]
	s_waitcnt vmcnt(2)
	v_and_b32_e32 v26, 1, v24
	v_and_b32_e32 v27, 2, v24
	s_waitcnt vmcnt(0)
	v_mul_i32_i24_sdwa v25, v22, sext(v18) dst_sel:DWORD dst_unused:UNUSED_PAD src0_sel:BYTE_0 src1_sel:BYTE_0
	v_cmp_eq_u16_e32 vcc_lo, 0, v26
	v_sub_nc_u32_e32 v26, 0, v25
	v_cndmask_b32_e32 v25, v26, v25, vcc_lo
	v_mul_i32_i24_sdwa v26, v22, sext(v18) dst_sel:DWORD dst_unused:UNUSED_PAD src0_sel:BYTE_1 src1_sel:BYTE_1
	v_cmp_eq_u16_e32 vcc_lo, 0, v27
	v_sub_nc_u32_e32 v27, 0, v26
	v_cndmask_b32_e32 v26, v27, v26, vcc_lo
	v_and_b32_e32 v27, 4, v24
	v_add_nc_u32_e32 v25, v26, v25
	v_mul_i32_i24_sdwa v26, v22, sext(v18) dst_sel:DWORD dst_unused:UNUSED_PAD src0_sel:BYTE_2 src1_sel:BYTE_2
	v_cmp_eq_u16_e32 vcc_lo, 0, v27
	v_mul_i32_i24_sdwa v18, v22, sext(v18) dst_sel:DWORD dst_unused:UNUSED_PAD src0_sel:BYTE_3 src1_sel:BYTE_3
	v_and_b32_e32 v22, 8, v24
	v_sub_nc_u32_e32 v27, 0, v26
	v_cndmask_b32_e32 v26, v27, v26, vcc_lo
	v_cmp_eq_u16_e32 vcc_lo, 0, v22
	v_sub_nc_u32_e32 v22, 0, v18
	v_cndmask_b32_e32 v18, v22, v18, vcc_lo
	v_mul_i32_i24_sdwa v22, v23, sext(v19) dst_sel:DWORD dst_unused:UNUSED_PAD src0_sel:BYTE_0 src1_sel:BYTE_0
	v_add3_u32 v18, v25, v26, v18
	v_and_b32_e32 v25, 16, v24
	v_and_b32_e32 v26, 32, v24
	v_cmp_eq_u16_e32 vcc_lo, 0, v25
	v_sub_nc_u32_e32 v25, 0, v22
	v_cndmask_b32_e32 v22, v25, v22, vcc_lo
	v_mul_i32_i24_sdwa v25, v23, sext(v19) dst_sel:DWORD dst_unused:UNUSED_PAD src0_sel:BYTE_1 src1_sel:BYTE_1
	v_cmp_eq_u16_e32 vcc_lo, 0, v26
	v_sub_nc_u32_e32 v26, 0, v25
	v_cndmask_b32_e32 v25, v26, v25, vcc_lo
	v_cmp_gt_i16_e32 vcc_lo, 0, v8
	v_add3_u32 v18, v18, v22, v25
	v_mul_i32_i24_sdwa v22, v23, sext(v19) dst_sel:DWORD dst_unused:UNUSED_PAD src0_sel:BYTE_2 src1_sel:BYTE_2
	v_mul_i32_i24_sdwa v19, v23, sext(v19) dst_sel:DWORD dst_unused:UNUSED_PAD src0_sel:BYTE_3 src1_sel:BYTE_3
	v_sub_nc_u32_e32 v25, 0, v22
	v_sub_nc_u32_e32 v23, 0, v19
	v_cndmask_b32_e32 v22, v22, v25, vcc_lo
	v_cmp_gt_i16_e32 vcc_lo, 0, v24
	v_cndmask_b32_e32 v19, v19, v23, vcc_lo
	v_add3_u32 v24, v18, v22, v19
	v_lshrrev_b32_e32 v18, 13, v8
	v_lshrrev_b32_e32 v19, 25, v8
	v_and_b32_e32 v18, 0xff8, v18
	global_load_sbyte v22, v19, s[10:11]
	global_load_dwordx2 v[18:19], v18, s[4:5]
	s_waitcnt vmcnt(1)
	v_and_b32_e32 v25, 1, v22
	s_waitcnt vmcnt(0)
	v_mul_i32_i24_sdwa v23, v18, sext(v20) dst_sel:DWORD dst_unused:UNUSED_PAD src0_sel:BYTE_0 src1_sel:BYTE_0
	v_and_b32_e32 v26, 2, v22
	v_and_b32_e32 v27, 4, v22
	v_cmp_eq_u16_e32 vcc_lo, 0, v25
	v_sub_nc_u32_e32 v25, 0, v23
	v_cndmask_b32_e32 v25, v25, v23, vcc_lo
	v_mul_i32_i24_sdwa v23, v18, sext(v20) dst_sel:DWORD dst_unused:UNUSED_PAD src0_sel:BYTE_1 src1_sel:BYTE_1
	v_cmp_eq_u16_e32 vcc_lo, 0, v26
	v_sub_nc_u32_e32 v26, 0, v23
	v_cndmask_b32_e32 v26, v26, v23, vcc_lo
	v_mul_i32_i24_sdwa v23, v18, sext(v20) dst_sel:DWORD dst_unused:UNUSED_PAD src0_sel:BYTE_2 src1_sel:BYTE_2
	v_cmp_eq_u16_e32 vcc_lo, 0, v27
	v_mul_i32_i24_sdwa v18, v18, sext(v20) dst_sel:DWORD dst_unused:UNUSED_PAD src0_sel:BYTE_3 src1_sel:BYTE_3
	v_and_b32_e32 v20, 8, v22
	v_sub_nc_u32_e32 v27, 0, v23
	v_cndmask_b32_e32 v27, v27, v23, vcc_lo
	v_cmp_eq_u16_e32 vcc_lo, 0, v20
	v_sub_nc_u32_e32 v20, 0, v18
	v_cndmask_b32_e32 v28, v20, v18, vcc_lo
	v_mul_i32_i24_sdwa v18, v19, sext(v21) dst_sel:DWORD dst_unused:UNUSED_PAD src0_sel:BYTE_0 src1_sel:BYTE_0
	v_and_b32_e32 v20, 16, v22
	v_cmp_eq_u16_e32 vcc_lo, 0, v20
	v_sub_nc_u32_e32 v20, 0, v18
	v_cndmask_b32_e32 v29, v20, v18, vcc_lo
	v_mul_i32_i24_sdwa v18, v19, sext(v21) dst_sel:DWORD dst_unused:UNUSED_PAD src0_sel:BYTE_1 src1_sel:BYTE_1
	v_and_b32_e32 v20, 32, v22
	v_cmp_eq_u16_e32 vcc_lo, 0, v20
	v_sub_nc_u32_e32 v20, 0, v18
	v_cndmask_b32_e32 v30, v20, v18, vcc_lo
	v_mul_i32_i24_sdwa v18, v19, sext(v21) dst_sel:DWORD dst_unused:UNUSED_PAD src0_sel:BYTE_2 src1_sel:BYTE_2
	v_cmp_lt_i16_sdwa vcc_lo, v8, v14 src0_sel:WORD_1 src1_sel:DWORD
	v_mul_i32_i24_sdwa v8, v19, sext(v21) dst_sel:DWORD dst_unused:UNUSED_PAD src0_sel:BYTE_3 src1_sel:BYTE_3
	v_sub_nc_u32_e32 v20, 0, v18
	v_cndmask_b32_e32 v31, v18, v20, vcc_lo
	v_sub_nc_u32_e32 v18, 0, v8
	v_cmp_gt_i16_e32 vcc_lo, 0, v22
	v_cndmask_b32_e32 v32, v8, v18, vcc_lo
	v_and_b32_e32 v8, 0x1ff, v9
	v_bfe_u32 v18, v9, 9, 7
	v_lshlrev_b32_e32 v8, 3, v8
	global_load_sbyte v33, v18, s[10:11]
	global_load_dwordx4 v[18:21], v[4:5], off offset:20
	global_load_dwordx2 v[22:23], v8, s[4:5]
	s_waitcnt vmcnt(2)
	v_and_b32_e32 v34, 1, v33
	v_and_b32_e32 v35, 2, v33
	s_waitcnt vmcnt(0)
	v_mul_i32_i24_sdwa v8, v22, sext(v18) dst_sel:DWORD dst_unused:UNUSED_PAD src0_sel:BYTE_0 src1_sel:BYTE_0
	v_cmp_eq_u16_e32 vcc_lo, 0, v34
	v_sub_nc_u32_e32 v34, 0, v8
	v_cndmask_b32_e32 v8, v34, v8, vcc_lo
	v_mul_i32_i24_sdwa v34, v22, sext(v18) dst_sel:DWORD dst_unused:UNUSED_PAD src0_sel:BYTE_1 src1_sel:BYTE_1
	v_cmp_eq_u16_e32 vcc_lo, 0, v35
	v_sub_nc_u32_e32 v35, 0, v34
	v_cndmask_b32_e32 v34, v35, v34, vcc_lo
	v_and_b32_e32 v35, 4, v33
	v_add_nc_u32_e32 v8, v34, v8
	v_mul_i32_i24_sdwa v34, v22, sext(v18) dst_sel:DWORD dst_unused:UNUSED_PAD src0_sel:BYTE_2 src1_sel:BYTE_2
	v_cmp_eq_u16_e32 vcc_lo, 0, v35
	v_mul_i32_i24_sdwa v18, v22, sext(v18) dst_sel:DWORD dst_unused:UNUSED_PAD src0_sel:BYTE_3 src1_sel:BYTE_3
	v_and_b32_e32 v22, 8, v33
	v_sub_nc_u32_e32 v35, 0, v34
	v_cndmask_b32_e32 v34, v35, v34, vcc_lo
	v_cmp_eq_u16_e32 vcc_lo, 0, v22
	v_sub_nc_u32_e32 v22, 0, v18
	v_cndmask_b32_e32 v18, v22, v18, vcc_lo
	v_and_b32_e32 v22, 16, v33
	v_add3_u32 v8, v8, v34, v18
	v_mul_i32_i24_sdwa v18, v23, sext(v19) dst_sel:DWORD dst_unused:UNUSED_PAD src0_sel:BYTE_0 src1_sel:BYTE_0
	v_cmp_eq_u16_e32 vcc_lo, 0, v22
	v_and_b32_e32 v34, 32, v33
	v_sub_nc_u32_e32 v22, 0, v18
	v_cndmask_b32_e32 v18, v22, v18, vcc_lo
	v_mul_i32_i24_sdwa v22, v23, sext(v19) dst_sel:DWORD dst_unused:UNUSED_PAD src0_sel:BYTE_1 src1_sel:BYTE_1
	v_cmp_eq_u16_e32 vcc_lo, 0, v34
	v_sub_nc_u32_e32 v34, 0, v22
	v_cndmask_b32_e32 v22, v34, v22, vcc_lo
	v_cmp_gt_i16_e32 vcc_lo, 0, v9
	v_add3_u32 v8, v8, v18, v22
	v_mul_i32_i24_sdwa v18, v23, sext(v19) dst_sel:DWORD dst_unused:UNUSED_PAD src0_sel:BYTE_2 src1_sel:BYTE_2
	v_mul_i32_i24_sdwa v19, v23, sext(v19) dst_sel:DWORD dst_unused:UNUSED_PAD src0_sel:BYTE_3 src1_sel:BYTE_3
	v_sub_nc_u32_e32 v22, 0, v18
	v_cndmask_b32_e32 v18, v18, v22, vcc_lo
	v_sub_nc_u32_e32 v22, 0, v19
	v_cmp_gt_i16_e32 vcc_lo, 0, v33
	v_cndmask_b32_e32 v19, v19, v22, vcc_lo
	v_add3_u32 v8, v8, v18, v19
	v_lshrrev_b32_e32 v18, 13, v9
	v_lshrrev_b32_e32 v19, 25, v9
	v_and_b32_e32 v18, 0xff8, v18
	global_load_sbyte v22, v19, s[10:11]
	global_load_dwordx2 v[18:19], v18, s[4:5]
	global_load_ushort v6, v[6:7], off
	global_load_ushort v4, v[4:5], off
	s_waitcnt vmcnt(3)
	v_and_b32_e32 v33, 1, v22
	s_waitcnt vmcnt(2)
	v_mul_i32_i24_sdwa v23, v18, sext(v20) dst_sel:DWORD dst_unused:UNUSED_PAD src0_sel:BYTE_0 src1_sel:BYTE_0
	v_and_b32_e32 v34, 2, v22
	s_waitcnt vmcnt(1)
	v_cvt_f32_f16_e32 v6, v6
	s_waitcnt vmcnt(0)
	v_cvt_f32_f16_e32 v4, v4
	v_cmp_eq_u16_e32 vcc_lo, 0, v33
	v_sub_nc_u32_e32 v33, 0, v23
	v_mul_f32_e32 v4, v6, v4
	v_cndmask_b32_e32 v23, v33, v23, vcc_lo
	v_mul_i32_i24_sdwa v33, v18, sext(v20) dst_sel:DWORD dst_unused:UNUSED_PAD src0_sel:BYTE_1 src1_sel:BYTE_1
	v_cmp_eq_u16_e32 vcc_lo, 0, v34
	v_mul_f32_e32 v4, 0x3e800000, v4
	v_sub_nc_u32_e32 v34, 0, v33
	v_cndmask_b32_e32 v33, v34, v33, vcc_lo
	v_add3_u32 v8, v8, v23, v33
	v_mul_i32_i24_sdwa v23, v18, sext(v20) dst_sel:DWORD dst_unused:UNUSED_PAD src0_sel:BYTE_2 src1_sel:BYTE_2
	v_and_b32_e32 v33, 4, v22
	v_mul_i32_i24_sdwa v18, v18, sext(v20) dst_sel:DWORD dst_unused:UNUSED_PAD src0_sel:BYTE_3 src1_sel:BYTE_3
	v_and_b32_e32 v20, 8, v22
	v_cmp_eq_u16_e32 vcc_lo, 0, v33
	v_sub_nc_u32_e32 v33, 0, v23
	v_cndmask_b32_e32 v23, v33, v23, vcc_lo
	v_cmp_eq_u16_e32 vcc_lo, 0, v20
	v_sub_nc_u32_e32 v20, 0, v18
	v_cndmask_b32_e32 v18, v20, v18, vcc_lo
	v_and_b32_e32 v20, 16, v22
	v_add3_u32 v8, v8, v23, v18
	v_mul_i32_i24_sdwa v18, v19, sext(v21) dst_sel:DWORD dst_unused:UNUSED_PAD src0_sel:BYTE_0 src1_sel:BYTE_0
	v_cmp_eq_u16_e32 vcc_lo, 0, v20
	v_and_b32_e32 v23, 32, v22
	v_sub_nc_u32_e32 v20, 0, v18
	v_cndmask_b32_e32 v18, v20, v18, vcc_lo
	v_mul_i32_i24_sdwa v20, v19, sext(v21) dst_sel:DWORD dst_unused:UNUSED_PAD src0_sel:BYTE_1 src1_sel:BYTE_1
	v_cmp_eq_u16_e32 vcc_lo, 0, v23
	v_sub_nc_u32_e32 v23, 0, v20
	v_cndmask_b32_e32 v20, v23, v20, vcc_lo
	v_cmp_lt_i16_sdwa vcc_lo, v9, v14 src0_sel:WORD_1 src1_sel:DWORD
	v_add3_u32 v8, v8, v18, v20
	v_mul_i32_i24_sdwa v18, v19, sext(v21) dst_sel:DWORD dst_unused:UNUSED_PAD src0_sel:BYTE_2 src1_sel:BYTE_2
	v_sub_nc_u32_e32 v20, 0, v18
	v_cndmask_b32_e32 v9, v18, v20, vcc_lo
	v_mul_i32_i24_sdwa v18, v19, sext(v21) dst_sel:DWORD dst_unused:UNUSED_PAD src0_sel:BYTE_3 src1_sel:BYTE_3
	v_cmp_gt_i16_e32 vcc_lo, 0, v22
	v_sub_nc_u32_e32 v19, 0, v18
	v_cndmask_b32_e32 v18, v18, v19, vcc_lo
	v_cmp_le_u32_e32 vcc_lo, s12, v10
	v_add3_u32 v8, v8, v9, v18
	v_add3_u32 v9, v24, v25, v26
	s_or_b32 s0, vcc_lo, s0
	v_cvt_f32_i32_e32 v8, v8
	v_add3_u32 v9, v9, v27, v28
	v_add3_u32 v9, v9, v29, v30
	;; [unrolled: 1-line block ×3, first 2 shown]
	v_lshrrev_b16 v9, 4, v17
	v_and_b32_e32 v17, 15, v17
	v_cvt_f32_i32_e32 v6, v18
	v_cvt_f32_ubyte0_e32 v7, v9
	v_cvt_f32_ubyte0_e32 v5, v17
	v_add_f32_e32 v7, 0.5, v7
	v_add_f32_e32 v5, 0.5, v5
	v_mul_f32_e32 v7, v7, v8
	v_fmac_f32_e32 v7, v5, v6
	v_fmac_f32_e32 v11, v4, v7
	s_andn2_b32 exec_lo, exec_lo, s0
	s_cbranch_execnz .LBB89_3
; %bb.4:
	s_or_b32 exec_lo, exec_lo, s0
.LBB89_5:
	s_or_b32 exec_lo, exec_lo, s6
	v_mbcnt_lo_u32_b32 v2, -1, 0
	v_xor_b32_e32 v3, 16, v2
	v_xor_b32_e32 v4, 8, v2
	;; [unrolled: 1-line block ×3, first 2 shown]
	v_cmp_gt_i32_e32 vcc_lo, 32, v3
	v_cndmask_b32_e32 v3, v2, v3, vcc_lo
	v_cmp_gt_i32_e32 vcc_lo, 32, v4
	v_lshlrev_b32_e32 v3, 2, v3
	v_cndmask_b32_e32 v4, v2, v4, vcc_lo
	v_cmp_gt_i32_e32 vcc_lo, 32, v5
	ds_bpermute_b32 v3, v3, v11
	v_lshlrev_b32_e32 v4, 2, v4
	v_cndmask_b32_e32 v5, v2, v5, vcc_lo
	v_lshlrev_b32_e32 v5, 2, v5
	s_waitcnt lgkmcnt(0)
	v_add_f32_e32 v3, v11, v3
	ds_bpermute_b32 v4, v4, v3
	s_waitcnt lgkmcnt(0)
	v_add_f32_e32 v3, v3, v4
	ds_bpermute_b32 v4, v5, v3
	v_xor_b32_e32 v5, 2, v2
	v_cmp_gt_i32_e32 vcc_lo, 32, v5
	v_cndmask_b32_e32 v5, v2, v5, vcc_lo
	v_lshlrev_b32_e32 v5, 2, v5
	s_waitcnt lgkmcnt(0)
	v_add_f32_e32 v3, v3, v4
	ds_bpermute_b32 v4, v5, v3
	v_xor_b32_e32 v5, 1, v2
	v_cmp_gt_i32_e32 vcc_lo, 32, v5
	v_cndmask_b32_e32 v5, v2, v5, vcc_lo
	v_cmp_eq_u32_e32 vcc_lo, 0, v0
	s_waitcnt lgkmcnt(0)
	v_add_f32_e32 v2, v3, v4
	v_lshlrev_b32_e32 v3, 2, v5
	ds_bpermute_b32 v3, v3, v2
	s_and_b32 exec_lo, exec_lo, vcc_lo
	s_cbranch_execz .LBB89_7
; %bb.6:
	v_mad_u64_u32 v[0:1], null, s1, s7, v[1:2]
	v_mov_b32_e32 v1, 0
	s_waitcnt lgkmcnt(0)
	v_add_f32_e32 v2, v2, v3
	v_cvt_f16_f32_e32 v2, v2
	v_lshlrev_b64 v[0:1], 1, v[0:1]
	v_add_co_u32 v0, vcc_lo, s2, v0
	v_add_co_ci_u32_e64 v1, null, s3, v1, vcc_lo
	global_store_short v[0:1], v2, off
.LBB89_7:
	s_endpgm
	.section	.rodata,"a",@progbits
	.p2align	6, 0x0
	.amdhsa_kernel _ZL13mul_mat_vec_qIN3c104HalfELi256ELi8E12block_iq2_xsLi1EXadL_ZL19vec_dot_iq2_xs_q8_1PKvPK10block_q8_1RKiEEEvS4_S4_PT_iii
		.amdhsa_group_segment_fixed_size 0
		.amdhsa_private_segment_fixed_size 0
		.amdhsa_kernarg_size 296
		.amdhsa_user_sgpr_count 6
		.amdhsa_user_sgpr_private_segment_buffer 1
		.amdhsa_user_sgpr_dispatch_ptr 0
		.amdhsa_user_sgpr_queue_ptr 0
		.amdhsa_user_sgpr_kernarg_segment_ptr 1
		.amdhsa_user_sgpr_dispatch_id 0
		.amdhsa_user_sgpr_flat_scratch_init 0
		.amdhsa_user_sgpr_private_segment_size 0
		.amdhsa_wavefront_size32 1
		.amdhsa_uses_dynamic_stack 0
		.amdhsa_system_sgpr_private_segment_wavefront_offset 0
		.amdhsa_system_sgpr_workgroup_id_x 1
		.amdhsa_system_sgpr_workgroup_id_y 1
		.amdhsa_system_sgpr_workgroup_id_z 0
		.amdhsa_system_sgpr_workgroup_info 0
		.amdhsa_system_vgpr_workitem_id 1
		.amdhsa_next_free_vgpr 36
		.amdhsa_next_free_sgpr 13
		.amdhsa_reserve_vcc 1
		.amdhsa_reserve_flat_scratch 0
		.amdhsa_float_round_mode_32 0
		.amdhsa_float_round_mode_16_64 0
		.amdhsa_float_denorm_mode_32 3
		.amdhsa_float_denorm_mode_16_64 3
		.amdhsa_dx10_clamp 1
		.amdhsa_ieee_mode 1
		.amdhsa_fp16_overflow 0
		.amdhsa_workgroup_processor_mode 1
		.amdhsa_memory_ordered 1
		.amdhsa_forward_progress 1
		.amdhsa_shared_vgpr_count 0
		.amdhsa_exception_fp_ieee_invalid_op 0
		.amdhsa_exception_fp_denorm_src 0
		.amdhsa_exception_fp_ieee_div_zero 0
		.amdhsa_exception_fp_ieee_overflow 0
		.amdhsa_exception_fp_ieee_underflow 0
		.amdhsa_exception_fp_ieee_inexact 0
		.amdhsa_exception_int_div_zero 0
	.end_amdhsa_kernel
	.section	.text._ZL13mul_mat_vec_qIN3c104HalfELi256ELi8E12block_iq2_xsLi1EXadL_ZL19vec_dot_iq2_xs_q8_1PKvPK10block_q8_1RKiEEEvS4_S4_PT_iii,"axG",@progbits,_ZL13mul_mat_vec_qIN3c104HalfELi256ELi8E12block_iq2_xsLi1EXadL_ZL19vec_dot_iq2_xs_q8_1PKvPK10block_q8_1RKiEEEvS4_S4_PT_iii,comdat
.Lfunc_end89:
	.size	_ZL13mul_mat_vec_qIN3c104HalfELi256ELi8E12block_iq2_xsLi1EXadL_ZL19vec_dot_iq2_xs_q8_1PKvPK10block_q8_1RKiEEEvS4_S4_PT_iii, .Lfunc_end89-_ZL13mul_mat_vec_qIN3c104HalfELi256ELi8E12block_iq2_xsLi1EXadL_ZL19vec_dot_iq2_xs_q8_1PKvPK10block_q8_1RKiEEEvS4_S4_PT_iii
                                        ; -- End function
	.set _ZL13mul_mat_vec_qIN3c104HalfELi256ELi8E12block_iq2_xsLi1EXadL_ZL19vec_dot_iq2_xs_q8_1PKvPK10block_q8_1RKiEEEvS4_S4_PT_iii.num_vgpr, 36
	.set _ZL13mul_mat_vec_qIN3c104HalfELi256ELi8E12block_iq2_xsLi1EXadL_ZL19vec_dot_iq2_xs_q8_1PKvPK10block_q8_1RKiEEEvS4_S4_PT_iii.num_agpr, 0
	.set _ZL13mul_mat_vec_qIN3c104HalfELi256ELi8E12block_iq2_xsLi1EXadL_ZL19vec_dot_iq2_xs_q8_1PKvPK10block_q8_1RKiEEEvS4_S4_PT_iii.numbered_sgpr, 13
	.set _ZL13mul_mat_vec_qIN3c104HalfELi256ELi8E12block_iq2_xsLi1EXadL_ZL19vec_dot_iq2_xs_q8_1PKvPK10block_q8_1RKiEEEvS4_S4_PT_iii.num_named_barrier, 0
	.set _ZL13mul_mat_vec_qIN3c104HalfELi256ELi8E12block_iq2_xsLi1EXadL_ZL19vec_dot_iq2_xs_q8_1PKvPK10block_q8_1RKiEEEvS4_S4_PT_iii.private_seg_size, 0
	.set _ZL13mul_mat_vec_qIN3c104HalfELi256ELi8E12block_iq2_xsLi1EXadL_ZL19vec_dot_iq2_xs_q8_1PKvPK10block_q8_1RKiEEEvS4_S4_PT_iii.uses_vcc, 1
	.set _ZL13mul_mat_vec_qIN3c104HalfELi256ELi8E12block_iq2_xsLi1EXadL_ZL19vec_dot_iq2_xs_q8_1PKvPK10block_q8_1RKiEEEvS4_S4_PT_iii.uses_flat_scratch, 0
	.set _ZL13mul_mat_vec_qIN3c104HalfELi256ELi8E12block_iq2_xsLi1EXadL_ZL19vec_dot_iq2_xs_q8_1PKvPK10block_q8_1RKiEEEvS4_S4_PT_iii.has_dyn_sized_stack, 0
	.set _ZL13mul_mat_vec_qIN3c104HalfELi256ELi8E12block_iq2_xsLi1EXadL_ZL19vec_dot_iq2_xs_q8_1PKvPK10block_q8_1RKiEEEvS4_S4_PT_iii.has_recursion, 0
	.set _ZL13mul_mat_vec_qIN3c104HalfELi256ELi8E12block_iq2_xsLi1EXadL_ZL19vec_dot_iq2_xs_q8_1PKvPK10block_q8_1RKiEEEvS4_S4_PT_iii.has_indirect_call, 0
	.section	.AMDGPU.csdata,"",@progbits
; Kernel info:
; codeLenInByte = 1720
; TotalNumSgprs: 15
; NumVgprs: 36
; ScratchSize: 0
; MemoryBound: 0
; FloatMode: 240
; IeeeMode: 1
; LDSByteSize: 0 bytes/workgroup (compile time only)
; SGPRBlocks: 0
; VGPRBlocks: 4
; NumSGPRsForWavesPerEU: 15
; NumVGPRsForWavesPerEU: 36
; Occupancy: 16
; WaveLimiterHint : 0
; COMPUTE_PGM_RSRC2:SCRATCH_EN: 0
; COMPUTE_PGM_RSRC2:USER_SGPR: 6
; COMPUTE_PGM_RSRC2:TRAP_HANDLER: 0
; COMPUTE_PGM_RSRC2:TGID_X_EN: 1
; COMPUTE_PGM_RSRC2:TGID_Y_EN: 1
; COMPUTE_PGM_RSRC2:TGID_Z_EN: 0
; COMPUTE_PGM_RSRC2:TIDIG_COMP_CNT: 1
	.section	.text._ZL13mul_mat_vec_qIN3c104HalfELi256ELi8E13block_iq3_xxsLi1EXadL_ZL20vec_dot_iq3_xxs_q8_1PKvPK10block_q8_1RKiEEEvS4_S4_PT_iii,"axG",@progbits,_ZL13mul_mat_vec_qIN3c104HalfELi256ELi8E13block_iq3_xxsLi1EXadL_ZL20vec_dot_iq3_xxs_q8_1PKvPK10block_q8_1RKiEEEvS4_S4_PT_iii,comdat
	.globl	_ZL13mul_mat_vec_qIN3c104HalfELi256ELi8E13block_iq3_xxsLi1EXadL_ZL20vec_dot_iq3_xxs_q8_1PKvPK10block_q8_1RKiEEEvS4_S4_PT_iii ; -- Begin function _ZL13mul_mat_vec_qIN3c104HalfELi256ELi8E13block_iq3_xxsLi1EXadL_ZL20vec_dot_iq3_xxs_q8_1PKvPK10block_q8_1RKiEEEvS4_S4_PT_iii
	.p2align	8
	.type	_ZL13mul_mat_vec_qIN3c104HalfELi256ELi8E13block_iq3_xxsLi1EXadL_ZL20vec_dot_iq3_xxs_q8_1PKvPK10block_q8_1RKiEEEvS4_S4_PT_iii,@function
_ZL13mul_mat_vec_qIN3c104HalfELi256ELi8E13block_iq3_xxsLi1EXadL_ZL20vec_dot_iq3_xxs_q8_1PKvPK10block_q8_1RKiEEEvS4_S4_PT_iii: ; @_ZL13mul_mat_vec_qIN3c104HalfELi256ELi8E13block_iq3_xxsLi1EXadL_ZL20vec_dot_iq3_xxs_q8_1PKvPK10block_q8_1RKiEEEvS4_S4_PT_iii
; %bb.0:
	s_clause 0x1
	s_load_dword s8, s[4:5], 0x34
	s_load_dwordx4 s[0:3], s[4:5], 0x18
	s_waitcnt lgkmcnt(0)
	s_lshr_b32 s3, s8, 16
	s_cmp_lt_u32 s7, s2
	v_mad_u64_u32 v[5:6], null, s6, s3, v[1:2]
	s_cselect_b32 s2, -1, 0
	v_cmp_gt_u32_e32 vcc_lo, s1, v5
	s_and_b32 s2, s2, vcc_lo
	s_and_saveexec_b32 s3, s2
	s_cbranch_execz .LBB90_7
; %bb.1:
	s_load_dwordx2 s[2:3], s[4:5], 0x10
	s_ashr_i32 s6, s0, 31
	v_lshrrev_b32_e32 v8, 3, v0
	s_lshr_b32 s6, s6, 24
	v_mov_b32_e32 v9, 0
	s_add_i32 s6, s0, s6
	s_ashr_i32 s12, s6, 8
	s_mov_b32 s6, exec_lo
	v_cmpx_gt_u32_e64 s12, v8
	s_cbranch_execz .LBB90_5
; %bb.2:
	s_load_dwordx4 s[8:11], s[4:5], 0x0
	s_addk_i32 s0, 0x1ff
	v_and_b32_e32 v1, 7, v0
	s_ashr_i32 s4, s0, 31
	v_lshlrev_b32_e32 v2, 3, v8
	s_lshr_b32 s4, s4, 23
	v_mul_lo_u32 v10, v5, s12
	s_add_i32 s0, s0, s4
	v_lshlrev_b32_e32 v3, 1, v1
	s_ashr_i32 s0, s0, 9
	v_lshlrev_b32_e32 v11, 3, v1
	s_mul_i32 s0, s7, s0
	v_mov_b32_e32 v9, 0
	v_lshl_add_u32 v12, s0, 4, v2
	v_lshlrev_b32_e32 v13, 1, v3
	v_mov_b32_e32 v14, 2
	s_mov_b32 s0, 0
	s_getpc_b64 s[4:5]
	s_add_u32 s4, s4, _ZL11iq3xxs_grid@rel32@lo+4
	s_addc_u32 s5, s5, _ZL11iq3xxs_grid@rel32@hi+12
	s_waitcnt lgkmcnt(0)
	v_mad_u64_u32 v[6:7], null, v1, 36, s[10:11]
.LBB90_3:                               ; =>This Inner Loop Header: Depth=1
	v_add_nc_u32_e32 v1, v10, v8
	v_mad_i64_i32 v[23:24], null, v12, 36, v[6:7]
	s_getpc_b64 s[10:11]
	s_add_u32 s10, s10, _ZL8ksigns64@rel32@lo+4
	s_addc_u32 s11, s11, _ZL8ksigns64@rel32@hi+12
	v_add_nc_u32_e32 v8, 4, v8
	v_mad_i64_i32 v[19:20], null, 0x62, v1, s[8:9]
	v_add_nc_u32_e32 v12, 32, v12
	v_add_co_u32 v1, vcc_lo, v19, v13
	v_add_co_ci_u32_e64 v2, null, 0, v20, vcc_lo
	v_add_co_u32 v3, vcc_lo, v19, v11
	v_add_co_ci_u32_e64 v4, null, 0, v20, vcc_lo
	s_clause 0x1
	global_load_dword v29, v[1:2], off offset:66
	global_load_dwordx2 v[21:22], v[3:4], off offset:2
	s_clause 0x1
	global_load_dwordx4 v[15:18], v[23:24], off
	global_load_dwordx4 v[1:4], v[23:24], off offset:16
	global_load_ushort v30, v[19:20], off
	v_cmp_le_u32_e32 vcc_lo, s12, v8
	s_or_b32 s0, vcc_lo, s0
	s_waitcnt vmcnt(4)
	v_and_b32_e32 v25, 0x7f, v29
	s_waitcnt vmcnt(3)
	v_lshlrev_b32_sdwa v19, v14, v21 dst_sel:DWORD dst_unused:UNUSED_PAD src0_sel:DWORD src1_sel:BYTE_0
	v_lshlrev_b32_sdwa v20, v14, v21 dst_sel:DWORD dst_unused:UNUSED_PAD src0_sel:DWORD src1_sel:BYTE_1
	v_lshrrev_b32_e32 v27, 4, v29
	v_lshlrev_b32_sdwa v26, v14, v21 dst_sel:DWORD dst_unused:UNUSED_PAD src0_sel:DWORD src1_sel:BYTE_2
	v_lshrrev_b32_e32 v32, 11, v29
	v_lshlrev_b32_sdwa v21, v14, v21 dst_sel:DWORD dst_unused:UNUSED_PAD src0_sel:DWORD src1_sel:BYTE_3
	v_lshlrev_b32_sdwa v28, v14, v22 dst_sel:DWORD dst_unused:UNUSED_PAD src0_sel:DWORD src1_sel:BYTE_0
	v_lshlrev_b32_sdwa v31, v14, v22 dst_sel:DWORD dst_unused:UNUSED_PAD src0_sel:DWORD src1_sel:BYTE_1
	v_lshlrev_b32_sdwa v33, v14, v22 dst_sel:DWORD dst_unused:UNUSED_PAD src0_sel:DWORD src1_sel:BYTE_2
	v_lshlrev_b32_sdwa v34, v14, v22 dst_sel:DWORD dst_unused:UNUSED_PAD src0_sel:DWORD src1_sel:BYTE_3
	v_lshrrev_b32_e32 v22, 18, v29
	v_lshlrev_b32_e32 v25, 3, v25
	s_clause 0x1
	global_load_dword v35, v19, s[4:5]
	global_load_dword v36, v20, s[4:5]
	v_and_b32_e32 v27, 0x3f8, v27
	s_clause 0x1
	global_load_dword v37, v26, s[4:5]
	global_load_dword v38, v21, s[4:5]
	v_and_b32_e32 v26, 0x3f8, v32
	;; [unrolled: 4-line block ×3, first 2 shown]
	global_load_dword v33, v33, s[4:5]
	s_clause 0x3
	global_load_dwordx2 v[19:20], v25, s[10:11]
	global_load_dwordx2 v[21:22], v27, s[10:11]
	global_load_dwordx2 v[25:26], v26, s[10:11]
	global_load_dwordx2 v[27:28], v28, s[10:11]
	global_load_dword v34, v34, s[4:5]
	global_load_dword v23, v[23:24], off offset:32
	v_mov_b32_e32 v24, 0
	v_lshrrev_b32_e32 v29, 28, v29
	s_waitcnt vmcnt(13)
	v_cvt_f32_f16_e32 v30, v30
	v_cvt_f32_ubyte0_e32 v29, v29
	v_add_f32_e32 v29, 0.5, v29
	s_waitcnt vmcnt(5)
	v_and_b32_e32 v39, 0xff000000, v19
	v_xor_b32_e32 v35, v19, v35
	v_and_b32_e32 v40, 0xff0000, v19
	v_and_b32_e32 v41, 0xff00, v19
	v_xor_b32_e32 v36, v20, v36
	v_and_b32_e32 v42, 0xff000000, v20
	v_and_b32_e32 v43, 0xff0000, v20
	;; [unrolled: 1-line block ×3, first 2 shown]
	v_sub_nc_u32_e32 v39, v35, v39
	v_sub_nc_u32_e32 v40, v35, v40
	;; [unrolled: 1-line block ×4, first 2 shown]
	s_waitcnt vmcnt(4)
	v_xor_b32_e32 v37, v21, v37
	v_and_b32_e32 v45, 0xff000000, v21
	v_and_b32_e32 v46, 0xff0000, v21
	;; [unrolled: 1-line block ×3, first 2 shown]
	v_xor_b32_e32 v38, v22, v38
	v_and_b32_e32 v48, 0xff000000, v22
	v_and_b32_e32 v49, 0xff0000, v22
	;; [unrolled: 1-line block ×3, first 2 shown]
	s_waitcnt vmcnt(3)
	v_xor_b32_e32 v32, v25, v32
	v_and_b32_e32 v51, 0xff000000, v25
	v_and_b32_e32 v52, 0xff0000, v25
	v_and_b32_e32 v53, 0xff00, v25
	v_xor_b32_e32 v31, v26, v31
	v_and_b32_e32 v54, 0xff000000, v26
	v_and_b32_e32 v55, 0xff0000, v26
	v_and_b32_e32 v56, 0xff00, v26
	s_waitcnt vmcnt(2)
	v_xor_b32_e32 v33, v27, v33
	v_and_b32_e32 v57, 0xff000000, v27
	v_and_b32_e32 v58, 0xff0000, v27
	;; [unrolled: 1-line block ×3, first 2 shown]
	s_waitcnt vmcnt(1)
	v_xor_b32_e32 v34, v28, v34
	v_and_b32_e32 v60, 0xff000000, v28
	v_and_b32_e32 v61, 0xff0000, v28
	v_sub_nc_u32_e32 v20, v36, v20
	v_and_b32_e32 v35, 0xff00, v28
	v_sub_nc_u32_e32 v42, v36, v42
	v_sub_nc_u32_e32 v43, v36, v43
	;; [unrolled: 1-line block ×3, first 2 shown]
	v_and_b32_e32 v39, 0xff000000, v39
	v_and_b32_e32 v41, 0xff00, v41
	v_perm_b32 v19, v40, v19, 0xc060c00
	v_sub_nc_u32_e32 v44, v37, v45
	v_sub_nc_u32_e32 v45, v37, v46
	;; [unrolled: 1-line block ×24, first 2 shown]
	v_and_b32_e32 v34, 0xff000000, v42
	v_and_b32_e32 v36, 0xff00, v36
	v_perm_b32 v20, v43, v20, 0xc060c00
	v_or3_b32 v19, v19, v39, v41
	v_and_b32_e32 v39, 0xff000000, v44
	v_and_b32_e32 v40, 0xff00, v46
	v_perm_b32 v21, v45, v21, 0xc060c00
	v_or3_b32 v20, v20, v34, v36
	v_dot4c_i32_i8 v24, v19, v16
	v_and_b32_e32 v16, 0xff000000, v37
	v_and_b32_e32 v19, 0xff00, v48
	v_perm_b32 v22, v47, v22, 0xc060c00
	v_or3_b32 v21, v21, v39, v40
	v_dot4c_i32_i8 v24, v20, v17
	;; [unrolled: 5-line block ×6, first 2 shown]
	v_cvt_f32_f16_e32 v3, v15
	v_mul_f32_e32 v15, v29, v30
	v_or3_b32 v2, v19, v2, v17
	v_dot4c_i32_i8 v24, v1, v4
	v_mul_f32_e32 v1, v15, v3
	s_waitcnt vmcnt(0)
	v_dot4c_i32_i8 v24, v2, v23
	v_mul_f32_e32 v1, 0.5, v1
	v_cvt_f32_i32_e32 v2, v24
	v_fmac_f32_e32 v9, v1, v2
	s_andn2_b32 exec_lo, exec_lo, s0
	s_cbranch_execnz .LBB90_3
; %bb.4:
	s_or_b32 exec_lo, exec_lo, s0
.LBB90_5:
	s_or_b32 exec_lo, exec_lo, s6
	v_mbcnt_lo_u32_b32 v1, -1, 0
	v_xor_b32_e32 v2, 16, v1
	v_xor_b32_e32 v3, 8, v1
	;; [unrolled: 1-line block ×3, first 2 shown]
	v_cmp_gt_i32_e32 vcc_lo, 32, v2
	v_cndmask_b32_e32 v2, v1, v2, vcc_lo
	v_cmp_gt_i32_e32 vcc_lo, 32, v3
	v_lshlrev_b32_e32 v2, 2, v2
	v_cndmask_b32_e32 v3, v1, v3, vcc_lo
	v_cmp_gt_i32_e32 vcc_lo, 32, v4
	ds_bpermute_b32 v2, v2, v9
	v_lshlrev_b32_e32 v3, 2, v3
	v_cndmask_b32_e32 v4, v1, v4, vcc_lo
	v_lshlrev_b32_e32 v4, 2, v4
	s_waitcnt lgkmcnt(0)
	v_add_f32_e32 v2, v9, v2
	ds_bpermute_b32 v3, v3, v2
	s_waitcnt lgkmcnt(0)
	v_add_f32_e32 v2, v2, v3
	ds_bpermute_b32 v3, v4, v2
	v_xor_b32_e32 v4, 2, v1
	v_cmp_gt_i32_e32 vcc_lo, 32, v4
	v_cndmask_b32_e32 v4, v1, v4, vcc_lo
	v_lshlrev_b32_e32 v4, 2, v4
	s_waitcnt lgkmcnt(0)
	v_add_f32_e32 v2, v2, v3
	ds_bpermute_b32 v3, v4, v2
	v_xor_b32_e32 v4, 1, v1
	v_cmp_gt_i32_e32 vcc_lo, 32, v4
	v_cndmask_b32_e32 v4, v1, v4, vcc_lo
	v_cmp_eq_u32_e32 vcc_lo, 0, v0
	s_waitcnt lgkmcnt(0)
	v_add_f32_e32 v1, v2, v3
	v_lshlrev_b32_e32 v2, 2, v4
	ds_bpermute_b32 v2, v2, v1
	s_and_b32 exec_lo, exec_lo, vcc_lo
	s_cbranch_execz .LBB90_7
; %bb.6:
	v_mad_u64_u32 v[3:4], null, s1, s7, v[5:6]
	v_mov_b32_e32 v4, 0
	s_waitcnt lgkmcnt(0)
	v_add_f32_e32 v2, v1, v2
	v_cvt_f16_f32_e32 v2, v2
	v_lshlrev_b64 v[0:1], 1, v[3:4]
	v_add_co_u32 v0, vcc_lo, s2, v0
	v_add_co_ci_u32_e64 v1, null, s3, v1, vcc_lo
	global_store_short v[0:1], v2, off
.LBB90_7:
	s_endpgm
	.section	.rodata,"a",@progbits
	.p2align	6, 0x0
	.amdhsa_kernel _ZL13mul_mat_vec_qIN3c104HalfELi256ELi8E13block_iq3_xxsLi1EXadL_ZL20vec_dot_iq3_xxs_q8_1PKvPK10block_q8_1RKiEEEvS4_S4_PT_iii
		.amdhsa_group_segment_fixed_size 0
		.amdhsa_private_segment_fixed_size 0
		.amdhsa_kernarg_size 296
		.amdhsa_user_sgpr_count 6
		.amdhsa_user_sgpr_private_segment_buffer 1
		.amdhsa_user_sgpr_dispatch_ptr 0
		.amdhsa_user_sgpr_queue_ptr 0
		.amdhsa_user_sgpr_kernarg_segment_ptr 1
		.amdhsa_user_sgpr_dispatch_id 0
		.amdhsa_user_sgpr_flat_scratch_init 0
		.amdhsa_user_sgpr_private_segment_size 0
		.amdhsa_wavefront_size32 1
		.amdhsa_uses_dynamic_stack 0
		.amdhsa_system_sgpr_private_segment_wavefront_offset 0
		.amdhsa_system_sgpr_workgroup_id_x 1
		.amdhsa_system_sgpr_workgroup_id_y 1
		.amdhsa_system_sgpr_workgroup_id_z 0
		.amdhsa_system_sgpr_workgroup_info 0
		.amdhsa_system_vgpr_workitem_id 1
		.amdhsa_next_free_vgpr 62
		.amdhsa_next_free_sgpr 13
		.amdhsa_reserve_vcc 1
		.amdhsa_reserve_flat_scratch 0
		.amdhsa_float_round_mode_32 0
		.amdhsa_float_round_mode_16_64 0
		.amdhsa_float_denorm_mode_32 3
		.amdhsa_float_denorm_mode_16_64 3
		.amdhsa_dx10_clamp 1
		.amdhsa_ieee_mode 1
		.amdhsa_fp16_overflow 0
		.amdhsa_workgroup_processor_mode 1
		.amdhsa_memory_ordered 1
		.amdhsa_forward_progress 1
		.amdhsa_shared_vgpr_count 0
		.amdhsa_exception_fp_ieee_invalid_op 0
		.amdhsa_exception_fp_denorm_src 0
		.amdhsa_exception_fp_ieee_div_zero 0
		.amdhsa_exception_fp_ieee_overflow 0
		.amdhsa_exception_fp_ieee_underflow 0
		.amdhsa_exception_fp_ieee_inexact 0
		.amdhsa_exception_int_div_zero 0
	.end_amdhsa_kernel
	.section	.text._ZL13mul_mat_vec_qIN3c104HalfELi256ELi8E13block_iq3_xxsLi1EXadL_ZL20vec_dot_iq3_xxs_q8_1PKvPK10block_q8_1RKiEEEvS4_S4_PT_iii,"axG",@progbits,_ZL13mul_mat_vec_qIN3c104HalfELi256ELi8E13block_iq3_xxsLi1EXadL_ZL20vec_dot_iq3_xxs_q8_1PKvPK10block_q8_1RKiEEEvS4_S4_PT_iii,comdat
.Lfunc_end90:
	.size	_ZL13mul_mat_vec_qIN3c104HalfELi256ELi8E13block_iq3_xxsLi1EXadL_ZL20vec_dot_iq3_xxs_q8_1PKvPK10block_q8_1RKiEEEvS4_S4_PT_iii, .Lfunc_end90-_ZL13mul_mat_vec_qIN3c104HalfELi256ELi8E13block_iq3_xxsLi1EXadL_ZL20vec_dot_iq3_xxs_q8_1PKvPK10block_q8_1RKiEEEvS4_S4_PT_iii
                                        ; -- End function
	.set _ZL13mul_mat_vec_qIN3c104HalfELi256ELi8E13block_iq3_xxsLi1EXadL_ZL20vec_dot_iq3_xxs_q8_1PKvPK10block_q8_1RKiEEEvS4_S4_PT_iii.num_vgpr, 62
	.set _ZL13mul_mat_vec_qIN3c104HalfELi256ELi8E13block_iq3_xxsLi1EXadL_ZL20vec_dot_iq3_xxs_q8_1PKvPK10block_q8_1RKiEEEvS4_S4_PT_iii.num_agpr, 0
	.set _ZL13mul_mat_vec_qIN3c104HalfELi256ELi8E13block_iq3_xxsLi1EXadL_ZL20vec_dot_iq3_xxs_q8_1PKvPK10block_q8_1RKiEEEvS4_S4_PT_iii.numbered_sgpr, 13
	.set _ZL13mul_mat_vec_qIN3c104HalfELi256ELi8E13block_iq3_xxsLi1EXadL_ZL20vec_dot_iq3_xxs_q8_1PKvPK10block_q8_1RKiEEEvS4_S4_PT_iii.num_named_barrier, 0
	.set _ZL13mul_mat_vec_qIN3c104HalfELi256ELi8E13block_iq3_xxsLi1EXadL_ZL20vec_dot_iq3_xxs_q8_1PKvPK10block_q8_1RKiEEEvS4_S4_PT_iii.private_seg_size, 0
	.set _ZL13mul_mat_vec_qIN3c104HalfELi256ELi8E13block_iq3_xxsLi1EXadL_ZL20vec_dot_iq3_xxs_q8_1PKvPK10block_q8_1RKiEEEvS4_S4_PT_iii.uses_vcc, 1
	.set _ZL13mul_mat_vec_qIN3c104HalfELi256ELi8E13block_iq3_xxsLi1EXadL_ZL20vec_dot_iq3_xxs_q8_1PKvPK10block_q8_1RKiEEEvS4_S4_PT_iii.uses_flat_scratch, 0
	.set _ZL13mul_mat_vec_qIN3c104HalfELi256ELi8E13block_iq3_xxsLi1EXadL_ZL20vec_dot_iq3_xxs_q8_1PKvPK10block_q8_1RKiEEEvS4_S4_PT_iii.has_dyn_sized_stack, 0
	.set _ZL13mul_mat_vec_qIN3c104HalfELi256ELi8E13block_iq3_xxsLi1EXadL_ZL20vec_dot_iq3_xxs_q8_1PKvPK10block_q8_1RKiEEEvS4_S4_PT_iii.has_recursion, 0
	.set _ZL13mul_mat_vec_qIN3c104HalfELi256ELi8E13block_iq3_xxsLi1EXadL_ZL20vec_dot_iq3_xxs_q8_1PKvPK10block_q8_1RKiEEEvS4_S4_PT_iii.has_indirect_call, 0
	.section	.AMDGPU.csdata,"",@progbits
; Kernel info:
; codeLenInByte = 1592
; TotalNumSgprs: 15
; NumVgprs: 62
; ScratchSize: 0
; MemoryBound: 0
; FloatMode: 240
; IeeeMode: 1
; LDSByteSize: 0 bytes/workgroup (compile time only)
; SGPRBlocks: 0
; VGPRBlocks: 7
; NumSGPRsForWavesPerEU: 15
; NumVGPRsForWavesPerEU: 62
; Occupancy: 16
; WaveLimiterHint : 0
; COMPUTE_PGM_RSRC2:SCRATCH_EN: 0
; COMPUTE_PGM_RSRC2:USER_SGPR: 6
; COMPUTE_PGM_RSRC2:TRAP_HANDLER: 0
; COMPUTE_PGM_RSRC2:TGID_X_EN: 1
; COMPUTE_PGM_RSRC2:TGID_Y_EN: 1
; COMPUTE_PGM_RSRC2:TGID_Z_EN: 0
; COMPUTE_PGM_RSRC2:TIDIG_COMP_CNT: 1
	.section	.text._ZL13mul_mat_vec_qIN3c104HalfELi256ELi8E11block_iq1_sLi1EXadL_ZL18vec_dot_iq1_s_q8_1PKvPK10block_q8_1RKiEEEvS4_S4_PT_iii,"axG",@progbits,_ZL13mul_mat_vec_qIN3c104HalfELi256ELi8E11block_iq1_sLi1EXadL_ZL18vec_dot_iq1_s_q8_1PKvPK10block_q8_1RKiEEEvS4_S4_PT_iii,comdat
	.globl	_ZL13mul_mat_vec_qIN3c104HalfELi256ELi8E11block_iq1_sLi1EXadL_ZL18vec_dot_iq1_s_q8_1PKvPK10block_q8_1RKiEEEvS4_S4_PT_iii ; -- Begin function _ZL13mul_mat_vec_qIN3c104HalfELi256ELi8E11block_iq1_sLi1EXadL_ZL18vec_dot_iq1_s_q8_1PKvPK10block_q8_1RKiEEEvS4_S4_PT_iii
	.p2align	8
	.type	_ZL13mul_mat_vec_qIN3c104HalfELi256ELi8E11block_iq1_sLi1EXadL_ZL18vec_dot_iq1_s_q8_1PKvPK10block_q8_1RKiEEEvS4_S4_PT_iii,@function
_ZL13mul_mat_vec_qIN3c104HalfELi256ELi8E11block_iq1_sLi1EXadL_ZL18vec_dot_iq1_s_q8_1PKvPK10block_q8_1RKiEEEvS4_S4_PT_iii: ; @_ZL13mul_mat_vec_qIN3c104HalfELi256ELi8E11block_iq1_sLi1EXadL_ZL18vec_dot_iq1_s_q8_1PKvPK10block_q8_1RKiEEEvS4_S4_PT_iii
; %bb.0:
	s_clause 0x1
	s_load_dword s8, s[4:5], 0x34
	s_load_dwordx4 s[0:3], s[4:5], 0x18
	s_waitcnt lgkmcnt(0)
	s_lshr_b32 s3, s8, 16
	s_cmp_lt_u32 s7, s2
	v_mad_u64_u32 v[1:2], null, s6, s3, v[1:2]
	s_cselect_b32 s2, -1, 0
	v_cmp_gt_u32_e32 vcc_lo, s1, v1
	s_and_b32 s2, s2, vcc_lo
	s_and_saveexec_b32 s3, s2
	s_cbranch_execz .LBB91_7
; %bb.1:
	s_load_dwordx2 s[2:3], s[4:5], 0x10
	s_ashr_i32 s6, s0, 31
	v_lshrrev_b32_e32 v4, 3, v0
	s_lshr_b32 s6, s6, 24
	v_mov_b32_e32 v5, 0
	s_add_i32 s6, s0, s6
	s_ashr_i32 s12, s6, 8
	s_mov_b32 s6, exec_lo
	v_cmpx_gt_u32_e64 s12, v4
	s_cbranch_execz .LBB91_5
; %bb.2:
	s_load_dwordx4 s[8:11], s[4:5], 0x0
	s_addk_i32 s0, 0x1ff
	v_and_b32_e32 v9, 7, v0
	s_ashr_i32 s4, s0, 31
	v_lshlrev_b32_e32 v7, 3, v4
	s_lshr_b32 s4, s4, 23
	v_mul_lo_u32 v6, v1, s12
	s_add_i32 s0, s0, s4
	v_lshlrev_b32_e32 v8, 1, v9
	s_ashr_i32 s0, s0, 9
	v_mov_b32_e32 v5, 0
	s_mul_i32 s0, s7, s0
	s_mov_b32 s4, 0xb7000000
	v_lshl_add_u32 v7, s0, 4, v7
	v_lshlrev_b32_e32 v8, 1, v8
	s_mov_b32 s0, 0
	s_waitcnt lgkmcnt(0)
	v_mad_u64_u32 v[2:3], null, v9, 36, s[10:11]
	v_lshlrev_b32_e32 v9, 1, v9
.LBB91_3:                               ; =>This Inner Loop Header: Depth=1
	v_add_nc_u32_e32 v10, v6, v4
	v_mad_i64_i32 v[18:19], null, v7, 36, v[2:3]
	s_getpc_b64 s[10:11]
	s_add_u32 s10, s10, _ZL13iq1s_grid_gpu@rel32@lo+4
	s_addc_u32 s11, s11, _ZL13iq1s_grid_gpu@rel32@hi+12
	v_add_nc_u32_e32 v4, 4, v4
	v_mad_i64_i32 v[10:11], null, v10, 50, s[8:9]
	v_add_nc_u32_e32 v7, 32, v7
	v_add_co_u32 v12, vcc_lo, v10, v8
	v_add_co_ci_u32_e64 v13, null, 0, v11, vcc_lo
	v_add_co_u32 v14, vcc_lo, v10, v9
	v_add_co_ci_u32_e64 v15, null, 0, v11, vcc_lo
	s_clause 0x2
	global_load_dword v16, v[12:13], off offset:2
	global_load_ushort v20, v[14:15], off offset:34
	global_load_ushort v21, v[10:11], off
	v_cmp_le_u32_e32 vcc_lo, s12, v4
	s_or_b32 s0, vcc_lo, s0
	s_waitcnt vmcnt(2)
	v_and_b32_e32 v10, 0xff, v16
	s_waitcnt vmcnt(1)
	v_lshlrev_b32_e32 v11, 8, v20
	v_bfe_u32 v14, v16, 8, 8
	v_lshlrev_b32_e32 v15, 5, v20
	v_lshrrev_b32_e32 v24, 24, v16
	v_lshrrev_b32_e32 v25, 1, v20
	v_and_or_b32 v10, 0x700, v11, v10
	v_and_or_b32 v14, 0x700, v15, v14
	v_bfe_u32 v15, v16, 16, 8
	v_and_or_b32 v24, 0x700, v25, v24
	v_lshlrev_b32_e32 v17, 3, v10
	global_load_dwordx4 v[10:13], v[18:19], off
	v_lshlrev_b32_e32 v14, 3, v14
	v_lshlrev_b32_e32 v24, 3, v24
	s_clause 0x1
	global_load_dword v22, v17, s[10:11]
	global_load_dword v23, v14, s[10:11]
	v_lshlrev_b32_e32 v17, 2, v20
	v_and_or_b32 v15, 0x700, v17, v15
	v_lshlrev_b32_e32 v26, 3, v15
	global_load_dwordx4 v[14:17], v[18:19], off offset:16
	s_clause 0x1
	global_load_dword v25, v26, s[10:11]
	global_load_dword v24, v24, s[10:11]
	global_load_dword v18, v[18:19], off offset:32
	v_mov_b32_e32 v19, 0
	s_waitcnt vmcnt(5)
	v_lshrrev_b32_e32 v26, 4, v22
	v_and_b32_e32 v22, 0xf0f0f0f, v22
	v_and_b32_e32 v26, 0xf0f0f0f, v26
	v_dot4c_i32_i8 v19, v22, v11
	s_waitcnt vmcnt(4)
	v_and_b32_e32 v11, 0xf0f0f0f, v23
	v_lshrrev_b32_e32 v22, 4, v23
	v_dot4c_i32_i8 v19, v26, v12
	v_and_b32_e32 v12, 0xf0f0f0f, v22
	v_dot4c_i32_i8 v19, v11, v13
	s_waitcnt vmcnt(2)
	v_and_b32_e32 v11, 0xf0f0f0f, v25
	v_lshrrev_b32_e32 v13, 4, v25
	v_dot4c_i32_i8 v19, v12, v14
	s_waitcnt vmcnt(1)
	v_lshrrev_b32_e32 v14, 4, v24
	v_and_b32_e32 v12, 0xf0f0f0f, v13
	v_and_b32_e32 v13, 0xf0f0f0f, v24
	v_dot4c_i32_i8 v19, v11, v15
	v_and_b32_e32 v11, 0x8000, v20
	v_and_b32_e32 v14, 0xf0f0f0f, v14
	v_dot4c_i32_i8 v19, v12, v16
	v_lshrrev_b32_e32 v12, 11, v20
	v_cvt_f32_u32_e32 v11, v11
	v_dot4c_i32_i8 v19, v13, v17
	v_cvt_f32_f16_sdwa v13, v10 dst_sel:DWORD dst_unused:UNUSED_PAD src0_sel:WORD_1
	v_and_or_b32 v12, v12, 14, 1
	v_fmaak_f32 v11, s4, v11, 0xbf600000
	s_waitcnt vmcnt(0)
	v_dot4c_i32_i8 v19, v14, v18
	v_cvt_f32_f16_e32 v14, v21
	v_cvt_f32_ubyte0_e32 v12, v12
	v_mul_f32_e32 v11, v11, v13
	v_cvt_f32_i32_e32 v13, v19
	v_mul_f32_e32 v12, v12, v14
	v_fma_mix_f32 v10, v13, v10, v11 op_sel_hi:[0,1,0]
	v_fmac_f32_e32 v5, v12, v10
	s_andn2_b32 exec_lo, exec_lo, s0
	s_cbranch_execnz .LBB91_3
; %bb.4:
	s_or_b32 exec_lo, exec_lo, s0
.LBB91_5:
	s_or_b32 exec_lo, exec_lo, s6
	v_mbcnt_lo_u32_b32 v2, -1, 0
	v_xor_b32_e32 v3, 16, v2
	v_xor_b32_e32 v4, 8, v2
	v_cmp_gt_i32_e32 vcc_lo, 32, v3
	v_cndmask_b32_e32 v3, v2, v3, vcc_lo
	v_cmp_gt_i32_e32 vcc_lo, 32, v4
	v_lshlrev_b32_e32 v3, 2, v3
	v_cndmask_b32_e32 v4, v2, v4, vcc_lo
	ds_bpermute_b32 v3, v3, v5
	v_lshlrev_b32_e32 v4, 2, v4
	s_waitcnt lgkmcnt(0)
	v_add_f32_e32 v3, v5, v3
	v_xor_b32_e32 v5, 4, v2
	ds_bpermute_b32 v4, v4, v3
	v_cmp_gt_i32_e32 vcc_lo, 32, v5
	v_cndmask_b32_e32 v5, v2, v5, vcc_lo
	v_lshlrev_b32_e32 v5, 2, v5
	s_waitcnt lgkmcnt(0)
	v_add_f32_e32 v3, v3, v4
	ds_bpermute_b32 v4, v5, v3
	v_xor_b32_e32 v5, 2, v2
	v_cmp_gt_i32_e32 vcc_lo, 32, v5
	v_cndmask_b32_e32 v5, v2, v5, vcc_lo
	v_lshlrev_b32_e32 v5, 2, v5
	s_waitcnt lgkmcnt(0)
	v_add_f32_e32 v3, v3, v4
	ds_bpermute_b32 v4, v5, v3
	v_xor_b32_e32 v5, 1, v2
	v_cmp_gt_i32_e32 vcc_lo, 32, v5
	v_cndmask_b32_e32 v5, v2, v5, vcc_lo
	v_cmp_eq_u32_e32 vcc_lo, 0, v0
	s_waitcnt lgkmcnt(0)
	v_add_f32_e32 v2, v3, v4
	v_lshlrev_b32_e32 v3, 2, v5
	ds_bpermute_b32 v3, v3, v2
	s_and_b32 exec_lo, exec_lo, vcc_lo
	s_cbranch_execz .LBB91_7
; %bb.6:
	v_mad_u64_u32 v[0:1], null, s1, s7, v[1:2]
	v_mov_b32_e32 v1, 0
	s_waitcnt lgkmcnt(0)
	v_add_f32_e32 v2, v2, v3
	v_cvt_f16_f32_e32 v2, v2
	v_lshlrev_b64 v[0:1], 1, v[0:1]
	v_add_co_u32 v0, vcc_lo, s2, v0
	v_add_co_ci_u32_e64 v1, null, s3, v1, vcc_lo
	global_store_short v[0:1], v2, off
.LBB91_7:
	s_endpgm
	.section	.rodata,"a",@progbits
	.p2align	6, 0x0
	.amdhsa_kernel _ZL13mul_mat_vec_qIN3c104HalfELi256ELi8E11block_iq1_sLi1EXadL_ZL18vec_dot_iq1_s_q8_1PKvPK10block_q8_1RKiEEEvS4_S4_PT_iii
		.amdhsa_group_segment_fixed_size 0
		.amdhsa_private_segment_fixed_size 0
		.amdhsa_kernarg_size 296
		.amdhsa_user_sgpr_count 6
		.amdhsa_user_sgpr_private_segment_buffer 1
		.amdhsa_user_sgpr_dispatch_ptr 0
		.amdhsa_user_sgpr_queue_ptr 0
		.amdhsa_user_sgpr_kernarg_segment_ptr 1
		.amdhsa_user_sgpr_dispatch_id 0
		.amdhsa_user_sgpr_flat_scratch_init 0
		.amdhsa_user_sgpr_private_segment_size 0
		.amdhsa_wavefront_size32 1
		.amdhsa_uses_dynamic_stack 0
		.amdhsa_system_sgpr_private_segment_wavefront_offset 0
		.amdhsa_system_sgpr_workgroup_id_x 1
		.amdhsa_system_sgpr_workgroup_id_y 1
		.amdhsa_system_sgpr_workgroup_id_z 0
		.amdhsa_system_sgpr_workgroup_info 0
		.amdhsa_system_vgpr_workitem_id 1
		.amdhsa_next_free_vgpr 27
		.amdhsa_next_free_sgpr 13
		.amdhsa_reserve_vcc 1
		.amdhsa_reserve_flat_scratch 0
		.amdhsa_float_round_mode_32 0
		.amdhsa_float_round_mode_16_64 0
		.amdhsa_float_denorm_mode_32 3
		.amdhsa_float_denorm_mode_16_64 3
		.amdhsa_dx10_clamp 1
		.amdhsa_ieee_mode 1
		.amdhsa_fp16_overflow 0
		.amdhsa_workgroup_processor_mode 1
		.amdhsa_memory_ordered 1
		.amdhsa_forward_progress 1
		.amdhsa_shared_vgpr_count 0
		.amdhsa_exception_fp_ieee_invalid_op 0
		.amdhsa_exception_fp_denorm_src 0
		.amdhsa_exception_fp_ieee_div_zero 0
		.amdhsa_exception_fp_ieee_overflow 0
		.amdhsa_exception_fp_ieee_underflow 0
		.amdhsa_exception_fp_ieee_inexact 0
		.amdhsa_exception_int_div_zero 0
	.end_amdhsa_kernel
	.section	.text._ZL13mul_mat_vec_qIN3c104HalfELi256ELi8E11block_iq1_sLi1EXadL_ZL18vec_dot_iq1_s_q8_1PKvPK10block_q8_1RKiEEEvS4_S4_PT_iii,"axG",@progbits,_ZL13mul_mat_vec_qIN3c104HalfELi256ELi8E11block_iq1_sLi1EXadL_ZL18vec_dot_iq1_s_q8_1PKvPK10block_q8_1RKiEEEvS4_S4_PT_iii,comdat
.Lfunc_end91:
	.size	_ZL13mul_mat_vec_qIN3c104HalfELi256ELi8E11block_iq1_sLi1EXadL_ZL18vec_dot_iq1_s_q8_1PKvPK10block_q8_1RKiEEEvS4_S4_PT_iii, .Lfunc_end91-_ZL13mul_mat_vec_qIN3c104HalfELi256ELi8E11block_iq1_sLi1EXadL_ZL18vec_dot_iq1_s_q8_1PKvPK10block_q8_1RKiEEEvS4_S4_PT_iii
                                        ; -- End function
	.set _ZL13mul_mat_vec_qIN3c104HalfELi256ELi8E11block_iq1_sLi1EXadL_ZL18vec_dot_iq1_s_q8_1PKvPK10block_q8_1RKiEEEvS4_S4_PT_iii.num_vgpr, 27
	.set _ZL13mul_mat_vec_qIN3c104HalfELi256ELi8E11block_iq1_sLi1EXadL_ZL18vec_dot_iq1_s_q8_1PKvPK10block_q8_1RKiEEEvS4_S4_PT_iii.num_agpr, 0
	.set _ZL13mul_mat_vec_qIN3c104HalfELi256ELi8E11block_iq1_sLi1EXadL_ZL18vec_dot_iq1_s_q8_1PKvPK10block_q8_1RKiEEEvS4_S4_PT_iii.numbered_sgpr, 13
	.set _ZL13mul_mat_vec_qIN3c104HalfELi256ELi8E11block_iq1_sLi1EXadL_ZL18vec_dot_iq1_s_q8_1PKvPK10block_q8_1RKiEEEvS4_S4_PT_iii.num_named_barrier, 0
	.set _ZL13mul_mat_vec_qIN3c104HalfELi256ELi8E11block_iq1_sLi1EXadL_ZL18vec_dot_iq1_s_q8_1PKvPK10block_q8_1RKiEEEvS4_S4_PT_iii.private_seg_size, 0
	.set _ZL13mul_mat_vec_qIN3c104HalfELi256ELi8E11block_iq1_sLi1EXadL_ZL18vec_dot_iq1_s_q8_1PKvPK10block_q8_1RKiEEEvS4_S4_PT_iii.uses_vcc, 1
	.set _ZL13mul_mat_vec_qIN3c104HalfELi256ELi8E11block_iq1_sLi1EXadL_ZL18vec_dot_iq1_s_q8_1PKvPK10block_q8_1RKiEEEvS4_S4_PT_iii.uses_flat_scratch, 0
	.set _ZL13mul_mat_vec_qIN3c104HalfELi256ELi8E11block_iq1_sLi1EXadL_ZL18vec_dot_iq1_s_q8_1PKvPK10block_q8_1RKiEEEvS4_S4_PT_iii.has_dyn_sized_stack, 0
	.set _ZL13mul_mat_vec_qIN3c104HalfELi256ELi8E11block_iq1_sLi1EXadL_ZL18vec_dot_iq1_s_q8_1PKvPK10block_q8_1RKiEEEvS4_S4_PT_iii.has_recursion, 0
	.set _ZL13mul_mat_vec_qIN3c104HalfELi256ELi8E11block_iq1_sLi1EXadL_ZL18vec_dot_iq1_s_q8_1PKvPK10block_q8_1RKiEEEvS4_S4_PT_iii.has_indirect_call, 0
	.section	.AMDGPU.csdata,"",@progbits
; Kernel info:
; codeLenInByte = 956
; TotalNumSgprs: 15
; NumVgprs: 27
; ScratchSize: 0
; MemoryBound: 0
; FloatMode: 240
; IeeeMode: 1
; LDSByteSize: 0 bytes/workgroup (compile time only)
; SGPRBlocks: 0
; VGPRBlocks: 3
; NumSGPRsForWavesPerEU: 15
; NumVGPRsForWavesPerEU: 27
; Occupancy: 16
; WaveLimiterHint : 0
; COMPUTE_PGM_RSRC2:SCRATCH_EN: 0
; COMPUTE_PGM_RSRC2:USER_SGPR: 6
; COMPUTE_PGM_RSRC2:TRAP_HANDLER: 0
; COMPUTE_PGM_RSRC2:TGID_X_EN: 1
; COMPUTE_PGM_RSRC2:TGID_Y_EN: 1
; COMPUTE_PGM_RSRC2:TGID_Z_EN: 0
; COMPUTE_PGM_RSRC2:TIDIG_COMP_CNT: 1
	.section	.text._ZL13mul_mat_vec_qIN3c104HalfELi32ELi4E12block_iq4_nlLi2EXadL_ZL19vec_dot_iq4_nl_q8_1PKvPK10block_q8_1RKiEEEvS4_S4_PT_iii,"axG",@progbits,_ZL13mul_mat_vec_qIN3c104HalfELi32ELi4E12block_iq4_nlLi2EXadL_ZL19vec_dot_iq4_nl_q8_1PKvPK10block_q8_1RKiEEEvS4_S4_PT_iii,comdat
	.globl	_ZL13mul_mat_vec_qIN3c104HalfELi32ELi4E12block_iq4_nlLi2EXadL_ZL19vec_dot_iq4_nl_q8_1PKvPK10block_q8_1RKiEEEvS4_S4_PT_iii ; -- Begin function _ZL13mul_mat_vec_qIN3c104HalfELi32ELi4E12block_iq4_nlLi2EXadL_ZL19vec_dot_iq4_nl_q8_1PKvPK10block_q8_1RKiEEEvS4_S4_PT_iii
	.p2align	8
	.type	_ZL13mul_mat_vec_qIN3c104HalfELi32ELi4E12block_iq4_nlLi2EXadL_ZL19vec_dot_iq4_nl_q8_1PKvPK10block_q8_1RKiEEEvS4_S4_PT_iii,@function
_ZL13mul_mat_vec_qIN3c104HalfELi32ELi4E12block_iq4_nlLi2EXadL_ZL19vec_dot_iq4_nl_q8_1PKvPK10block_q8_1RKiEEEvS4_S4_PT_iii: ; @_ZL13mul_mat_vec_qIN3c104HalfELi32ELi4E12block_iq4_nlLi2EXadL_ZL19vec_dot_iq4_nl_q8_1PKvPK10block_q8_1RKiEEEvS4_S4_PT_iii
; %bb.0:
	s_clause 0x1
	s_load_dword s8, s[4:5], 0x34
	s_load_dwordx4 s[0:3], s[4:5], 0x18
	s_waitcnt lgkmcnt(0)
	s_lshr_b32 s3, s8, 16
	s_cmp_lt_u32 s7, s2
	v_mad_u64_u32 v[1:2], null, s6, s3, v[1:2]
	s_cselect_b32 s2, -1, 0
	v_cmp_gt_u32_e32 vcc_lo, s1, v1
	s_and_b32 s2, s2, vcc_lo
	s_and_saveexec_b32 s3, s2
	s_cbranch_execz .LBB92_7
; %bb.1:
	s_load_dwordx2 s[2:3], s[4:5], 0x10
	s_ashr_i32 s6, s0, 31
	v_lshrrev_b32_e32 v2, 1, v0
	s_lshr_b32 s6, s6, 27
	v_mov_b32_e32 v3, 0
	s_add_i32 s6, s0, s6
	s_ashr_i32 s12, s6, 5
	s_mov_b32 s6, exec_lo
	v_cmpx_gt_u32_e64 s12, v2
	s_cbranch_execz .LBB92_5
; %bb.2:
	v_lshlrev_b32_e32 v3, 1, v0
	s_load_dwordx4 s[8:11], s[4:5], 0x0
	s_addk_i32 s0, 0x1ff
	v_mul_lo_u32 v4, v1, s12
	s_ashr_i32 s4, s0, 31
	v_and_b32_e32 v6, 2, v3
	s_lshr_b32 s4, s4, 23
	v_mov_b32_e32 v3, 0
	s_add_i32 s0, s0, s4
	s_ashr_i32 s0, s0, 9
	v_lshlrev_b32_e32 v5, 1, v6
	v_lshlrev_b32_e32 v6, 2, v6
	s_mul_i32 s0, s7, s0
	s_lshl_b32 s4, s0, 4
	v_lshlrev_b32_e32 v5, 1, v5
	s_mov_b32 s0, 0
	s_getpc_b64 s[14:15]
	s_add_u32 s14, s14, _ZL13kvalues_iq4nl@rel32@lo+4
	s_addc_u32 s15, s15, _ZL13kvalues_iq4nl@rel32@hi+12
.LBB92_3:                               ; =>This Inner Loop Header: Depth=1
	v_add_nc_u32_e32 v7, v4, v2
	v_add_nc_u32_e32 v11, s4, v2
	;; [unrolled: 1-line block ×3, first 2 shown]
	s_waitcnt lgkmcnt(0)
	v_mad_i64_i32 v[7:8], null, v7, 18, s[8:9]
	v_mad_i64_i32 v[11:12], null, v11, 36, s[10:11]
	v_add_co_u32 v9, vcc_lo, v7, v5
	v_add_co_ci_u32_e64 v10, null, 0, v8, vcc_lo
	v_add_co_u32 v13, vcc_lo, v11, v6
	v_add_co_ci_u32_e64 v14, null, 0, v12, vcc_lo
	global_load_dwordx2 v[9:10], v[9:10], off offset:2
	v_cmp_le_u32_e32 vcc_lo, s12, v2
	s_or_b32 s0, vcc_lo, s0
	s_waitcnt vmcnt(0)
	v_and_b32_e32 v16, 15, v9
	v_bfe_u32 v17, v9, 8, 4
	v_bfe_u32 v18, v9, 16, 4
	;; [unrolled: 1-line block ×5, first 2 shown]
	v_lshrrev_b32_e32 v21, 28, v9
	v_bfe_u32 v9, v9, 4, 4
	v_bfe_u32 v22, v10, 24, 4
	v_and_b32_e32 v23, 15, v10
	v_bfe_u32 v24, v10, 8, 4
	v_bfe_u32 v25, v10, 16, 4
	;; [unrolled: 1-line block ×4, first 2 shown]
	v_lshrrev_b32_e32 v28, 28, v10
	v_bfe_u32 v10, v10, 4, 4
	s_clause 0xf
	global_load_ubyte v16, v16, s[14:15]
	global_load_ubyte v17, v17, s[14:15]
	;; [unrolled: 1-line block ×16, first 2 shown]
	s_clause 0x1
	global_load_dwordx2 v[9:10], v[13:14], off offset:4
	global_load_dwordx2 v[13:14], v[13:14], off offset:20
	global_load_ushort v7, v[7:8], off
	global_load_dword v8, v[11:12], off
	v_mov_b32_e32 v11, 0
	v_mov_b32_e32 v12, 0
	s_waitcnt vmcnt(18)
	v_lshl_or_b32 v16, v17, 8, v16
	s_waitcnt vmcnt(17)
	v_lshlrev_b32_e32 v18, 16, v18
	s_waitcnt vmcnt(15)
	v_lshl_or_b32 v19, v19, 8, v29
	s_waitcnt vmcnt(14)
	v_lshlrev_b32_e32 v20, 16, v20
	s_waitcnt vmcnt(13)
	v_lshlrev_b32_e32 v17, 24, v21
	s_waitcnt vmcnt(12)
	v_lshlrev_b32_e32 v15, 24, v15
	v_or3_b32 v15, v16, v18, v15
	s_waitcnt vmcnt(6)
	v_lshlrev_b32_e32 v21, 24, v22
	v_lshlrev_b32_e32 v22, 16, v25
	s_waitcnt vmcnt(5)
	v_lshl_or_b32 v23, v24, 8, v23
	v_lshlrev_b32_e32 v24, 24, v28
	v_lshlrev_b32_e32 v25, 16, v27
	s_waitcnt vmcnt(4)
	v_lshl_or_b32 v26, v26, 8, v30
	v_or3_b32 v16, v19, v20, v17
	v_or3_b32 v17, v23, v22, v21
	s_waitcnt vmcnt(3)
	v_dot4c_i32_i8 v11, v15, v9
	s_waitcnt vmcnt(1)
	v_cvt_f32_f16_e32 v7, v7
	v_or3_b32 v18, v26, v25, v24
	v_dot4c_i32_i8 v12, v16, v13
	s_waitcnt vmcnt(0)
	v_cvt_f32_f16_e32 v8, v8
	v_dot4c_i32_i8 v11, v17, v10
	v_dot4c_i32_i8 v12, v18, v14
	v_mul_f32_e32 v7, v7, v8
	v_add_nc_u32_e32 v9, v12, v11
	v_cvt_f32_i32_e32 v8, v9
	v_fmac_f32_e32 v3, v7, v8
	s_andn2_b32 exec_lo, exec_lo, s0
	s_cbranch_execnz .LBB92_3
; %bb.4:
	s_or_b32 exec_lo, exec_lo, s0
.LBB92_5:
	s_or_b32 exec_lo, exec_lo, s6
	v_mbcnt_lo_u32_b32 v2, -1, 0
	v_xor_b32_e32 v4, 16, v2
	v_xor_b32_e32 v5, 8, v2
	v_cmp_gt_i32_e32 vcc_lo, 32, v4
	v_cndmask_b32_e32 v4, v2, v4, vcc_lo
	v_cmp_gt_i32_e32 vcc_lo, 32, v5
	v_lshlrev_b32_e32 v4, 2, v4
	v_cndmask_b32_e32 v5, v2, v5, vcc_lo
	ds_bpermute_b32 v4, v4, v3
	v_lshlrev_b32_e32 v5, 2, v5
	s_waitcnt lgkmcnt(0)
	v_add_f32_e32 v3, v3, v4
	ds_bpermute_b32 v4, v5, v3
	v_xor_b32_e32 v5, 4, v2
	v_cmp_gt_i32_e32 vcc_lo, 32, v5
	v_cndmask_b32_e32 v5, v2, v5, vcc_lo
	v_lshlrev_b32_e32 v5, 2, v5
	s_waitcnt lgkmcnt(0)
	v_add_f32_e32 v3, v3, v4
	ds_bpermute_b32 v4, v5, v3
	v_xor_b32_e32 v5, 2, v2
	v_cmp_gt_i32_e32 vcc_lo, 32, v5
	v_cndmask_b32_e32 v5, v2, v5, vcc_lo
	;; [unrolled: 7-line block ×3, first 2 shown]
	v_cmp_eq_u32_e32 vcc_lo, 0, v0
	s_waitcnt lgkmcnt(0)
	v_add_f32_e32 v2, v3, v4
	v_lshlrev_b32_e32 v3, 2, v5
	ds_bpermute_b32 v3, v3, v2
	s_and_b32 exec_lo, exec_lo, vcc_lo
	s_cbranch_execz .LBB92_7
; %bb.6:
	v_mad_u64_u32 v[0:1], null, s1, s7, v[1:2]
	v_mov_b32_e32 v1, 0
	s_waitcnt lgkmcnt(0)
	v_add_f32_e32 v2, v2, v3
	v_cvt_f16_f32_e32 v2, v2
	v_lshlrev_b64 v[0:1], 1, v[0:1]
	v_add_co_u32 v0, vcc_lo, s2, v0
	v_add_co_ci_u32_e64 v1, null, s3, v1, vcc_lo
	global_store_short v[0:1], v2, off
.LBB92_7:
	s_endpgm
	.section	.rodata,"a",@progbits
	.p2align	6, 0x0
	.amdhsa_kernel _ZL13mul_mat_vec_qIN3c104HalfELi32ELi4E12block_iq4_nlLi2EXadL_ZL19vec_dot_iq4_nl_q8_1PKvPK10block_q8_1RKiEEEvS4_S4_PT_iii
		.amdhsa_group_segment_fixed_size 0
		.amdhsa_private_segment_fixed_size 0
		.amdhsa_kernarg_size 296
		.amdhsa_user_sgpr_count 6
		.amdhsa_user_sgpr_private_segment_buffer 1
		.amdhsa_user_sgpr_dispatch_ptr 0
		.amdhsa_user_sgpr_queue_ptr 0
		.amdhsa_user_sgpr_kernarg_segment_ptr 1
		.amdhsa_user_sgpr_dispatch_id 0
		.amdhsa_user_sgpr_flat_scratch_init 0
		.amdhsa_user_sgpr_private_segment_size 0
		.amdhsa_wavefront_size32 1
		.amdhsa_uses_dynamic_stack 0
		.amdhsa_system_sgpr_private_segment_wavefront_offset 0
		.amdhsa_system_sgpr_workgroup_id_x 1
		.amdhsa_system_sgpr_workgroup_id_y 1
		.amdhsa_system_sgpr_workgroup_id_z 0
		.amdhsa_system_sgpr_workgroup_info 0
		.amdhsa_system_vgpr_workitem_id 1
		.amdhsa_next_free_vgpr 31
		.amdhsa_next_free_sgpr 16
		.amdhsa_reserve_vcc 1
		.amdhsa_reserve_flat_scratch 0
		.amdhsa_float_round_mode_32 0
		.amdhsa_float_round_mode_16_64 0
		.amdhsa_float_denorm_mode_32 3
		.amdhsa_float_denorm_mode_16_64 3
		.amdhsa_dx10_clamp 1
		.amdhsa_ieee_mode 1
		.amdhsa_fp16_overflow 0
		.amdhsa_workgroup_processor_mode 1
		.amdhsa_memory_ordered 1
		.amdhsa_forward_progress 1
		.amdhsa_shared_vgpr_count 0
		.amdhsa_exception_fp_ieee_invalid_op 0
		.amdhsa_exception_fp_denorm_src 0
		.amdhsa_exception_fp_ieee_div_zero 0
		.amdhsa_exception_fp_ieee_overflow 0
		.amdhsa_exception_fp_ieee_underflow 0
		.amdhsa_exception_fp_ieee_inexact 0
		.amdhsa_exception_int_div_zero 0
	.end_amdhsa_kernel
	.section	.text._ZL13mul_mat_vec_qIN3c104HalfELi32ELi4E12block_iq4_nlLi2EXadL_ZL19vec_dot_iq4_nl_q8_1PKvPK10block_q8_1RKiEEEvS4_S4_PT_iii,"axG",@progbits,_ZL13mul_mat_vec_qIN3c104HalfELi32ELi4E12block_iq4_nlLi2EXadL_ZL19vec_dot_iq4_nl_q8_1PKvPK10block_q8_1RKiEEEvS4_S4_PT_iii,comdat
.Lfunc_end92:
	.size	_ZL13mul_mat_vec_qIN3c104HalfELi32ELi4E12block_iq4_nlLi2EXadL_ZL19vec_dot_iq4_nl_q8_1PKvPK10block_q8_1RKiEEEvS4_S4_PT_iii, .Lfunc_end92-_ZL13mul_mat_vec_qIN3c104HalfELi32ELi4E12block_iq4_nlLi2EXadL_ZL19vec_dot_iq4_nl_q8_1PKvPK10block_q8_1RKiEEEvS4_S4_PT_iii
                                        ; -- End function
	.set _ZL13mul_mat_vec_qIN3c104HalfELi32ELi4E12block_iq4_nlLi2EXadL_ZL19vec_dot_iq4_nl_q8_1PKvPK10block_q8_1RKiEEEvS4_S4_PT_iii.num_vgpr, 31
	.set _ZL13mul_mat_vec_qIN3c104HalfELi32ELi4E12block_iq4_nlLi2EXadL_ZL19vec_dot_iq4_nl_q8_1PKvPK10block_q8_1RKiEEEvS4_S4_PT_iii.num_agpr, 0
	.set _ZL13mul_mat_vec_qIN3c104HalfELi32ELi4E12block_iq4_nlLi2EXadL_ZL19vec_dot_iq4_nl_q8_1PKvPK10block_q8_1RKiEEEvS4_S4_PT_iii.numbered_sgpr, 16
	.set _ZL13mul_mat_vec_qIN3c104HalfELi32ELi4E12block_iq4_nlLi2EXadL_ZL19vec_dot_iq4_nl_q8_1PKvPK10block_q8_1RKiEEEvS4_S4_PT_iii.num_named_barrier, 0
	.set _ZL13mul_mat_vec_qIN3c104HalfELi32ELi4E12block_iq4_nlLi2EXadL_ZL19vec_dot_iq4_nl_q8_1PKvPK10block_q8_1RKiEEEvS4_S4_PT_iii.private_seg_size, 0
	.set _ZL13mul_mat_vec_qIN3c104HalfELi32ELi4E12block_iq4_nlLi2EXadL_ZL19vec_dot_iq4_nl_q8_1PKvPK10block_q8_1RKiEEEvS4_S4_PT_iii.uses_vcc, 1
	.set _ZL13mul_mat_vec_qIN3c104HalfELi32ELi4E12block_iq4_nlLi2EXadL_ZL19vec_dot_iq4_nl_q8_1PKvPK10block_q8_1RKiEEEvS4_S4_PT_iii.uses_flat_scratch, 0
	.set _ZL13mul_mat_vec_qIN3c104HalfELi32ELi4E12block_iq4_nlLi2EXadL_ZL19vec_dot_iq4_nl_q8_1PKvPK10block_q8_1RKiEEEvS4_S4_PT_iii.has_dyn_sized_stack, 0
	.set _ZL13mul_mat_vec_qIN3c104HalfELi32ELi4E12block_iq4_nlLi2EXadL_ZL19vec_dot_iq4_nl_q8_1PKvPK10block_q8_1RKiEEEvS4_S4_PT_iii.has_recursion, 0
	.set _ZL13mul_mat_vec_qIN3c104HalfELi32ELi4E12block_iq4_nlLi2EXadL_ZL19vec_dot_iq4_nl_q8_1PKvPK10block_q8_1RKiEEEvS4_S4_PT_iii.has_indirect_call, 0
	.section	.AMDGPU.csdata,"",@progbits
; Kernel info:
; codeLenInByte = 1004
; TotalNumSgprs: 18
; NumVgprs: 31
; ScratchSize: 0
; MemoryBound: 0
; FloatMode: 240
; IeeeMode: 1
; LDSByteSize: 0 bytes/workgroup (compile time only)
; SGPRBlocks: 0
; VGPRBlocks: 3
; NumSGPRsForWavesPerEU: 18
; NumVGPRsForWavesPerEU: 31
; Occupancy: 16
; WaveLimiterHint : 0
; COMPUTE_PGM_RSRC2:SCRATCH_EN: 0
; COMPUTE_PGM_RSRC2:USER_SGPR: 6
; COMPUTE_PGM_RSRC2:TRAP_HANDLER: 0
; COMPUTE_PGM_RSRC2:TGID_X_EN: 1
; COMPUTE_PGM_RSRC2:TGID_Y_EN: 1
; COMPUTE_PGM_RSRC2:TGID_Z_EN: 0
; COMPUTE_PGM_RSRC2:TIDIG_COMP_CNT: 1
	.section	.text._ZL13mul_mat_vec_qIN3c104HalfELi256ELi8E11block_iq3_sLi1EXadL_ZL18vec_dot_iq3_s_q8_1PKvPK10block_q8_1RKiEEEvS4_S4_PT_iii,"axG",@progbits,_ZL13mul_mat_vec_qIN3c104HalfELi256ELi8E11block_iq3_sLi1EXadL_ZL18vec_dot_iq3_s_q8_1PKvPK10block_q8_1RKiEEEvS4_S4_PT_iii,comdat
	.globl	_ZL13mul_mat_vec_qIN3c104HalfELi256ELi8E11block_iq3_sLi1EXadL_ZL18vec_dot_iq3_s_q8_1PKvPK10block_q8_1RKiEEEvS4_S4_PT_iii ; -- Begin function _ZL13mul_mat_vec_qIN3c104HalfELi256ELi8E11block_iq3_sLi1EXadL_ZL18vec_dot_iq3_s_q8_1PKvPK10block_q8_1RKiEEEvS4_S4_PT_iii
	.p2align	8
	.type	_ZL13mul_mat_vec_qIN3c104HalfELi256ELi8E11block_iq3_sLi1EXadL_ZL18vec_dot_iq3_s_q8_1PKvPK10block_q8_1RKiEEEvS4_S4_PT_iii,@function
_ZL13mul_mat_vec_qIN3c104HalfELi256ELi8E11block_iq3_sLi1EXadL_ZL18vec_dot_iq3_s_q8_1PKvPK10block_q8_1RKiEEEvS4_S4_PT_iii: ; @_ZL13mul_mat_vec_qIN3c104HalfELi256ELi8E11block_iq3_sLi1EXadL_ZL18vec_dot_iq3_s_q8_1PKvPK10block_q8_1RKiEEEvS4_S4_PT_iii
; %bb.0:
	s_clause 0x1
	s_load_dword s8, s[4:5], 0x34
	s_load_dwordx4 s[0:3], s[4:5], 0x18
	s_waitcnt lgkmcnt(0)
	s_lshr_b32 s3, s8, 16
	s_cmp_lt_u32 s7, s2
	v_mad_u64_u32 v[1:2], null, s6, s3, v[1:2]
	s_cselect_b32 s2, -1, 0
	v_cmp_gt_u32_e32 vcc_lo, s1, v1
	s_and_b32 s2, s2, vcc_lo
	s_and_saveexec_b32 s3, s2
	s_cbranch_execz .LBB93_9
; %bb.1:
	s_load_dwordx2 s[2:3], s[4:5], 0x10
	s_ashr_i32 s6, s0, 31
	v_lshrrev_b32_e32 v19, 3, v0
	s_lshr_b32 s6, s6, 24
	v_mov_b32_e32 v18, 0
	s_add_i32 s6, s0, s6
	s_ashr_i32 s12, s6, 8
	s_mov_b32 s6, exec_lo
	v_cmpx_gt_u32_e64 s12, v19
	s_cbranch_execz .LBB93_7
; %bb.2:
	s_load_dwordx4 s[8:11], s[4:5], 0x0
	v_and_b32_e32 v21, 7, v0
	s_addk_i32 s0, 0x1ff
	v_mul_lo_u32 v20, v1, s12
	s_ashr_i32 s4, s0, 31
	v_lshlrev_b32_e32 v2, 2, v0
	v_lshlrev_b32_e32 v3, 2, v21
	;; [unrolled: 1-line block ×3, first 2 shown]
	s_lshr_b32 s4, s4, 23
	v_mov_b32_e32 v18, 0
	s_add_i32 s0, s0, s4
	v_and_b32_e32 v23, 4, v2
	s_ashr_i32 s0, s0, 9
	v_bfe_u32 v22, v0, 1, 2
	v_add_nc_u32_e32 v24, v19, v20
	v_mov_b32_e32 v25, 0xffff
	s_mul_i32 s0, s7, s0
	s_waitcnt lgkmcnt(0)
	v_add_co_u32 v4, s4, s8, v3
	v_add_co_ci_u32_e64 v5, null, s9, 0, s4
	v_add_co_u32 v6, s4, s8, v6
	v_add_co_ci_u32_e64 v7, null, s9, 0, s4
	v_add_co_u32 v4, vcc_lo, 0x4a, v4
	v_mad_u64_u32 v[2:3], null, v21, 36, s[10:11]
	v_add_co_ci_u32_e64 v5, null, 0, v5, vcc_lo
	v_add_co_u32 v6, vcc_lo, v6, 2
	v_add_co_ci_u32_e64 v7, null, 0, v7, vcc_lo
	s_lshl_b32 s4, s0, 4
	s_mov_b32 s0, 0
.LBB93_3:                               ; =>This Loop Header: Depth=1
                                        ;     Child Loop BB93_4 Depth 2
	v_add_nc_u32_e32 v8, v19, v20
	v_mad_i64_i32 v[12:13], null, 0x6e, v24, v[4:5]
	v_mad_i64_i32 v[14:15], null, 0x6e, v24, v[6:7]
	;; [unrolled: 1-line block ×3, first 2 shown]
	v_mov_b32_e32 v26, 0
	s_mov_b32 s5, 7
	v_add_co_u32 v10, vcc_lo, v8, v21
	v_add_co_ci_u32_e64 v11, null, 0, v9, vcc_lo
	global_load_ubyte v27, v[10:11], off offset:66
	v_lshl_add_u32 v10, v19, 3, s4
	v_mad_i64_i32 v[10:11], null, v10, 36, v[2:3]
	v_add_co_u32 v16, vcc_lo, v10, 4
	v_add_co_ci_u32_e64 v17, null, 0, v11, vcc_lo
.LBB93_4:                               ;   Parent Loop BB93_3 Depth=1
                                        ; =>  This Inner Loop Header: Depth=2
	global_load_ushort v28, v[14:15], off
	global_load_ubyte v30, v[12:13], off
	s_add_i32 s13, s5, 1
	s_waitcnt vmcnt(2)
	v_lshlrev_b32_e32 v29, s5, v27
	v_lshlrev_b32_e32 v31, s13, v27
	s_getpc_b64 s[10:11]
	s_add_u32 s10, s10, _ZL10iq3xs_grid@rel32@lo+4
	s_addc_u32 s11, s11, _ZL10iq3xs_grid@rel32@hi+12
	s_add_i32 s5, s5, -2
	s_cmp_lg_u32 s5, -1
	s_waitcnt vmcnt(1)
	v_and_b32_e32 v32, 0xff, v28
	v_and_b32_sdwa v28, v25, v28 dst_sel:DWORD dst_unused:UNUSED_PAD src0_sel:DWORD src1_sel:BYTE_1
	s_waitcnt vmcnt(0)
	v_and_b32_e32 v33, 15, v30
	v_lshrrev_b16 v30, 4, v30
	v_and_or_b32 v31, 0x100, v31, v32
	v_and_or_b32 v28, 0x100, v29, v28
	v_and_b32_e32 v33, 0xffff, v33
	v_and_b32_e32 v30, 0xffff, v30
	v_lshlrev_b32_e32 v29, 2, v31
	v_lshlrev_b32_e32 v28, 2, v28
	v_mul_lo_u32 v33, 0x1010101, v33
	v_mul_lo_u32 v30, 0x1010101, v30
	s_clause 0x1
	global_load_dword v31, v29, s[10:11]
	global_load_dword v32, v28, s[10:11]
	global_load_dwordx2 v[28:29], v[16:17], off
	v_add_co_u32 v16, vcc_lo, v16, 8
	v_add_co_ci_u32_e64 v17, null, 0, v17, vcc_lo
	v_not_b32_e32 v33, v33
	v_not_b32_e32 v30, v30
	v_and_b32_e32 v34, 0x8040201, v33
	v_and_b32_e32 v35, 0x40000, v33
	;; [unrolled: 1-line block ×5, first 2 shown]
	v_cmp_gt_u32_e32 vcc_lo, 0x1000000, v34
	v_and_b32_e32 v38, 0x40000, v30
	v_and_b32_e32 v39, 0x200, v30
	;; [unrolled: 1-line block ×3, first 2 shown]
	v_cndmask_b32_e64 v34, 0, -1, vcc_lo
	v_cmp_eq_u32_e32 vcc_lo, 0, v35
	v_lshlrev_b32_e32 v34, 24, v34
	v_cndmask_b32_e64 v35, 0, 0xff0000, vcc_lo
	v_cmp_eq_u32_e32 vcc_lo, 0, v36
	v_cndmask_b32_e64 v36, 0, 0xff00, vcc_lo
	v_cmp_eq_u32_e32 vcc_lo, 0, v33
	v_cndmask_b32_e64 v33, 0, 0xff, vcc_lo
	v_cmp_gt_u32_e32 vcc_lo, 0x1000000, v37
	v_or_b32_e32 v40, v36, v33
	v_cndmask_b32_e64 v37, 0, -1, vcc_lo
	v_cmp_eq_u32_e32 vcc_lo, 0, v38
	v_or3_b32 v40, v40, v35, v34
	v_lshlrev_b32_e32 v37, 24, v37
	v_cndmask_b32_e64 v38, 0, 0xff0000, vcc_lo
	v_cmp_eq_u32_e32 vcc_lo, 0, v39
	v_cndmask_b32_e64 v39, 0, 0xff00, vcc_lo
	v_cmp_eq_u32_e32 vcc_lo, 0, v30
	v_cndmask_b32_e64 v30, 0, 0xff, vcc_lo
	v_add_co_u32 v12, vcc_lo, v12, 1
	v_add_co_ci_u32_e64 v13, null, 0, v13, vcc_lo
	v_or_b32_e32 v41, v39, v30
	v_add_co_u32 v14, vcc_lo, v14, 2
	v_add_co_ci_u32_e64 v15, null, 0, v15, vcc_lo
	v_or3_b32 v41, v41, v38, v37
	s_waitcnt vmcnt(2)
	v_xor_b32_e32 v31, v40, v31
	s_waitcnt vmcnt(1)
	v_xor_b32_e32 v32, v41, v32
	v_sub_nc_u32_e32 v34, v31, v34
	v_sub_nc_u32_e32 v35, v31, v35
	;; [unrolled: 1-line block ×8, first 2 shown]
	v_and_b32_e32 v32, 0xff000000, v34
	v_and_b32_e32 v34, 0xff00, v36
	v_perm_b32 v31, v35, v31, 0xc060c00
	v_and_b32_e32 v33, 0xff000000, v33
	v_and_b32_e32 v35, 0xff00, v38
	v_perm_b32 v30, v37, v30, 0xc060c00
	v_or3_b32 v31, v31, v32, v34
	v_or3_b32 v30, v30, v33, v35
	s_waitcnt vmcnt(0)
	v_dot4c_i32_i8 v26, v31, v28
	v_dot4c_i32_i8 v26, v30, v29
	s_cbranch_scc1 .LBB93_4
; %bb.5:                                ;   in Loop: Header=BB93_3 Depth=1
	v_add_co_u32 v12, vcc_lo, v8, v22
	v_add_co_ci_u32_e64 v13, null, 0, v9, vcc_lo
	v_add_nc_u32_e32 v19, 4, v19
	v_add_nc_u32_e32 v24, 4, v24
	s_clause 0x1
	global_load_ubyte v12, v[12:13], off offset:106
	global_load_ushort v8, v[8:9], off
	global_load_dword v9, v[10:11], off
	v_cmp_le_u32_e32 vcc_lo, s12, v19
	s_or_b32 s0, vcc_lo, s0
	s_waitcnt vmcnt(2)
	v_bfe_u32 v10, v12, v23, 4
	s_waitcnt vmcnt(1)
	v_cvt_f32_f16_e32 v8, v8
	s_waitcnt vmcnt(0)
	v_cvt_f32_f16_e32 v9, v9
	v_cvt_f32_ubyte0_e32 v10, v10
	v_add_f32_e32 v10, 0.5, v10
	v_mul_f32_e32 v8, v10, v8
	v_mul_f32_e32 v8, v8, v9
	v_cvt_f32_i32_e32 v9, v26
	v_mul_f32_e32 v8, 0.5, v8
	v_fmac_f32_e32 v18, v8, v9
	s_andn2_b32 exec_lo, exec_lo, s0
	s_cbranch_execnz .LBB93_3
; %bb.6:
	s_or_b32 exec_lo, exec_lo, s0
.LBB93_7:
	s_or_b32 exec_lo, exec_lo, s6
	v_mbcnt_lo_u32_b32 v2, -1, 0
	v_xor_b32_e32 v3, 16, v2
	v_xor_b32_e32 v4, 8, v2
	v_xor_b32_e32 v5, 4, v2
	v_cmp_gt_i32_e32 vcc_lo, 32, v3
	v_cndmask_b32_e32 v3, v2, v3, vcc_lo
	v_cmp_gt_i32_e32 vcc_lo, 32, v4
	v_lshlrev_b32_e32 v3, 2, v3
	v_cndmask_b32_e32 v4, v2, v4, vcc_lo
	v_cmp_gt_i32_e32 vcc_lo, 32, v5
	ds_bpermute_b32 v3, v3, v18
	v_lshlrev_b32_e32 v4, 2, v4
	v_cndmask_b32_e32 v5, v2, v5, vcc_lo
	v_lshlrev_b32_e32 v5, 2, v5
	s_waitcnt lgkmcnt(0)
	v_add_f32_e32 v3, v18, v3
	ds_bpermute_b32 v4, v4, v3
	s_waitcnt lgkmcnt(0)
	v_add_f32_e32 v3, v3, v4
	ds_bpermute_b32 v4, v5, v3
	v_xor_b32_e32 v5, 2, v2
	v_cmp_gt_i32_e32 vcc_lo, 32, v5
	v_cndmask_b32_e32 v5, v2, v5, vcc_lo
	v_lshlrev_b32_e32 v5, 2, v5
	s_waitcnt lgkmcnt(0)
	v_add_f32_e32 v3, v3, v4
	ds_bpermute_b32 v4, v5, v3
	v_xor_b32_e32 v5, 1, v2
	v_cmp_gt_i32_e32 vcc_lo, 32, v5
	v_cndmask_b32_e32 v5, v2, v5, vcc_lo
	v_cmp_eq_u32_e32 vcc_lo, 0, v0
	s_waitcnt lgkmcnt(0)
	v_add_f32_e32 v2, v3, v4
	v_lshlrev_b32_e32 v3, 2, v5
	ds_bpermute_b32 v3, v3, v2
	s_and_b32 exec_lo, exec_lo, vcc_lo
	s_cbranch_execz .LBB93_9
; %bb.8:
	v_mad_u64_u32 v[0:1], null, s1, s7, v[1:2]
	v_mov_b32_e32 v1, 0
	s_waitcnt lgkmcnt(0)
	v_add_f32_e32 v2, v2, v3
	v_cvt_f16_f32_e32 v2, v2
	v_lshlrev_b64 v[0:1], 1, v[0:1]
	v_add_co_u32 v0, vcc_lo, s2, v0
	v_add_co_ci_u32_e64 v1, null, s3, v1, vcc_lo
	global_store_short v[0:1], v2, off
.LBB93_9:
	s_endpgm
	.section	.rodata,"a",@progbits
	.p2align	6, 0x0
	.amdhsa_kernel _ZL13mul_mat_vec_qIN3c104HalfELi256ELi8E11block_iq3_sLi1EXadL_ZL18vec_dot_iq3_s_q8_1PKvPK10block_q8_1RKiEEEvS4_S4_PT_iii
		.amdhsa_group_segment_fixed_size 0
		.amdhsa_private_segment_fixed_size 0
		.amdhsa_kernarg_size 296
		.amdhsa_user_sgpr_count 6
		.amdhsa_user_sgpr_private_segment_buffer 1
		.amdhsa_user_sgpr_dispatch_ptr 0
		.amdhsa_user_sgpr_queue_ptr 0
		.amdhsa_user_sgpr_kernarg_segment_ptr 1
		.amdhsa_user_sgpr_dispatch_id 0
		.amdhsa_user_sgpr_flat_scratch_init 0
		.amdhsa_user_sgpr_private_segment_size 0
		.amdhsa_wavefront_size32 1
		.amdhsa_uses_dynamic_stack 0
		.amdhsa_system_sgpr_private_segment_wavefront_offset 0
		.amdhsa_system_sgpr_workgroup_id_x 1
		.amdhsa_system_sgpr_workgroup_id_y 1
		.amdhsa_system_sgpr_workgroup_id_z 0
		.amdhsa_system_sgpr_workgroup_info 0
		.amdhsa_system_vgpr_workitem_id 1
		.amdhsa_next_free_vgpr 42
		.amdhsa_next_free_sgpr 14
		.amdhsa_reserve_vcc 1
		.amdhsa_reserve_flat_scratch 0
		.amdhsa_float_round_mode_32 0
		.amdhsa_float_round_mode_16_64 0
		.amdhsa_float_denorm_mode_32 3
		.amdhsa_float_denorm_mode_16_64 3
		.amdhsa_dx10_clamp 1
		.amdhsa_ieee_mode 1
		.amdhsa_fp16_overflow 0
		.amdhsa_workgroup_processor_mode 1
		.amdhsa_memory_ordered 1
		.amdhsa_forward_progress 1
		.amdhsa_shared_vgpr_count 0
		.amdhsa_exception_fp_ieee_invalid_op 0
		.amdhsa_exception_fp_denorm_src 0
		.amdhsa_exception_fp_ieee_div_zero 0
		.amdhsa_exception_fp_ieee_overflow 0
		.amdhsa_exception_fp_ieee_underflow 0
		.amdhsa_exception_fp_ieee_inexact 0
		.amdhsa_exception_int_div_zero 0
	.end_amdhsa_kernel
	.section	.text._ZL13mul_mat_vec_qIN3c104HalfELi256ELi8E11block_iq3_sLi1EXadL_ZL18vec_dot_iq3_s_q8_1PKvPK10block_q8_1RKiEEEvS4_S4_PT_iii,"axG",@progbits,_ZL13mul_mat_vec_qIN3c104HalfELi256ELi8E11block_iq3_sLi1EXadL_ZL18vec_dot_iq3_s_q8_1PKvPK10block_q8_1RKiEEEvS4_S4_PT_iii,comdat
.Lfunc_end93:
	.size	_ZL13mul_mat_vec_qIN3c104HalfELi256ELi8E11block_iq3_sLi1EXadL_ZL18vec_dot_iq3_s_q8_1PKvPK10block_q8_1RKiEEEvS4_S4_PT_iii, .Lfunc_end93-_ZL13mul_mat_vec_qIN3c104HalfELi256ELi8E11block_iq3_sLi1EXadL_ZL18vec_dot_iq3_s_q8_1PKvPK10block_q8_1RKiEEEvS4_S4_PT_iii
                                        ; -- End function
	.set _ZL13mul_mat_vec_qIN3c104HalfELi256ELi8E11block_iq3_sLi1EXadL_ZL18vec_dot_iq3_s_q8_1PKvPK10block_q8_1RKiEEEvS4_S4_PT_iii.num_vgpr, 42
	.set _ZL13mul_mat_vec_qIN3c104HalfELi256ELi8E11block_iq3_sLi1EXadL_ZL18vec_dot_iq3_s_q8_1PKvPK10block_q8_1RKiEEEvS4_S4_PT_iii.num_agpr, 0
	.set _ZL13mul_mat_vec_qIN3c104HalfELi256ELi8E11block_iq3_sLi1EXadL_ZL18vec_dot_iq3_s_q8_1PKvPK10block_q8_1RKiEEEvS4_S4_PT_iii.numbered_sgpr, 14
	.set _ZL13mul_mat_vec_qIN3c104HalfELi256ELi8E11block_iq3_sLi1EXadL_ZL18vec_dot_iq3_s_q8_1PKvPK10block_q8_1RKiEEEvS4_S4_PT_iii.num_named_barrier, 0
	.set _ZL13mul_mat_vec_qIN3c104HalfELi256ELi8E11block_iq3_sLi1EXadL_ZL18vec_dot_iq3_s_q8_1PKvPK10block_q8_1RKiEEEvS4_S4_PT_iii.private_seg_size, 0
	.set _ZL13mul_mat_vec_qIN3c104HalfELi256ELi8E11block_iq3_sLi1EXadL_ZL18vec_dot_iq3_s_q8_1PKvPK10block_q8_1RKiEEEvS4_S4_PT_iii.uses_vcc, 1
	.set _ZL13mul_mat_vec_qIN3c104HalfELi256ELi8E11block_iq3_sLi1EXadL_ZL18vec_dot_iq3_s_q8_1PKvPK10block_q8_1RKiEEEvS4_S4_PT_iii.uses_flat_scratch, 0
	.set _ZL13mul_mat_vec_qIN3c104HalfELi256ELi8E11block_iq3_sLi1EXadL_ZL18vec_dot_iq3_s_q8_1PKvPK10block_q8_1RKiEEEvS4_S4_PT_iii.has_dyn_sized_stack, 0
	.set _ZL13mul_mat_vec_qIN3c104HalfELi256ELi8E11block_iq3_sLi1EXadL_ZL18vec_dot_iq3_s_q8_1PKvPK10block_q8_1RKiEEEvS4_S4_PT_iii.has_recursion, 0
	.set _ZL13mul_mat_vec_qIN3c104HalfELi256ELi8E11block_iq3_sLi1EXadL_ZL18vec_dot_iq3_s_q8_1PKvPK10block_q8_1RKiEEEvS4_S4_PT_iii.has_indirect_call, 0
	.section	.AMDGPU.csdata,"",@progbits
; Kernel info:
; codeLenInByte = 1352
; TotalNumSgprs: 16
; NumVgprs: 42
; ScratchSize: 0
; MemoryBound: 0
; FloatMode: 240
; IeeeMode: 1
; LDSByteSize: 0 bytes/workgroup (compile time only)
; SGPRBlocks: 0
; VGPRBlocks: 5
; NumSGPRsForWavesPerEU: 16
; NumVGPRsForWavesPerEU: 42
; Occupancy: 16
; WaveLimiterHint : 0
; COMPUTE_PGM_RSRC2:SCRATCH_EN: 0
; COMPUTE_PGM_RSRC2:USER_SGPR: 6
; COMPUTE_PGM_RSRC2:TRAP_HANDLER: 0
; COMPUTE_PGM_RSRC2:TGID_X_EN: 1
; COMPUTE_PGM_RSRC2:TGID_Y_EN: 1
; COMPUTE_PGM_RSRC2:TGID_Z_EN: 0
; COMPUTE_PGM_RSRC2:TIDIG_COMP_CNT: 1
	.section	.text._ZL13mul_mat_vec_qIN3c104HalfELi256ELi8E11block_iq2_sLi1EXadL_ZL18vec_dot_iq2_s_q8_1PKvPK10block_q8_1RKiEEEvS4_S4_PT_iii,"axG",@progbits,_ZL13mul_mat_vec_qIN3c104HalfELi256ELi8E11block_iq2_sLi1EXadL_ZL18vec_dot_iq2_s_q8_1PKvPK10block_q8_1RKiEEEvS4_S4_PT_iii,comdat
	.globl	_ZL13mul_mat_vec_qIN3c104HalfELi256ELi8E11block_iq2_sLi1EXadL_ZL18vec_dot_iq2_s_q8_1PKvPK10block_q8_1RKiEEEvS4_S4_PT_iii ; -- Begin function _ZL13mul_mat_vec_qIN3c104HalfELi256ELi8E11block_iq2_sLi1EXadL_ZL18vec_dot_iq2_s_q8_1PKvPK10block_q8_1RKiEEEvS4_S4_PT_iii
	.p2align	8
	.type	_ZL13mul_mat_vec_qIN3c104HalfELi256ELi8E11block_iq2_sLi1EXadL_ZL18vec_dot_iq2_s_q8_1PKvPK10block_q8_1RKiEEEvS4_S4_PT_iii,@function
_ZL13mul_mat_vec_qIN3c104HalfELi256ELi8E11block_iq2_sLi1EXadL_ZL18vec_dot_iq2_s_q8_1PKvPK10block_q8_1RKiEEEvS4_S4_PT_iii: ; @_ZL13mul_mat_vec_qIN3c104HalfELi256ELi8E11block_iq2_sLi1EXadL_ZL18vec_dot_iq2_s_q8_1PKvPK10block_q8_1RKiEEEvS4_S4_PT_iii
; %bb.0:
	s_clause 0x1
	s_load_dword s8, s[4:5], 0x34
	s_load_dwordx4 s[0:3], s[4:5], 0x18
	s_waitcnt lgkmcnt(0)
	s_lshr_b32 s3, s8, 16
	s_cmp_lt_u32 s7, s2
	v_mad_u64_u32 v[5:6], null, s6, s3, v[1:2]
	s_cselect_b32 s2, -1, 0
	v_cmp_gt_u32_e32 vcc_lo, s1, v5
	s_and_b32 s2, s2, vcc_lo
	s_and_saveexec_b32 s3, s2
	s_cbranch_execz .LBB94_7
; %bb.1:
	s_load_dwordx2 s[2:3], s[4:5], 0x10
	s_ashr_i32 s6, s0, 31
	v_lshrrev_b32_e32 v12, 3, v0
	s_lshr_b32 s6, s6, 24
	v_mov_b32_e32 v13, 0
	s_add_i32 s6, s0, s6
	s_ashr_i32 s12, s6, 8
	s_mov_b32 s6, exec_lo
	v_cmpx_gt_u32_e64 s12, v12
	s_cbranch_execz .LBB94_5
; %bb.2:
	s_load_dwordx4 s[8:11], s[4:5], 0x0
	s_addk_i32 s0, 0x1ff
	v_and_b32_e32 v14, 7, v0
	s_ashr_i32 s4, s0, 31
	v_lshlrev_b32_e32 v1, 3, v12
	s_lshr_b32 s4, s4, 23
	v_mul_lo_u32 v15, v5, s12
	s_add_i32 s0, s0, s4
	v_mov_b32_e32 v13, 0
	s_ashr_i32 s0, s0, 9
	v_lshlrev_b32_e32 v16, 2, v14
	s_mul_i32 s0, s7, s0
	s_getpc_b64 s[4:5]
	s_add_u32 s4, s4, _ZL9iq2s_grid@rel32@lo+4
	s_addc_u32 s5, s5, _ZL9iq2s_grid@rel32@hi+12
	v_lshl_add_u32 v17, s0, 4, v1
	s_waitcnt lgkmcnt(0)
	v_mad_u64_u32 v[6:7], null, v14, 36, s[10:11]
	s_mov_b32 s10, 0
.LBB94_3:                               ; =>This Inner Loop Header: Depth=1
	v_add_nc_u32_e32 v1, v15, v12
	v_mad_i64_i32 v[10:11], null, v17, 36, v[6:7]
	v_add_nc_u32_e32 v12, 4, v12
	v_add_nc_u32_e32 v17, 32, v17
	v_mad_i64_i32 v[8:9], null, 0x52, v1, s[8:9]
	s_clause 0x1
	global_load_dwordx4 v[1:4], v[10:11], off
	global_load_dword v18, v[10:11], off offset:32
	v_add_co_u32 v19, vcc_lo, v8, v16
	v_add_co_ci_u32_e64 v20, null, 0, v9, vcc_lo
	v_add_co_u32 v21, vcc_lo, v8, v14
	v_add_co_ci_u32_e64 v22, null, 0, v9, vcc_lo
	s_clause 0x3
	global_load_dword v23, v[19:20], off offset:2
	global_load_ubyte v24, v[21:22], off offset:66
	global_load_dword v20, v[19:20], off offset:34
	global_load_ubyte v19, v[21:22], off offset:74
	s_waitcnt vmcnt(5)
	v_cvt_f32_f16_e32 v1, v1
	s_waitcnt vmcnt(3)
	v_and_b32_e32 v22, 0xff, v23
	s_waitcnt vmcnt(2)
	v_lshlrev_b32_e32 v25, 8, v24
	s_waitcnt vmcnt(1)
	v_and_b32_e32 v28, 15, v20
	v_lshrrev_b16 v29, 4, v20
	v_bfe_u32 v30, v23, 8, 8
	v_lshlrev_b32_e32 v31, 6, v24
	v_lshrrev_b32_e32 v21, 24, v23
	v_lshrrev_b32_e32 v26, 8, v20
	;; [unrolled: 1-line block ×3, first 2 shown]
	v_bfe_u32 v32, v20, 8, 4
	v_bfe_u32 v23, v23, 16, 8
	v_lshlrev_b32_e32 v33, 4, v24
	v_bfe_u32 v34, v20, 16, 4
	v_bfe_u32 v35, v20, 20, 4
	;; [unrolled: 1-line block ×3, first 2 shown]
	v_lshlrev_b32_e32 v24, 2, v24
	v_and_or_b32 v22, 0x300, v25, v22
	v_mul_lo_u32 v25, 0x1010101, v28
	v_and_b32_e32 v28, 15, v29
	v_and_or_b32 v29, 0x300, v31, v30
	v_lshrrev_b16 v26, 4, v26
	v_and_or_b32 v23, 0x300, v33, v23
	v_mul_lo_u32 v20, 0x1010101, v20
	v_and_or_b32 v21, 0x300, v24, v21
	v_lshrrev_b16 v24, 4, v27
	v_lshlrev_b32_e32 v22, 3, v22
	v_lshlrev_b32_e32 v27, 3, v29
	v_and_b32_e32 v29, 15, v26
	v_lshlrev_b32_e32 v26, 3, v23
	v_lshlrev_b32_e32 v33, 3, v21
	v_mul_lo_u32 v30, 0x1010101, v32
	v_mul_lo_u32 v31, 0x1010101, v34
	;; [unrolled: 1-line block ×3, first 2 shown]
	v_and_b32_e32 v34, 0xffff, v24
	v_not_b32_e32 v35, v25
	v_not_b32_e32 v36, v20
	s_clause 0x3
	global_load_dwordx2 v[20:21], v22, s[4:5]
	global_load_dwordx2 v[22:23], v27, s[4:5]
	;; [unrolled: 1-line block ×4, first 2 shown]
	v_and_b32_e32 v28, 0xffff, v28
	v_mul_lo_u32 v33, 0x1010101, v34
	v_and_b32_e32 v34, 0x8040201, v35
	v_and_b32_e32 v37, 0x40000, v35
	;; [unrolled: 1-line block ×3, first 2 shown]
	v_not_b32_e32 v30, v30
	v_and_b32_e32 v35, 1, v35
	v_cmp_gt_u32_e32 vcc_lo, 0x1000000, v34
	v_not_b32_e32 v31, v31
	v_not_b32_e32 v32, v32
	v_and_b32_e32 v39, 0x8040201, v30
	v_and_b32_e32 v40, 0x40000, v30
	v_cndmask_b32_e64 v34, 0, -1, vcc_lo
	v_cmp_eq_u32_e32 vcc_lo, 0, v37
	v_and_b32_e32 v41, 0x200, v30
	v_and_b32_e32 v30, 1, v30
	v_and_b32_e32 v42, 0x8040201, v31
	v_and_b32_e32 v43, 0x40000, v31
	v_cndmask_b32_e64 v37, 0, 0xff0000, vcc_lo
	v_cmp_eq_u32_e32 vcc_lo, 0, v38
	v_and_b32_e32 v44, 0x200, v31
	v_and_b32_e32 v31, 1, v31
	v_and_b32_e32 v45, 0x8040201, v32
	v_and_b32_e32 v46, 0x40000, v32
	v_cndmask_b32_e64 v38, 0, 0xff00, vcc_lo
	;; [unrolled: 6-line block ×3, first 2 shown]
	v_cmp_gt_u32_e32 vcc_lo, 0x1000000, v39
	v_mul_lo_u32 v28, 0x1010101, v28
	v_and_b32_e32 v50, 0x200, v36
	v_and_b32_e32 v36, 1, v36
	;; [unrolled: 1-line block ×3, first 2 shown]
	v_cndmask_b32_e64 v39, 0, -1, vcc_lo
	v_cmp_eq_u32_e32 vcc_lo, 0, v40
	v_lshlrev_b32_e32 v34, 24, v34
	v_or_b32_e32 v51, v38, v35
	v_not_b32_e32 v28, v28
	v_mul_lo_u32 v29, 0x1010101, v29
	v_cndmask_b32_e64 v40, 0, 0xff0000, vcc_lo
	v_cmp_eq_u32_e32 vcc_lo, 0, v41
	v_not_b32_e32 v33, v33
	v_and_b32_e32 v52, 0x8040201, v28
	v_and_b32_e32 v53, 0x40000, v28
	v_and_b32_e32 v54, 0x200, v28
	v_cndmask_b32_e64 v41, 0, 0xff00, vcc_lo
	v_cmp_eq_u32_e32 vcc_lo, 0, v30
	v_not_b32_e32 v29, v29
	v_and_b32_e32 v28, 1, v28
	v_lshlrev_b32_e32 v39, 24, v39
	v_or3_b32 v51, v51, v37, v34
	v_cndmask_b32_e64 v30, 0, 0xff, vcc_lo
	v_cmp_gt_u32_e32 vcc_lo, 0x1000000, v42
	v_and_b32_e32 v60, 0x8040201, v29
	v_and_b32_e32 v61, 0x200, v29
	;; [unrolled: 1-line block ×4, first 2 shown]
	v_cndmask_b32_e64 v42, 0, -1, vcc_lo
	v_cmp_eq_u32_e32 vcc_lo, 0, v43
	v_cmp_gt_u32_e64 s0, 0x1000000, v60
	v_or_b32_e32 v55, v41, v30
	v_and_b32_e32 v58, 0x40000, v33
	v_lshlrev_b32_e32 v42, 24, v42
	v_cndmask_b32_e64 v43, 0, 0xff0000, vcc_lo
	v_cmp_eq_u32_e32 vcc_lo, 0, v44
	v_cndmask_b32_e64 v60, 0, -1, s0
	v_cmp_eq_u32_e64 s0, 0, v61
	v_or3_b32 v55, v55, v40, v39
	v_cndmask_b32_e64 v44, 0, 0xff00, vcc_lo
	v_cmp_eq_u32_e32 vcc_lo, 0, v31
	v_cndmask_b32_e64 v61, 0, 0xff00, s0
	v_cmp_eq_u32_e64 s0, 0, v29
	v_lshlrev_b32_e32 v60, 24, v60
	v_cndmask_b32_e64 v31, 0, 0xff, vcc_lo
	v_cmp_gt_u32_e32 vcc_lo, 0x1000000, v45
	v_cndmask_b32_e64 v29, 0, 0xff, s0
	v_or_b32_e32 v56, v44, v31
	v_cndmask_b32_e64 v45, 0, -1, vcc_lo
	v_cmp_eq_u32_e32 vcc_lo, 0, v46
	v_lshlrev_b32_e32 v45, 24, v45
	v_cndmask_b32_e64 v46, 0, 0xff0000, vcc_lo
	v_cmp_eq_u32_e32 vcc_lo, 0, v47
	v_cndmask_b32_e64 v47, 0, 0xff00, vcc_lo
	v_cmp_eq_u32_e32 vcc_lo, 0, v32
	v_cndmask_b32_e64 v32, 0, 0xff, vcc_lo
	v_cmp_gt_u32_e32 vcc_lo, 0x1000000, v48
	v_or_b32_e32 v57, v47, v32
	v_cndmask_b32_e64 v48, 0, -1, vcc_lo
	v_cmp_eq_u32_e32 vcc_lo, 0, v49
	v_lshlrev_b32_e32 v48, 24, v48
	v_cndmask_b32_e64 v49, 0, 0xff0000, vcc_lo
	v_cmp_eq_u32_e32 vcc_lo, 0, v50
	v_cndmask_b32_e64 v50, 0, 0xff00, vcc_lo
	v_cmp_eq_u32_e32 vcc_lo, 0, v36
	v_cndmask_b32_e64 v36, 0, 0xff, vcc_lo
	v_cmp_gt_u32_e32 vcc_lo, 0x1000000, v52
	v_cndmask_b32_e64 v52, 0, -1, vcc_lo
	v_cmp_eq_u32_e32 vcc_lo, 0, v53
	v_lshlrev_b32_e32 v52, 24, v52
	v_cndmask_b32_e64 v53, 0, 0xff0000, vcc_lo
	v_cmp_eq_u32_e32 vcc_lo, 0, v54
	v_cndmask_b32_e64 v54, 0, 0xff00, vcc_lo
	v_cmp_eq_u32_e32 vcc_lo, 0, v28
	;; [unrolled: 2-line block ×3, first 2 shown]
	v_or_b32_e32 v59, v54, v28
	v_cndmask_b32_e64 v62, 0, 0xff0000, vcc_lo
	v_cmp_eq_u32_e32 vcc_lo, 0, v58
	v_or3_b32 v59, v59, v53, v52
	s_waitcnt vmcnt(3)
	v_xor_b32_e32 v51, v51, v20
	v_xor_b32_e32 v59, v59, v21
	v_or_b32_e32 v20, v61, v29
	v_and_b32_e32 v21, 0x8040201, v33
	s_waitcnt vmcnt(2)
	v_xor_b32_e32 v55, v55, v22
	v_and_b32_e32 v22, 0x200, v33
	v_sub_nc_u32_e32 v35, v51, v35
	v_or3_b32 v20, v20, v62, v60
	v_cmp_gt_u32_e64 s0, 0x1000000, v21
	v_sub_nc_u32_e32 v40, v55, v40
	v_sub_nc_u32_e32 v30, v55, v30
	;; [unrolled: 1-line block ×3, first 2 shown]
	v_xor_b32_e32 v63, v20, v23
	v_and_b32_e32 v23, 1, v33
	v_cndmask_b32_e64 v21, 0, -1, s0
	v_cmp_eq_u32_e64 s0, 0, v22
	v_or3_b32 v33, v56, v43, v42
	v_or3_b32 v56, v57, v46, v45
	v_or_b32_e32 v20, v50, v36
	v_perm_b32 v30, v40, v30, 0xc060c00
	v_cndmask_b32_e64 v57, 0, 0xff00, s0
	v_cmp_eq_u32_e64 s0, 0, v23
	s_waitcnt vmcnt(1)
	v_xor_b32_e32 v24, v33, v24
	v_xor_b32_e32 v25, v56, v25
	v_cndmask_b32_e64 v33, 0, 0xff0000, vcc_lo
	v_lshlrev_b32_e32 v56, 24, v21
	v_cndmask_b32_e64 v58, 0, 0xff, s0
	v_or3_b32 v20, v20, v49, v48
	v_sub_nc_u32_e32 v42, v24, v42
	v_sub_nc_u32_e32 v43, v24, v43
	;; [unrolled: 1-line block ×3, first 2 shown]
	v_or_b32_e32 v21, v57, v58
	s_waitcnt vmcnt(0)
	v_xor_b32_e32 v26, v20, v26
	v_sub_nc_u32_e32 v24, v24, v31
	v_sub_nc_u32_e32 v31, v25, v45
	;; [unrolled: 1-line block ×3, first 2 shown]
	v_or3_b32 v21, v21, v33, v56
	v_sub_nc_u32_e32 v46, v25, v47
	v_sub_nc_u32_e32 v25, v25, v32
	v_and_b32_e32 v40, 0xff000000, v42
	v_and_b32_e32 v42, 0xff00, v44
	v_xor_b32_e32 v27, v21, v27
	global_load_dwordx4 v[20:23], v[10:11], off offset:16
	global_load_ushort v8, v[8:9], off
	v_sub_nc_u32_e32 v10, v51, v34
	v_sub_nc_u32_e32 v11, v51, v37
	;; [unrolled: 1-line block ×3, first 2 shown]
	v_perm_b32 v24, v43, v24, 0xc060c00
	v_mov_b32_e32 v9, 0
	v_sub_nc_u32_e32 v38, v59, v52
	v_sub_nc_u32_e32 v51, v59, v53
	;; [unrolled: 1-line block ×11, first 2 shown]
	v_and_b32_e32 v10, 0xff000000, v10
	v_perm_b32 v11, v11, v35, 0xc060c00
	v_and_b32_e32 v31, 0xff000000, v31
	v_and_b32_e32 v43, 0xff00, v46
	v_perm_b32 v25, v45, v25, 0xc060c00
	v_and_b32_e32 v34, 0xff00, v34
	v_or3_b32 v24, v24, v40, v42
	v_mov_b32_e32 v37, 0
	v_sub_nc_u32_e32 v39, v55, v39
	v_sub_nc_u32_e32 v41, v55, v41
	v_and_b32_e32 v35, 0xff000000, v38
	v_perm_b32 v28, v51, v28, 0xc060c00
	v_and_b32_e32 v32, 0xff000000, v32
	v_and_b32_e32 v44, 0xff00, v48
	v_perm_b32 v26, v47, v26, 0xc060c00
	v_perm_b32 v27, v33, v27, 0xc060c00
	v_and_b32_e32 v33, 0xff00, v52
	v_or3_b32 v25, v25, v31, v43
	v_or3_b32 v10, v11, v10, v34
	v_sub_nc_u32_e32 v54, v63, v60
	v_sub_nc_u32_e32 v55, v63, v62
	;; [unrolled: 1-line block ×4, first 2 shown]
	v_and_b32_e32 v38, 0xff000000, v39
	v_and_b32_e32 v36, 0xff000000, v36
	;; [unrolled: 1-line block ×4, first 2 shown]
	v_dot4c_i32_i8 v37, v10, v2
	v_lshrrev_b16 v53, 4, v19
	v_and_b32_e32 v39, 0xff000000, v54
	v_perm_b32 v29, v55, v29, 0xc060c00
	v_and_b32_e32 v2, 0xff00, v59
	v_or3_b32 v10, v27, v36, v45
	v_or3_b32 v11, v30, v38, v11
	v_cmp_le_u32_e32 vcc_lo, s12, v12
	v_or3_b32 v2, v29, v39, v2
	s_or_b32 s10, vcc_lo, s10
	s_waitcnt vmcnt(1)
	v_dot4c_i32_i8 v9, v24, v21
	v_or3_b32 v21, v26, v32, v44
	v_or3_b32 v24, v28, v35, v33
	v_dot4c_i32_i8 v9, v25, v22
	v_dot4c_i32_i8 v37, v24, v3
	v_and_b32_e32 v3, 15, v19
	v_cvt_f32_ubyte0_e32 v19, v53
	v_dot4c_i32_i8 v9, v21, v23
	v_dot4c_i32_i8 v37, v11, v4
	s_waitcnt vmcnt(0)
	v_cvt_f32_f16_e32 v4, v8
	v_cvt_f32_ubyte0_e32 v3, v3
	v_dot4c_i32_i8 v9, v10, v18
	v_add_f32_e32 v8, 0.5, v19
	v_dot4c_i32_i8 v37, v2, v20
	v_mul_f32_e32 v1, v4, v1
	v_add_f32_e32 v3, 0.5, v3
	v_cvt_f32_i32_e32 v2, v9
	v_cvt_f32_i32_e32 v4, v37
	v_mul_f32_e32 v1, 0x3e800000, v1
	v_mul_f32_e32 v2, v8, v2
	v_fmac_f32_e32 v2, v3, v4
	v_fmac_f32_e32 v13, v1, v2
	s_andn2_b32 exec_lo, exec_lo, s10
	s_cbranch_execnz .LBB94_3
; %bb.4:
	s_or_b32 exec_lo, exec_lo, s10
.LBB94_5:
	s_or_b32 exec_lo, exec_lo, s6
	v_mbcnt_lo_u32_b32 v1, -1, 0
	v_xor_b32_e32 v2, 16, v1
	v_xor_b32_e32 v3, 8, v1
	;; [unrolled: 1-line block ×3, first 2 shown]
	v_cmp_gt_i32_e32 vcc_lo, 32, v2
	v_cndmask_b32_e32 v2, v1, v2, vcc_lo
	v_cmp_gt_i32_e32 vcc_lo, 32, v3
	v_lshlrev_b32_e32 v2, 2, v2
	v_cndmask_b32_e32 v3, v1, v3, vcc_lo
	v_cmp_gt_i32_e32 vcc_lo, 32, v4
	ds_bpermute_b32 v2, v2, v13
	v_lshlrev_b32_e32 v3, 2, v3
	v_cndmask_b32_e32 v4, v1, v4, vcc_lo
	v_lshlrev_b32_e32 v4, 2, v4
	s_waitcnt lgkmcnt(0)
	v_add_f32_e32 v2, v13, v2
	ds_bpermute_b32 v3, v3, v2
	s_waitcnt lgkmcnt(0)
	v_add_f32_e32 v2, v2, v3
	ds_bpermute_b32 v3, v4, v2
	v_xor_b32_e32 v4, 2, v1
	v_cmp_gt_i32_e32 vcc_lo, 32, v4
	v_cndmask_b32_e32 v4, v1, v4, vcc_lo
	v_lshlrev_b32_e32 v4, 2, v4
	s_waitcnt lgkmcnt(0)
	v_add_f32_e32 v2, v2, v3
	ds_bpermute_b32 v3, v4, v2
	v_xor_b32_e32 v4, 1, v1
	v_cmp_gt_i32_e32 vcc_lo, 32, v4
	v_cndmask_b32_e32 v4, v1, v4, vcc_lo
	v_cmp_eq_u32_e32 vcc_lo, 0, v0
	s_waitcnt lgkmcnt(0)
	v_add_f32_e32 v1, v2, v3
	v_lshlrev_b32_e32 v2, 2, v4
	ds_bpermute_b32 v2, v2, v1
	s_and_b32 exec_lo, exec_lo, vcc_lo
	s_cbranch_execz .LBB94_7
; %bb.6:
	v_mad_u64_u32 v[3:4], null, s1, s7, v[5:6]
	v_mov_b32_e32 v4, 0
	s_waitcnt lgkmcnt(0)
	v_add_f32_e32 v2, v1, v2
	v_cvt_f16_f32_e32 v2, v2
	v_lshlrev_b64 v[0:1], 1, v[3:4]
	v_add_co_u32 v0, vcc_lo, s2, v0
	v_add_co_ci_u32_e64 v1, null, s3, v1, vcc_lo
	global_store_short v[0:1], v2, off
.LBB94_7:
	s_endpgm
	.section	.rodata,"a",@progbits
	.p2align	6, 0x0
	.amdhsa_kernel _ZL13mul_mat_vec_qIN3c104HalfELi256ELi8E11block_iq2_sLi1EXadL_ZL18vec_dot_iq2_s_q8_1PKvPK10block_q8_1RKiEEEvS4_S4_PT_iii
		.amdhsa_group_segment_fixed_size 0
		.amdhsa_private_segment_fixed_size 0
		.amdhsa_kernarg_size 296
		.amdhsa_user_sgpr_count 6
		.amdhsa_user_sgpr_private_segment_buffer 1
		.amdhsa_user_sgpr_dispatch_ptr 0
		.amdhsa_user_sgpr_queue_ptr 0
		.amdhsa_user_sgpr_kernarg_segment_ptr 1
		.amdhsa_user_sgpr_dispatch_id 0
		.amdhsa_user_sgpr_flat_scratch_init 0
		.amdhsa_user_sgpr_private_segment_size 0
		.amdhsa_wavefront_size32 1
		.amdhsa_uses_dynamic_stack 0
		.amdhsa_system_sgpr_private_segment_wavefront_offset 0
		.amdhsa_system_sgpr_workgroup_id_x 1
		.amdhsa_system_sgpr_workgroup_id_y 1
		.amdhsa_system_sgpr_workgroup_id_z 0
		.amdhsa_system_sgpr_workgroup_info 0
		.amdhsa_system_vgpr_workitem_id 1
		.amdhsa_next_free_vgpr 64
		.amdhsa_next_free_sgpr 13
		.amdhsa_reserve_vcc 1
		.amdhsa_reserve_flat_scratch 0
		.amdhsa_float_round_mode_32 0
		.amdhsa_float_round_mode_16_64 0
		.amdhsa_float_denorm_mode_32 3
		.amdhsa_float_denorm_mode_16_64 3
		.amdhsa_dx10_clamp 1
		.amdhsa_ieee_mode 1
		.amdhsa_fp16_overflow 0
		.amdhsa_workgroup_processor_mode 1
		.amdhsa_memory_ordered 1
		.amdhsa_forward_progress 1
		.amdhsa_shared_vgpr_count 0
		.amdhsa_exception_fp_ieee_invalid_op 0
		.amdhsa_exception_fp_denorm_src 0
		.amdhsa_exception_fp_ieee_div_zero 0
		.amdhsa_exception_fp_ieee_overflow 0
		.amdhsa_exception_fp_ieee_underflow 0
		.amdhsa_exception_fp_ieee_inexact 0
		.amdhsa_exception_int_div_zero 0
	.end_amdhsa_kernel
	.section	.text._ZL13mul_mat_vec_qIN3c104HalfELi256ELi8E11block_iq2_sLi1EXadL_ZL18vec_dot_iq2_s_q8_1PKvPK10block_q8_1RKiEEEvS4_S4_PT_iii,"axG",@progbits,_ZL13mul_mat_vec_qIN3c104HalfELi256ELi8E11block_iq2_sLi1EXadL_ZL18vec_dot_iq2_s_q8_1PKvPK10block_q8_1RKiEEEvS4_S4_PT_iii,comdat
.Lfunc_end94:
	.size	_ZL13mul_mat_vec_qIN3c104HalfELi256ELi8E11block_iq2_sLi1EXadL_ZL18vec_dot_iq2_s_q8_1PKvPK10block_q8_1RKiEEEvS4_S4_PT_iii, .Lfunc_end94-_ZL13mul_mat_vec_qIN3c104HalfELi256ELi8E11block_iq2_sLi1EXadL_ZL18vec_dot_iq2_s_q8_1PKvPK10block_q8_1RKiEEEvS4_S4_PT_iii
                                        ; -- End function
	.set _ZL13mul_mat_vec_qIN3c104HalfELi256ELi8E11block_iq2_sLi1EXadL_ZL18vec_dot_iq2_s_q8_1PKvPK10block_q8_1RKiEEEvS4_S4_PT_iii.num_vgpr, 64
	.set _ZL13mul_mat_vec_qIN3c104HalfELi256ELi8E11block_iq2_sLi1EXadL_ZL18vec_dot_iq2_s_q8_1PKvPK10block_q8_1RKiEEEvS4_S4_PT_iii.num_agpr, 0
	.set _ZL13mul_mat_vec_qIN3c104HalfELi256ELi8E11block_iq2_sLi1EXadL_ZL18vec_dot_iq2_s_q8_1PKvPK10block_q8_1RKiEEEvS4_S4_PT_iii.numbered_sgpr, 13
	.set _ZL13mul_mat_vec_qIN3c104HalfELi256ELi8E11block_iq2_sLi1EXadL_ZL18vec_dot_iq2_s_q8_1PKvPK10block_q8_1RKiEEEvS4_S4_PT_iii.num_named_barrier, 0
	.set _ZL13mul_mat_vec_qIN3c104HalfELi256ELi8E11block_iq2_sLi1EXadL_ZL18vec_dot_iq2_s_q8_1PKvPK10block_q8_1RKiEEEvS4_S4_PT_iii.private_seg_size, 0
	.set _ZL13mul_mat_vec_qIN3c104HalfELi256ELi8E11block_iq2_sLi1EXadL_ZL18vec_dot_iq2_s_q8_1PKvPK10block_q8_1RKiEEEvS4_S4_PT_iii.uses_vcc, 1
	.set _ZL13mul_mat_vec_qIN3c104HalfELi256ELi8E11block_iq2_sLi1EXadL_ZL18vec_dot_iq2_s_q8_1PKvPK10block_q8_1RKiEEEvS4_S4_PT_iii.uses_flat_scratch, 0
	.set _ZL13mul_mat_vec_qIN3c104HalfELi256ELi8E11block_iq2_sLi1EXadL_ZL18vec_dot_iq2_s_q8_1PKvPK10block_q8_1RKiEEEvS4_S4_PT_iii.has_dyn_sized_stack, 0
	.set _ZL13mul_mat_vec_qIN3c104HalfELi256ELi8E11block_iq2_sLi1EXadL_ZL18vec_dot_iq2_s_q8_1PKvPK10block_q8_1RKiEEEvS4_S4_PT_iii.has_recursion, 0
	.set _ZL13mul_mat_vec_qIN3c104HalfELi256ELi8E11block_iq2_sLi1EXadL_ZL18vec_dot_iq2_s_q8_1PKvPK10block_q8_1RKiEEEvS4_S4_PT_iii.has_indirect_call, 0
	.section	.AMDGPU.csdata,"",@progbits
; Kernel info:
; codeLenInByte = 2456
; TotalNumSgprs: 15
; NumVgprs: 64
; ScratchSize: 0
; MemoryBound: 0
; FloatMode: 240
; IeeeMode: 1
; LDSByteSize: 0 bytes/workgroup (compile time only)
; SGPRBlocks: 0
; VGPRBlocks: 7
; NumSGPRsForWavesPerEU: 15
; NumVGPRsForWavesPerEU: 64
; Occupancy: 16
; WaveLimiterHint : 0
; COMPUTE_PGM_RSRC2:SCRATCH_EN: 0
; COMPUTE_PGM_RSRC2:USER_SGPR: 6
; COMPUTE_PGM_RSRC2:TRAP_HANDLER: 0
; COMPUTE_PGM_RSRC2:TGID_X_EN: 1
; COMPUTE_PGM_RSRC2:TGID_Y_EN: 1
; COMPUTE_PGM_RSRC2:TGID_Z_EN: 0
; COMPUTE_PGM_RSRC2:TIDIG_COMP_CNT: 1
	.section	.text._ZL13mul_mat_vec_qIN3c104HalfELi256ELi8E12block_iq4_xsLi1EXadL_ZL19vec_dot_iq4_xs_q8_1PKvPK10block_q8_1RKiEEEvS4_S4_PT_iii,"axG",@progbits,_ZL13mul_mat_vec_qIN3c104HalfELi256ELi8E12block_iq4_xsLi1EXadL_ZL19vec_dot_iq4_xs_q8_1PKvPK10block_q8_1RKiEEEvS4_S4_PT_iii,comdat
	.globl	_ZL13mul_mat_vec_qIN3c104HalfELi256ELi8E12block_iq4_xsLi1EXadL_ZL19vec_dot_iq4_xs_q8_1PKvPK10block_q8_1RKiEEEvS4_S4_PT_iii ; -- Begin function _ZL13mul_mat_vec_qIN3c104HalfELi256ELi8E12block_iq4_xsLi1EXadL_ZL19vec_dot_iq4_xs_q8_1PKvPK10block_q8_1RKiEEEvS4_S4_PT_iii
	.p2align	8
	.type	_ZL13mul_mat_vec_qIN3c104HalfELi256ELi8E12block_iq4_xsLi1EXadL_ZL19vec_dot_iq4_xs_q8_1PKvPK10block_q8_1RKiEEEvS4_S4_PT_iii,@function
_ZL13mul_mat_vec_qIN3c104HalfELi256ELi8E12block_iq4_xsLi1EXadL_ZL19vec_dot_iq4_xs_q8_1PKvPK10block_q8_1RKiEEEvS4_S4_PT_iii: ; @_ZL13mul_mat_vec_qIN3c104HalfELi256ELi8E12block_iq4_xsLi1EXadL_ZL19vec_dot_iq4_xs_q8_1PKvPK10block_q8_1RKiEEEvS4_S4_PT_iii
; %bb.0:
	s_clause 0x1
	s_load_dword s8, s[4:5], 0x34
	s_load_dwordx4 s[0:3], s[4:5], 0x18
	s_waitcnt lgkmcnt(0)
	s_lshr_b32 s3, s8, 16
	s_cmp_lt_u32 s7, s2
	v_mad_u64_u32 v[1:2], null, s6, s3, v[1:2]
	s_cselect_b32 s2, -1, 0
	v_cmp_gt_u32_e32 vcc_lo, s1, v1
	s_and_b32 s2, s2, vcc_lo
	s_and_saveexec_b32 s3, s2
	s_cbranch_execz .LBB95_7
; %bb.1:
	s_load_dwordx2 s[2:3], s[4:5], 0x10
	s_ashr_i32 s6, s0, 31
	v_lshrrev_b32_e32 v5, 3, v0
	s_lshr_b32 s6, s6, 24
	v_mov_b32_e32 v4, 0
	s_add_i32 s6, s0, s6
	s_ashr_i32 s12, s6, 8
	s_mov_b32 s6, exec_lo
	v_cmpx_gt_u32_e64 s12, v5
	s_cbranch_execz .LBB95_5
; %bb.2:
	s_load_dwordx4 s[8:11], s[4:5], 0x0
	s_addk_i32 s0, 0x1ff
	v_and_b32_e32 v9, 7, v0
	s_ashr_i32 s4, s0, 31
	v_lshlrev_b32_e32 v8, 2, v0
	s_lshr_b32 s4, s4, 23
	v_lshlrev_b32_e32 v10, 3, v5
	s_add_i32 s0, s0, s4
	v_lshlrev_b32_e32 v11, 2, v9
	s_ashr_i32 s0, s0, 9
	v_mul_lo_u32 v6, v1, s12
	s_mul_i32 s0, s7, s0
	v_mov_b32_e32 v4, 0
	v_bfe_u32 v7, v0, 1, 2
	v_and_b32_e32 v8, 4, v8
	v_lshl_add_u32 v10, s0, 4, v10
	v_lshlrev_b32_e32 v11, 2, v11
	s_mov_b32 s0, 0
	s_getpc_b64 s[4:5]
	s_add_u32 s4, s4, _ZL13kvalues_iq4nl@rel32@lo+4
	s_addc_u32 s5, s5, _ZL13kvalues_iq4nl@rel32@hi+12
	s_waitcnt lgkmcnt(0)
	v_mad_u64_u32 v[2:3], null, v9, 36, s[10:11]
	v_lshlrev_b32_e32 v9, 1, v9
.LBB95_3:                               ; =>This Inner Loop Header: Depth=1
	v_add_nc_u32_e32 v12, v6, v5
	v_mad_i64_i32 v[26:27], null, v10, 36, v[2:3]
	v_mov_b32_e32 v56, 0
	v_add_nc_u32_e32 v5, 4, v5
	v_mad_i64_i32 v[24:25], null, 0x88, v12, s[8:9]
	v_add_nc_u32_e32 v10, 32, v10
	v_add_co_u32 v12, vcc_lo, v24, v11
	v_add_co_ci_u32_e64 v13, null, 0, v25, vcc_lo
	v_add_co_u32 v16, vcc_lo, v24, v7
	v_add_co_ci_u32_e64 v17, null, 0, v25, vcc_lo
	s_clause 0x1
	global_load_dwordx4 v[12:15], v[12:13], off offset:8
	global_load_ubyte v28, v[16:17], off offset:4
	s_clause 0x1
	global_load_dwordx4 v[16:19], v[26:27], off
	global_load_dwordx4 v[20:23], v[26:27], off offset:16
	global_load_dword v24, v[24:25], off
	v_cmp_le_u32_e32 vcc_lo, s12, v5
	s_or_b32 s0, vcc_lo, s0
	s_waitcnt vmcnt(4)
	v_and_b32_e32 v29, 15, v12
	v_bfe_u32 v30, v12, 8, 4
	v_bfe_u32 v31, v12, 16, 4
	;; [unrolled: 1-line block ×5, first 2 shown]
	v_lshrrev_b32_e32 v33, 28, v12
	v_bfe_u32 v12, v12, 12, 4
	v_bfe_u32 v35, v13, 24, 4
	v_and_b32_e32 v36, 15, v13
	v_bfe_u32 v37, v13, 8, 4
	v_bfe_u32 v38, v13, 16, 4
	v_bfe_u32 v39, v13, 20, 4
	v_lshrrev_b32_e32 v40, 28, v13
	v_bfe_u32 v41, v13, 4, 4
	v_bfe_u32 v13, v13, 12, 4
	v_bfe_u32 v42, v14, 24, 4
	v_and_b32_e32 v43, 15, v14
	v_bfe_u32 v44, v14, 8, 4
	v_bfe_u32 v45, v14, 16, 4
	v_bfe_u32 v46, v14, 20, 4
	v_lshrrev_b32_e32 v47, 28, v14
	v_bfe_u32 v48, v14, 4, 4
	;; [unrolled: 8-line block ×3, first 2 shown]
	v_bfe_u32 v15, v15, 12, 4
	s_clause 0x1f
	global_load_ubyte v29, v29, s[4:5]
	global_load_ubyte v30, v30, s[4:5]
	;; [unrolled: 1-line block ×32, first 2 shown]
	global_load_dword v26, v[26:27], off offset:32
	v_mov_b32_e32 v27, 0
	s_waitcnt vmcnt(33)
	v_lshrrev_b32_sdwa v57, v9, v24 dst_sel:DWORD dst_unused:UNUSED_PAD src0_sel:DWORD src1_sel:WORD_1
	v_bfe_u32 v28, v28, v8, 4
	v_lshlrev_b32_e32 v57, 4, v57
	v_and_or_b32 v28, v57, 48, v28
	s_waitcnt vmcnt(31)
	v_lshl_or_b32 v29, v30, 8, v29
	s_waitcnt vmcnt(30)
	v_lshlrev_b32_e32 v31, 16, v31
	s_waitcnt vmcnt(28)
	v_lshl_or_b32 v12, v12, 8, v34
	s_waitcnt vmcnt(27)
	v_lshlrev_b32_e32 v32, 16, v32
	s_waitcnt vmcnt(26)
	v_lshlrev_b32_e32 v30, 24, v33
	s_waitcnt vmcnt(25)
	v_lshlrev_b32_e32 v25, 24, v25
	s_waitcnt vmcnt(22)
	v_lshlrev_b32_e32 v34, 16, v38
	v_or3_b32 v12, v12, v32, v30
	s_waitcnt vmcnt(20)
	v_lshl_or_b32 v13, v13, 8, v41
	v_or3_b32 v25, v29, v31, v25
	s_waitcnt vmcnt(17)
	v_lshlrev_b32_e32 v33, 24, v35
	v_lshl_or_b32 v35, v37, 8, v36
	v_lshlrev_b32_e32 v36, 24, v40
	v_lshlrev_b32_e32 v37, 16, v39
	s_waitcnt vmcnt(14)
	v_lshlrev_b32_e32 v39, 16, v45
	v_lshl_or_b32 v40, v44, 8, v43
	s_waitcnt vmcnt(12)
	v_lshl_or_b32 v14, v14, 8, v48
	s_waitcnt vmcnt(10)
	v_lshlrev_b32_e32 v41, 24, v47
	s_waitcnt vmcnt(9)
	v_lshlrev_b32_e32 v38, 24, v42
	v_lshlrev_b32_e32 v42, 16, v46
	v_or3_b32 v30, v35, v34, v33
	v_or3_b32 v13, v13, v37, v36
	v_dot4c_i32_i8 v27, v25, v17
	v_dot4c_i32_i8 v56, v12, v21
	s_waitcnt vmcnt(3)
	v_lshlrev_b32_e32 v43, 24, v49
	v_lshlrev_b32_e32 v44, 16, v52
	s_waitcnt vmcnt(2)
	v_lshl_or_b32 v45, v51, 8, v50
	v_lshlrev_b32_e32 v46, 24, v54
	v_lshlrev_b32_e32 v29, 16, v53
	s_waitcnt vmcnt(1)
	v_lshl_or_b32 v12, v15, 8, v55
	v_or3_b32 v15, v40, v39, v38
	v_or3_b32 v14, v14, v42, v41
	v_dot4c_i32_i8 v27, v30, v18
	v_dot4c_i32_i8 v56, v13, v22
	v_subrev_nc_u32_e32 v13, 32, v28
	v_or3_b32 v17, v45, v44, v43
	v_or3_b32 v12, v12, v29, v46
	v_dot4c_i32_i8 v27, v15, v19
	v_dot4c_i32_i8 v56, v14, v23
	v_cvt_f32_f16_e32 v14, v24
	v_cvt_f32_i32_e32 v13, v13
	v_dot4c_i32_i8 v27, v17, v20
	s_waitcnt vmcnt(0)
	v_dot4c_i32_i8 v56, v12, v26
	v_cvt_f32_f16_e32 v12, v16
	v_mul_f32_e32 v13, v14, v13
	v_add_nc_u32_e32 v14, v56, v27
	v_mul_f32_e32 v12, v13, v12
	v_cvt_f32_i32_e32 v13, v14
	v_fmac_f32_e32 v4, v12, v13
	s_andn2_b32 exec_lo, exec_lo, s0
	s_cbranch_execnz .LBB95_3
; %bb.4:
	s_or_b32 exec_lo, exec_lo, s0
.LBB95_5:
	s_or_b32 exec_lo, exec_lo, s6
	v_mbcnt_lo_u32_b32 v2, -1, 0
	v_xor_b32_e32 v3, 16, v2
	v_xor_b32_e32 v5, 8, v2
	v_cmp_gt_i32_e32 vcc_lo, 32, v3
	v_cndmask_b32_e32 v3, v2, v3, vcc_lo
	v_cmp_gt_i32_e32 vcc_lo, 32, v5
	v_lshlrev_b32_e32 v3, 2, v3
	v_cndmask_b32_e32 v5, v2, v5, vcc_lo
	ds_bpermute_b32 v3, v3, v4
	v_lshlrev_b32_e32 v5, 2, v5
	s_waitcnt lgkmcnt(0)
	v_add_f32_e32 v3, v4, v3
	ds_bpermute_b32 v4, v5, v3
	v_xor_b32_e32 v5, 4, v2
	v_cmp_gt_i32_e32 vcc_lo, 32, v5
	v_cndmask_b32_e32 v5, v2, v5, vcc_lo
	v_lshlrev_b32_e32 v5, 2, v5
	s_waitcnt lgkmcnt(0)
	v_add_f32_e32 v3, v3, v4
	ds_bpermute_b32 v4, v5, v3
	v_xor_b32_e32 v5, 2, v2
	v_cmp_gt_i32_e32 vcc_lo, 32, v5
	v_cndmask_b32_e32 v5, v2, v5, vcc_lo
	;; [unrolled: 7-line block ×3, first 2 shown]
	v_cmp_eq_u32_e32 vcc_lo, 0, v0
	s_waitcnt lgkmcnt(0)
	v_add_f32_e32 v2, v3, v4
	v_lshlrev_b32_e32 v3, 2, v5
	ds_bpermute_b32 v3, v3, v2
	s_and_b32 exec_lo, exec_lo, vcc_lo
	s_cbranch_execz .LBB95_7
; %bb.6:
	v_mad_u64_u32 v[0:1], null, s1, s7, v[1:2]
	v_mov_b32_e32 v1, 0
	s_waitcnt lgkmcnt(0)
	v_add_f32_e32 v2, v2, v3
	v_cvt_f16_f32_e32 v2, v2
	v_lshlrev_b64 v[0:1], 1, v[0:1]
	v_add_co_u32 v0, vcc_lo, s2, v0
	v_add_co_ci_u32_e64 v1, null, s3, v1, vcc_lo
	global_store_short v[0:1], v2, off
.LBB95_7:
	s_endpgm
	.section	.rodata,"a",@progbits
	.p2align	6, 0x0
	.amdhsa_kernel _ZL13mul_mat_vec_qIN3c104HalfELi256ELi8E12block_iq4_xsLi1EXadL_ZL19vec_dot_iq4_xs_q8_1PKvPK10block_q8_1RKiEEEvS4_S4_PT_iii
		.amdhsa_group_segment_fixed_size 0
		.amdhsa_private_segment_fixed_size 0
		.amdhsa_kernarg_size 296
		.amdhsa_user_sgpr_count 6
		.amdhsa_user_sgpr_private_segment_buffer 1
		.amdhsa_user_sgpr_dispatch_ptr 0
		.amdhsa_user_sgpr_queue_ptr 0
		.amdhsa_user_sgpr_kernarg_segment_ptr 1
		.amdhsa_user_sgpr_dispatch_id 0
		.amdhsa_user_sgpr_flat_scratch_init 0
		.amdhsa_user_sgpr_private_segment_size 0
		.amdhsa_wavefront_size32 1
		.amdhsa_uses_dynamic_stack 0
		.amdhsa_system_sgpr_private_segment_wavefront_offset 0
		.amdhsa_system_sgpr_workgroup_id_x 1
		.amdhsa_system_sgpr_workgroup_id_y 1
		.amdhsa_system_sgpr_workgroup_id_z 0
		.amdhsa_system_sgpr_workgroup_info 0
		.amdhsa_system_vgpr_workitem_id 1
		.amdhsa_next_free_vgpr 58
		.amdhsa_next_free_sgpr 13
		.amdhsa_reserve_vcc 1
		.amdhsa_reserve_flat_scratch 0
		.amdhsa_float_round_mode_32 0
		.amdhsa_float_round_mode_16_64 0
		.amdhsa_float_denorm_mode_32 3
		.amdhsa_float_denorm_mode_16_64 3
		.amdhsa_dx10_clamp 1
		.amdhsa_ieee_mode 1
		.amdhsa_fp16_overflow 0
		.amdhsa_workgroup_processor_mode 1
		.amdhsa_memory_ordered 1
		.amdhsa_forward_progress 1
		.amdhsa_shared_vgpr_count 0
		.amdhsa_exception_fp_ieee_invalid_op 0
		.amdhsa_exception_fp_denorm_src 0
		.amdhsa_exception_fp_ieee_div_zero 0
		.amdhsa_exception_fp_ieee_overflow 0
		.amdhsa_exception_fp_ieee_underflow 0
		.amdhsa_exception_fp_ieee_inexact 0
		.amdhsa_exception_int_div_zero 0
	.end_amdhsa_kernel
	.section	.text._ZL13mul_mat_vec_qIN3c104HalfELi256ELi8E12block_iq4_xsLi1EXadL_ZL19vec_dot_iq4_xs_q8_1PKvPK10block_q8_1RKiEEEvS4_S4_PT_iii,"axG",@progbits,_ZL13mul_mat_vec_qIN3c104HalfELi256ELi8E12block_iq4_xsLi1EXadL_ZL19vec_dot_iq4_xs_q8_1PKvPK10block_q8_1RKiEEEvS4_S4_PT_iii,comdat
.Lfunc_end95:
	.size	_ZL13mul_mat_vec_qIN3c104HalfELi256ELi8E12block_iq4_xsLi1EXadL_ZL19vec_dot_iq4_xs_q8_1PKvPK10block_q8_1RKiEEEvS4_S4_PT_iii, .Lfunc_end95-_ZL13mul_mat_vec_qIN3c104HalfELi256ELi8E12block_iq4_xsLi1EXadL_ZL19vec_dot_iq4_xs_q8_1PKvPK10block_q8_1RKiEEEvS4_S4_PT_iii
                                        ; -- End function
	.set _ZL13mul_mat_vec_qIN3c104HalfELi256ELi8E12block_iq4_xsLi1EXadL_ZL19vec_dot_iq4_xs_q8_1PKvPK10block_q8_1RKiEEEvS4_S4_PT_iii.num_vgpr, 58
	.set _ZL13mul_mat_vec_qIN3c104HalfELi256ELi8E12block_iq4_xsLi1EXadL_ZL19vec_dot_iq4_xs_q8_1PKvPK10block_q8_1RKiEEEvS4_S4_PT_iii.num_agpr, 0
	.set _ZL13mul_mat_vec_qIN3c104HalfELi256ELi8E12block_iq4_xsLi1EXadL_ZL19vec_dot_iq4_xs_q8_1PKvPK10block_q8_1RKiEEEvS4_S4_PT_iii.numbered_sgpr, 13
	.set _ZL13mul_mat_vec_qIN3c104HalfELi256ELi8E12block_iq4_xsLi1EXadL_ZL19vec_dot_iq4_xs_q8_1PKvPK10block_q8_1RKiEEEvS4_S4_PT_iii.num_named_barrier, 0
	.set _ZL13mul_mat_vec_qIN3c104HalfELi256ELi8E12block_iq4_xsLi1EXadL_ZL19vec_dot_iq4_xs_q8_1PKvPK10block_q8_1RKiEEEvS4_S4_PT_iii.private_seg_size, 0
	.set _ZL13mul_mat_vec_qIN3c104HalfELi256ELi8E12block_iq4_xsLi1EXadL_ZL19vec_dot_iq4_xs_q8_1PKvPK10block_q8_1RKiEEEvS4_S4_PT_iii.uses_vcc, 1
	.set _ZL13mul_mat_vec_qIN3c104HalfELi256ELi8E12block_iq4_xsLi1EXadL_ZL19vec_dot_iq4_xs_q8_1PKvPK10block_q8_1RKiEEEvS4_S4_PT_iii.uses_flat_scratch, 0
	.set _ZL13mul_mat_vec_qIN3c104HalfELi256ELi8E12block_iq4_xsLi1EXadL_ZL19vec_dot_iq4_xs_q8_1PKvPK10block_q8_1RKiEEEvS4_S4_PT_iii.has_dyn_sized_stack, 0
	.set _ZL13mul_mat_vec_qIN3c104HalfELi256ELi8E12block_iq4_xsLi1EXadL_ZL19vec_dot_iq4_xs_q8_1PKvPK10block_q8_1RKiEEEvS4_S4_PT_iii.has_recursion, 0
	.set _ZL13mul_mat_vec_qIN3c104HalfELi256ELi8E12block_iq4_xsLi1EXadL_ZL19vec_dot_iq4_xs_q8_1PKvPK10block_q8_1RKiEEEvS4_S4_PT_iii.has_indirect_call, 0
	.section	.AMDGPU.csdata,"",@progbits
; Kernel info:
; codeLenInByte = 1464
; TotalNumSgprs: 15
; NumVgprs: 58
; ScratchSize: 0
; MemoryBound: 0
; FloatMode: 240
; IeeeMode: 1
; LDSByteSize: 0 bytes/workgroup (compile time only)
; SGPRBlocks: 0
; VGPRBlocks: 7
; NumSGPRsForWavesPerEU: 15
; NumVGPRsForWavesPerEU: 58
; Occupancy: 16
; WaveLimiterHint : 0
; COMPUTE_PGM_RSRC2:SCRATCH_EN: 0
; COMPUTE_PGM_RSRC2:USER_SGPR: 6
; COMPUTE_PGM_RSRC2:TRAP_HANDLER: 0
; COMPUTE_PGM_RSRC2:TGID_X_EN: 1
; COMPUTE_PGM_RSRC2:TGID_Y_EN: 1
; COMPUTE_PGM_RSRC2:TGID_Z_EN: 0
; COMPUTE_PGM_RSRC2:TIDIG_COMP_CNT: 1
	.section	.text._ZL13mul_mat_vec_qIN3c104HalfELi256ELi8E11block_iq1_mLi1EXadL_ZL18vec_dot_iq1_m_q8_1PKvPK10block_q8_1RKiEEEvS4_S4_PT_iii,"axG",@progbits,_ZL13mul_mat_vec_qIN3c104HalfELi256ELi8E11block_iq1_mLi1EXadL_ZL18vec_dot_iq1_m_q8_1PKvPK10block_q8_1RKiEEEvS4_S4_PT_iii,comdat
	.globl	_ZL13mul_mat_vec_qIN3c104HalfELi256ELi8E11block_iq1_mLi1EXadL_ZL18vec_dot_iq1_m_q8_1PKvPK10block_q8_1RKiEEEvS4_S4_PT_iii ; -- Begin function _ZL13mul_mat_vec_qIN3c104HalfELi256ELi8E11block_iq1_mLi1EXadL_ZL18vec_dot_iq1_m_q8_1PKvPK10block_q8_1RKiEEEvS4_S4_PT_iii
	.p2align	8
	.type	_ZL13mul_mat_vec_qIN3c104HalfELi256ELi8E11block_iq1_mLi1EXadL_ZL18vec_dot_iq1_m_q8_1PKvPK10block_q8_1RKiEEEvS4_S4_PT_iii,@function
_ZL13mul_mat_vec_qIN3c104HalfELi256ELi8E11block_iq1_mLi1EXadL_ZL18vec_dot_iq1_m_q8_1PKvPK10block_q8_1RKiEEEvS4_S4_PT_iii: ; @_ZL13mul_mat_vec_qIN3c104HalfELi256ELi8E11block_iq1_mLi1EXadL_ZL18vec_dot_iq1_m_q8_1PKvPK10block_q8_1RKiEEEvS4_S4_PT_iii
; %bb.0:
	s_clause 0x1
	s_load_dword s8, s[4:5], 0x34
	s_load_dwordx4 s[0:3], s[4:5], 0x18
	s_waitcnt lgkmcnt(0)
	s_lshr_b32 s3, s8, 16
	s_cmp_lt_u32 s7, s2
	v_mad_u64_u32 v[1:2], null, s6, s3, v[1:2]
	s_cselect_b32 s2, -1, 0
	v_cmp_gt_u32_e32 vcc_lo, s1, v1
	s_and_b32 s2, s2, vcc_lo
	s_and_saveexec_b32 s3, s2
	s_cbranch_execz .LBB96_7
; %bb.1:
	s_load_dwordx2 s[2:3], s[4:5], 0x10
	s_ashr_i32 s6, s0, 31
	v_lshrrev_b32_e32 v5, 3, v0
	s_lshr_b32 s6, s6, 24
	v_mov_b32_e32 v4, 0
	s_add_i32 s6, s0, s6
	s_ashr_i32 s12, s6, 8
	s_mov_b32 s6, exec_lo
	v_cmpx_gt_u32_e64 s12, v5
	s_cbranch_execz .LBB96_5
; %bb.2:
	s_load_dwordx4 s[8:11], s[4:5], 0x0
	s_addk_i32 s0, 0x1ff
	v_and_b32_e32 v3, 1, v0
	s_ashr_i32 s4, s0, 31
	v_and_b32_e32 v2, 7, v0
	s_lshr_b32 s4, s4, 23
	v_bfe_u32 v11, v0, 1, 2
	s_add_i32 s0, s0, s4
	v_lshlrev_b32_e32 v10, 3, v5
	v_cmp_eq_u32_e32 vcc_lo, 1, v3
	s_ashr_i32 s0, s0, 9
	v_mul_lo_u32 v6, v1, s12
	v_lshlrev_b32_e32 v7, 1, v2
	v_lshlrev_b32_e32 v9, 2, v2
	s_mul_i32 s0, s7, s0
	v_mov_b32_e32 v4, 0
	v_cndmask_b32_e64 v8, 0, 6, vcc_lo
	v_lshl_add_u32 v10, s0, 4, v10
	v_lshlrev_b32_e32 v11, 1, v11
	v_mov_b32_e32 v12, 0xf0
	s_waitcnt lgkmcnt(0)
	v_mad_u64_u32 v[2:3], null, v2, 36, s[10:11]
	v_mov_b32_e32 v13, 0xffff
	v_mov_b32_e32 v14, 8
	s_mov_b32 s0, 0
	s_mov_b32 s4, 0xbd000000
.LBB96_3:                               ; =>This Inner Loop Header: Depth=1
	v_add_nc_u32_e32 v15, v6, v5
	v_mad_i64_i32 v[25:26], null, v10, 36, v[2:3]
	s_getpc_b64 s[10:11]
	s_add_u32 s10, s10, _ZL13iq1s_grid_gpu@rel32@lo+4
	s_addc_u32 s11, s11, _ZL13iq1s_grid_gpu@rel32@hi+12
	v_mov_b32_e32 v38, 0
	v_mad_i64_i32 v[23:24], null, v15, 56, s[8:9]
	v_mov_b32_e32 v37, 0
	v_add_nc_u32_e32 v5, 4, v5
	v_add_nc_u32_e32 v10, 32, v10
	v_add_co_u32 v15, vcc_lo, v23, v7
	v_add_co_ci_u32_e64 v16, null, 0, v24, vcc_lo
	v_add_co_u32 v17, vcc_lo, v23, v11
	v_add_co_ci_u32_e64 v18, null, 0, v24, vcc_lo
	;; [unrolled: 2-line block ×3, first 2 shown]
	s_clause 0x2
	global_load_ushort v27, v[17:18], off offset:48
	global_load_ushort v28, v[15:16], off offset:32
	global_load_dword v29, v[19:20], off
	s_clause 0x1
	global_load_dwordx4 v[15:18], v[25:26], off
	global_load_dwordx4 v[19:22], v[25:26], off offset:16
	global_load_dwordx2 v[23:24], v[23:24], off offset:48
	v_cmp_le_u32_e32 vcc_lo, s12, v5
	s_or_b32 s0, vcc_lo, s0
	s_waitcnt vmcnt(5)
	v_lshrrev_b32_e32 v27, v8, v27
	s_waitcnt vmcnt(4)
	v_and_b32_sdwa v31, v13, v28 dst_sel:DWORD dst_unused:UNUSED_PAD src0_sel:DWORD src1_sel:BYTE_1
	s_waitcnt vmcnt(3)
	v_and_b32_e32 v30, 0xff, v29
	v_lshlrev_b32_e32 v33, 8, v28
	v_bfe_u32 v35, v29, 16, 8
	v_bfe_u32 v32, v29, 8, 8
	v_lshrrev_b32_e32 v36, 4, v31
	v_lshlrev_b32_e32 v31, 8, v31
	v_lshlrev_b32_e32 v34, 4, v28
	v_and_or_b32 v30, 0x700, v33, v30
	v_bfe_u32 v39, v28, 4, 4
	v_alignbit_b32 v29, v36, v29, 24
	v_and_or_b32 v31, 0x700, v31, v35
	v_and_or_b32 v32, 0x700, v34, v32
	v_lshlrev_b32_e32 v30, 3, v30
	v_mov_b32_e32 v34, 0
	v_and_b32_e32 v29, 0x7ff, v29
	v_lshlrev_b32_e32 v31, 3, v31
	v_lshlrev_b32_e32 v32, 3, v32
	s_clause 0x1
	global_load_dword v30, v30, s[10:11]
	global_load_dword v32, v32, s[10:11]
	v_lshlrev_b32_e32 v29, 3, v29
	s_clause 0x1
	global_load_dword v31, v31, s[10:11]
	global_load_dword v29, v29, s[10:11]
	global_load_dword v25, v[25:26], off offset:32
	v_mov_b32_e32 v26, 0
	s_waitcnt vmcnt(6)
	v_dot4c_i32_i8 v34, 0x1010101, v20
	v_and_b32_sdwa v40, v28, v14 dst_sel:DWORD dst_unused:UNUSED_PAD src0_sel:BYTE_1 src1_sel:DWORD
	v_and_b32_e32 v28, 8, v28
	v_and_b32_e32 v36, 8, v36
	v_dot4c_i32_i8 v26, 0x1010101, v16
	v_dot4c_i32_i8 v34, 0x1010101, v21
	v_cvt_f32_ubyte0_e32 v40, v40
	v_cvt_f32_ubyte0_e32 v28, v28
	v_mov_b32_e32 v35, 0
	v_dot4c_i32_i8 v26, 0x1010101, v17
	v_cvt_f32_i32_e32 v34, v34
	v_fmaak_f32 v40, s4, v40, 0xbf600000
	v_fmaak_f32 v28, s4, v28, 0xbf600000
	v_mov_b32_e32 v33, 0
	v_cvt_f32_i32_e32 v26, v26
	v_dot4c_i32_i8 v35, 0x1010101, v22
	s_waitcnt vmcnt(5)
	v_pk_lshrrev_b16 v23, 0x8000c, v23
	v_pk_lshrrev_b16 v24, 4, v24
	v_dot4c_i32_i8 v33, 0x1010101, v18
	v_fma_f32 v26, v28, v26, 0
	v_fma_f32 v28, v40, v34, 0
	v_cvt_f32_ubyte0_e32 v34, v36
	v_and_b32_sdwa v41, v23, v12 dst_sel:DWORD dst_unused:UNUSED_PAD src0_sel:WORD_1 src1_sel:DWORD
	v_lshlrev_b32_e32 v42, 1, v27
	v_lshrrev_b32_e32 v27, 2, v27
	v_and_b32_e32 v39, 8, v39
	v_dot4c_i32_i8 v33, 0x1010101, v19
	v_and_b32_e32 v24, 0xf0000f00, v24
	v_or_b32_e32 v23, v41, v23
	v_and_b32_e32 v27, 14, v27
	v_cvt_f32_ubyte0_e32 v39, v39
	v_cvt_f32_i32_e32 v33, v33
	v_and_b32_e32 v41, 14, v42
	v_or_b32_e32 v23, v23, v24
	v_cvt_f32_f16_e32 v15, v15
	s_waitcnt vmcnt(4)
	v_lshrrev_b32_e32 v40, 4, v30
	v_and_b32_e32 v30, 0xf0f0f0f, v30
	s_waitcnt vmcnt(2)
	v_lshrrev_b32_e32 v36, 4, v31
	v_and_b32_e32 v31, 0xf0f0f0f, v31
	v_dot4c_i32_i8 v37, v30, v16
	s_waitcnt vmcnt(1)
	v_and_b32_e32 v16, 0xf0f0f0f, v29
	v_lshrrev_b32_e32 v29, 4, v29
	v_and_b32_e32 v36, 0xf0f0f0f, v36
	v_dot4c_i32_i8 v38, v31, v20
	v_and_b32_e32 v20, 0xf0f0f0f, v40
	s_waitcnt vmcnt(0)
	v_dot4c_i32_i8 v35, 0x1010101, v25
	v_lshrrev_b32_e32 v30, 4, v32
	v_dot4c_i32_i8 v38, v36, v21
	v_and_b32_e32 v21, 0xf0f0f0f, v32
	v_dot4c_i32_i8 v37, v20, v17
	v_and_b32_e32 v17, 0xf0f0f0f, v29
	v_cvt_f32_i32_e32 v35, v35
	v_dot4c_i32_i8 v38, v16, v22
	v_fmaak_f32 v20, s4, v34, 0xbf600000
	v_and_b32_e32 v22, 0xf0f0f0f, v30
	v_dot4c_i32_i8 v37, v21, v18
	v_fmaak_f32 v16, s4, v39, 0xbf600000
	v_dot4c_i32_i8 v38, v17, v25
	v_or_b32_e32 v17, 1, v27
	v_fmac_f32_e32 v28, v20, v35
	v_dot4c_i32_i8 v37, v22, v19
	v_or_b32_e32 v18, 1, v41
	v_cvt_f32_i32_e32 v19, v38
	v_or_b32_sdwa v20, v23, v24 dst_sel:DWORD dst_unused:UNUSED_PAD src0_sel:DWORD src1_sel:WORD_1
	v_fmac_f32_e32 v26, v16, v33
	v_cvt_f32_ubyte0_e32 v16, v17
	v_cvt_f32_i32_e32 v17, v37
	v_add_f32_e32 v19, v28, v19
	v_cvt_f32_ubyte0_e32 v18, v18
	v_cvt_f32_f16_e32 v20, v20
	v_add_f32_e32 v17, v26, v17
	v_mul_f32_e32 v16, v19, v16
	v_mul_f32_e32 v15, v15, v20
	v_fmac_f32_e32 v16, v17, v18
	v_fmac_f32_e32 v4, v15, v16
	s_andn2_b32 exec_lo, exec_lo, s0
	s_cbranch_execnz .LBB96_3
; %bb.4:
	s_or_b32 exec_lo, exec_lo, s0
.LBB96_5:
	s_or_b32 exec_lo, exec_lo, s6
	v_mbcnt_lo_u32_b32 v2, -1, 0
	v_xor_b32_e32 v3, 16, v2
	v_xor_b32_e32 v5, 8, v2
	v_cmp_gt_i32_e32 vcc_lo, 32, v3
	v_cndmask_b32_e32 v3, v2, v3, vcc_lo
	v_cmp_gt_i32_e32 vcc_lo, 32, v5
	v_lshlrev_b32_e32 v3, 2, v3
	v_cndmask_b32_e32 v5, v2, v5, vcc_lo
	ds_bpermute_b32 v3, v3, v4
	v_lshlrev_b32_e32 v5, 2, v5
	s_waitcnt lgkmcnt(0)
	v_add_f32_e32 v3, v4, v3
	ds_bpermute_b32 v4, v5, v3
	v_xor_b32_e32 v5, 4, v2
	v_cmp_gt_i32_e32 vcc_lo, 32, v5
	v_cndmask_b32_e32 v5, v2, v5, vcc_lo
	v_lshlrev_b32_e32 v5, 2, v5
	s_waitcnt lgkmcnt(0)
	v_add_f32_e32 v3, v3, v4
	ds_bpermute_b32 v4, v5, v3
	v_xor_b32_e32 v5, 2, v2
	v_cmp_gt_i32_e32 vcc_lo, 32, v5
	v_cndmask_b32_e32 v5, v2, v5, vcc_lo
	;; [unrolled: 7-line block ×3, first 2 shown]
	v_cmp_eq_u32_e32 vcc_lo, 0, v0
	s_waitcnt lgkmcnt(0)
	v_add_f32_e32 v2, v3, v4
	v_lshlrev_b32_e32 v3, 2, v5
	ds_bpermute_b32 v3, v3, v2
	s_and_b32 exec_lo, exec_lo, vcc_lo
	s_cbranch_execz .LBB96_7
; %bb.6:
	v_mad_u64_u32 v[0:1], null, s1, s7, v[1:2]
	v_mov_b32_e32 v1, 0
	s_waitcnt lgkmcnt(0)
	v_add_f32_e32 v2, v2, v3
	v_cvt_f16_f32_e32 v2, v2
	v_lshlrev_b64 v[0:1], 1, v[0:1]
	v_add_co_u32 v0, vcc_lo, s2, v0
	v_add_co_ci_u32_e64 v1, null, s3, v1, vcc_lo
	global_store_short v[0:1], v2, off
.LBB96_7:
	s_endpgm
	.section	.rodata,"a",@progbits
	.p2align	6, 0x0
	.amdhsa_kernel _ZL13mul_mat_vec_qIN3c104HalfELi256ELi8E11block_iq1_mLi1EXadL_ZL18vec_dot_iq1_m_q8_1PKvPK10block_q8_1RKiEEEvS4_S4_PT_iii
		.amdhsa_group_segment_fixed_size 0
		.amdhsa_private_segment_fixed_size 0
		.amdhsa_kernarg_size 296
		.amdhsa_user_sgpr_count 6
		.amdhsa_user_sgpr_private_segment_buffer 1
		.amdhsa_user_sgpr_dispatch_ptr 0
		.amdhsa_user_sgpr_queue_ptr 0
		.amdhsa_user_sgpr_kernarg_segment_ptr 1
		.amdhsa_user_sgpr_dispatch_id 0
		.amdhsa_user_sgpr_flat_scratch_init 0
		.amdhsa_user_sgpr_private_segment_size 0
		.amdhsa_wavefront_size32 1
		.amdhsa_uses_dynamic_stack 0
		.amdhsa_system_sgpr_private_segment_wavefront_offset 0
		.amdhsa_system_sgpr_workgroup_id_x 1
		.amdhsa_system_sgpr_workgroup_id_y 1
		.amdhsa_system_sgpr_workgroup_id_z 0
		.amdhsa_system_sgpr_workgroup_info 0
		.amdhsa_system_vgpr_workitem_id 1
		.amdhsa_next_free_vgpr 43
		.amdhsa_next_free_sgpr 13
		.amdhsa_reserve_vcc 1
		.amdhsa_reserve_flat_scratch 0
		.amdhsa_float_round_mode_32 0
		.amdhsa_float_round_mode_16_64 0
		.amdhsa_float_denorm_mode_32 3
		.amdhsa_float_denorm_mode_16_64 3
		.amdhsa_dx10_clamp 1
		.amdhsa_ieee_mode 1
		.amdhsa_fp16_overflow 0
		.amdhsa_workgroup_processor_mode 1
		.amdhsa_memory_ordered 1
		.amdhsa_forward_progress 1
		.amdhsa_shared_vgpr_count 0
		.amdhsa_exception_fp_ieee_invalid_op 0
		.amdhsa_exception_fp_denorm_src 0
		.amdhsa_exception_fp_ieee_div_zero 0
		.amdhsa_exception_fp_ieee_overflow 0
		.amdhsa_exception_fp_ieee_underflow 0
		.amdhsa_exception_fp_ieee_inexact 0
		.amdhsa_exception_int_div_zero 0
	.end_amdhsa_kernel
	.section	.text._ZL13mul_mat_vec_qIN3c104HalfELi256ELi8E11block_iq1_mLi1EXadL_ZL18vec_dot_iq1_m_q8_1PKvPK10block_q8_1RKiEEEvS4_S4_PT_iii,"axG",@progbits,_ZL13mul_mat_vec_qIN3c104HalfELi256ELi8E11block_iq1_mLi1EXadL_ZL18vec_dot_iq1_m_q8_1PKvPK10block_q8_1RKiEEEvS4_S4_PT_iii,comdat
.Lfunc_end96:
	.size	_ZL13mul_mat_vec_qIN3c104HalfELi256ELi8E11block_iq1_mLi1EXadL_ZL18vec_dot_iq1_m_q8_1PKvPK10block_q8_1RKiEEEvS4_S4_PT_iii, .Lfunc_end96-_ZL13mul_mat_vec_qIN3c104HalfELi256ELi8E11block_iq1_mLi1EXadL_ZL18vec_dot_iq1_m_q8_1PKvPK10block_q8_1RKiEEEvS4_S4_PT_iii
                                        ; -- End function
	.set _ZL13mul_mat_vec_qIN3c104HalfELi256ELi8E11block_iq1_mLi1EXadL_ZL18vec_dot_iq1_m_q8_1PKvPK10block_q8_1RKiEEEvS4_S4_PT_iii.num_vgpr, 43
	.set _ZL13mul_mat_vec_qIN3c104HalfELi256ELi8E11block_iq1_mLi1EXadL_ZL18vec_dot_iq1_m_q8_1PKvPK10block_q8_1RKiEEEvS4_S4_PT_iii.num_agpr, 0
	.set _ZL13mul_mat_vec_qIN3c104HalfELi256ELi8E11block_iq1_mLi1EXadL_ZL18vec_dot_iq1_m_q8_1PKvPK10block_q8_1RKiEEEvS4_S4_PT_iii.numbered_sgpr, 13
	.set _ZL13mul_mat_vec_qIN3c104HalfELi256ELi8E11block_iq1_mLi1EXadL_ZL18vec_dot_iq1_m_q8_1PKvPK10block_q8_1RKiEEEvS4_S4_PT_iii.num_named_barrier, 0
	.set _ZL13mul_mat_vec_qIN3c104HalfELi256ELi8E11block_iq1_mLi1EXadL_ZL18vec_dot_iq1_m_q8_1PKvPK10block_q8_1RKiEEEvS4_S4_PT_iii.private_seg_size, 0
	.set _ZL13mul_mat_vec_qIN3c104HalfELi256ELi8E11block_iq1_mLi1EXadL_ZL18vec_dot_iq1_m_q8_1PKvPK10block_q8_1RKiEEEvS4_S4_PT_iii.uses_vcc, 1
	.set _ZL13mul_mat_vec_qIN3c104HalfELi256ELi8E11block_iq1_mLi1EXadL_ZL18vec_dot_iq1_m_q8_1PKvPK10block_q8_1RKiEEEvS4_S4_PT_iii.uses_flat_scratch, 0
	.set _ZL13mul_mat_vec_qIN3c104HalfELi256ELi8E11block_iq1_mLi1EXadL_ZL18vec_dot_iq1_m_q8_1PKvPK10block_q8_1RKiEEEvS4_S4_PT_iii.has_dyn_sized_stack, 0
	.set _ZL13mul_mat_vec_qIN3c104HalfELi256ELi8E11block_iq1_mLi1EXadL_ZL18vec_dot_iq1_m_q8_1PKvPK10block_q8_1RKiEEEvS4_S4_PT_iii.has_recursion, 0
	.set _ZL13mul_mat_vec_qIN3c104HalfELi256ELi8E11block_iq1_mLi1EXadL_ZL18vec_dot_iq1_m_q8_1PKvPK10block_q8_1RKiEEEvS4_S4_PT_iii.has_indirect_call, 0
	.section	.AMDGPU.csdata,"",@progbits
; Kernel info:
; codeLenInByte = 1300
; TotalNumSgprs: 15
; NumVgprs: 43
; ScratchSize: 0
; MemoryBound: 0
; FloatMode: 240
; IeeeMode: 1
; LDSByteSize: 0 bytes/workgroup (compile time only)
; SGPRBlocks: 0
; VGPRBlocks: 5
; NumSGPRsForWavesPerEU: 15
; NumVGPRsForWavesPerEU: 43
; Occupancy: 16
; WaveLimiterHint : 0
; COMPUTE_PGM_RSRC2:SCRATCH_EN: 0
; COMPUTE_PGM_RSRC2:USER_SGPR: 6
; COMPUTE_PGM_RSRC2:TRAP_HANDLER: 0
; COMPUTE_PGM_RSRC2:TGID_X_EN: 1
; COMPUTE_PGM_RSRC2:TGID_Y_EN: 1
; COMPUTE_PGM_RSRC2:TGID_Z_EN: 0
; COMPUTE_PGM_RSRC2:TIDIG_COMP_CNT: 1
	.section	.text._ZL13quantize_q8_1IN3c108BFloat16EEvPKT_Pvii,"axG",@progbits,_ZL13quantize_q8_1IN3c108BFloat16EEvPKT_Pvii,comdat
	.globl	_ZL13quantize_q8_1IN3c108BFloat16EEvPKT_Pvii ; -- Begin function _ZL13quantize_q8_1IN3c108BFloat16EEvPKT_Pvii
	.p2align	8
	.type	_ZL13quantize_q8_1IN3c108BFloat16EEvPKT_Pvii,@function
_ZL13quantize_q8_1IN3c108BFloat16EEvPKT_Pvii: ; @_ZL13quantize_q8_1IN3c108BFloat16EEvPKT_Pvii
; %bb.0:
	s_clause 0x1
	s_load_dword s8, s[4:5], 0x24
	s_load_dwordx2 s[0:1], s[4:5], 0x10
	s_add_u32 s2, s4, 24
	s_addc_u32 s3, s5, 0
	s_waitcnt lgkmcnt(0)
	s_and_b32 s8, s8, 0xffff
	v_mad_u64_u32 v[2:3], null, s6, s8, v[0:1]
	s_mov_b32 s6, exec_lo
	v_cmpx_gt_u32_e64 s1, v2
	s_cbranch_execz .LBB97_7
; %bb.1:
	s_load_dword s2, s[2:3], 0xc
	v_mov_b32_e32 v3, 0
	s_waitcnt lgkmcnt(0)
	s_lshr_b32 s2, s2, 16
	v_mad_u64_u32 v[0:1], null, s7, s2, v[1:2]
	v_mov_b32_e32 v1, 0
	s_mov_b32 s2, exec_lo
	v_cmpx_gt_u32_e64 s0, v2
	s_cbranch_execz .LBB97_3
; %bb.2:
	s_load_dwordx2 s[6:7], s[4:5], 0x0
	v_mad_u64_u32 v[4:5], null, v0, s0, v[2:3]
	v_mov_b32_e32 v5, 0
	v_lshlrev_b64 v[4:5], 1, v[4:5]
	s_waitcnt lgkmcnt(0)
	v_add_co_u32 v4, vcc_lo, s6, v4
	v_add_co_ci_u32_e64 v5, null, s7, v5, vcc_lo
	global_load_ushort v1, v[4:5], off
	s_waitcnt vmcnt(0)
	v_lshlrev_b32_e32 v1, 16, v1
.LBB97_3:
	s_or_b32 exec_lo, exec_lo, s2
	v_mbcnt_lo_u32_b32 v4, -1, 0
	v_and_b32_e32 v6, 0x7fffffff, v1
	v_max_f32_e64 v8, |v1|, |v1|
	s_load_dwordx2 s[2:3], s[4:5], 0x8
	s_mov_b32 s0, exec_lo
	v_xor_b32_e32 v5, 16, v4
	v_xor_b32_e32 v7, 8, v4
	;; [unrolled: 1-line block ×5, first 2 shown]
	v_cmp_gt_i32_e32 vcc_lo, 32, v5
	v_cndmask_b32_e32 v5, v4, v5, vcc_lo
	v_cmp_gt_i32_e32 vcc_lo, 32, v7
	v_lshlrev_b32_e32 v5, 2, v5
	v_cndmask_b32_e32 v7, v4, v7, vcc_lo
	v_cmp_gt_i32_e32 vcc_lo, 32, v9
	ds_bpermute_b32 v6, v5, v6
	v_lshlrev_b32_e32 v7, 2, v7
	v_cndmask_b32_e32 v9, v4, v9, vcc_lo
	v_cmp_gt_i32_e32 vcc_lo, 32, v10
	ds_bpermute_b32 v5, v5, v1
	v_lshlrev_b32_e32 v9, 2, v9
	v_cndmask_b32_e32 v10, v4, v10, vcc_lo
	v_cmp_gt_i32_e32 vcc_lo, 32, v11
	v_lshlrev_b32_e32 v10, 2, v10
	v_cndmask_b32_e32 v4, v4, v11, vcc_lo
	v_lshlrev_b32_e32 v11, 2, v4
	s_waitcnt lgkmcnt(0)
	v_max_f32_e32 v6, v6, v6
	v_add_f32_e32 v5, v1, v5
	v_max_f32_e32 v6, v8, v6
	ds_bpermute_b32 v8, v7, v6
	ds_bpermute_b32 v7, v7, v5
	s_waitcnt lgkmcnt(1)
	v_max_f32_e32 v8, v8, v8
	s_waitcnt lgkmcnt(0)
	v_add_f32_e32 v5, v5, v7
	v_max_f32_e32 v6, v6, v8
	ds_bpermute_b32 v7, v9, v5
	ds_bpermute_b32 v8, v9, v6
	s_waitcnt lgkmcnt(0)
	v_max_f32_e32 v8, v8, v8
	v_max_f32_e32 v6, v6, v8
	ds_bpermute_b32 v8, v10, v6
	s_waitcnt lgkmcnt(0)
	v_max_f32_e32 v8, v8, v8
	v_max_f32_e32 v4, v6, v8
	;; [unrolled: 4-line block ×3, first 2 shown]
	v_add_f32_e32 v4, v5, v7
	v_div_scale_f32 v6, null, 0x42fe0000, 0x42fe0000, v8
	ds_bpermute_b32 v5, v10, v4
	v_div_scale_f32 v10, vcc_lo, v8, 0x42fe0000, v8
	v_rcp_f32_e32 v9, v6
	v_fma_f32 v7, -v6, v9, 1.0
	v_fmac_f32_e32 v9, v7, v9
	s_waitcnt lgkmcnt(0)
	v_add_f32_e32 v4, v4, v5
	v_mul_f32_e32 v7, v10, v9
	ds_bpermute_b32 v5, v11, v4
	v_fma_f32 v12, -v6, v7, v10
	v_fmac_f32_e32 v7, v12, v9
	v_fma_f32 v6, -v6, v7, v10
	v_div_fmas_f32 v6, v6, v9, v7
	v_div_fixup_f32 v6, v6, 0x42fe0000, v8
	v_cmpx_neq_f32_e32 0, v8
	s_cbranch_execz .LBB97_5
; %bb.4:
	v_div_scale_f32 v3, null, v6, v6, v1
	v_div_scale_f32 v9, vcc_lo, v1, v6, v1
	v_rcp_f32_e32 v7, v3
	v_fma_f32 v8, -v3, v7, 1.0
	v_fmac_f32_e32 v7, v8, v7
	v_mul_f32_e32 v8, v9, v7
	v_fma_f32 v10, -v3, v8, v9
	v_fmac_f32_e32 v8, v10, v7
	v_fma_f32 v3, -v3, v8, v9
	v_div_fmas_f32 v3, v3, v7, v8
	v_div_fixup_f32 v1, v3, v6, v1
	v_trunc_f32_e32 v3, v1
	v_sub_f32_e32 v7, v1, v3
	v_cmp_ge_f32_e64 s4, |v7|, 0.5
	v_cndmask_b32_e64 v7, 0, 1.0, s4
	v_bfi_b32 v1, 0x7fffffff, v7, v1
	v_add_f32_e32 v1, v3, v1
	v_cvt_i32_f32_e32 v3, v1
.LBB97_5:
	s_or_b32 exec_lo, exec_lo, s0
	v_mad_u64_u32 v[0:1], null, v0, s1, v[2:3]
	v_ashrrev_i32_e32 v1, 31, v0
	v_lshrrev_b32_e32 v1, 27, v1
	v_add_nc_u32_e32 v1, v0, v1
	v_and_b32_e32 v2, 0xffffffe0, v1
	v_ashrrev_i32_e32 v1, 5, v1
	v_sub_nc_u32_e32 v2, v0, v2
	v_mad_i64_i32 v[0:1], null, v1, 36, s[2:3]
	v_ashrrev_i32_e32 v8, 31, v2
	v_add_co_u32 v7, vcc_lo, v0, v2
	v_add_co_ci_u32_e64 v8, null, v1, v8, vcc_lo
	v_cmp_gt_i32_e32 vcc_lo, 1, v2
	global_store_byte v[7:8], v3, off offset:4
	s_and_b32 exec_lo, exec_lo, vcc_lo
	s_cbranch_execz .LBB97_7
; %bb.6:
	s_waitcnt lgkmcnt(0)
	v_add_f32_e32 v2, v4, v5
	v_cvt_f16_f32_e32 v3, v6
	v_cvt_f16_f32_e32 v2, v2
	v_pack_b32_f16 v2, v3, v2
	global_store_dword v[0:1], v2, off
.LBB97_7:
	s_endpgm
	.section	.rodata,"a",@progbits
	.p2align	6, 0x0
	.amdhsa_kernel _ZL13quantize_q8_1IN3c108BFloat16EEvPKT_Pvii
		.amdhsa_group_segment_fixed_size 0
		.amdhsa_private_segment_fixed_size 0
		.amdhsa_kernarg_size 280
		.amdhsa_user_sgpr_count 6
		.amdhsa_user_sgpr_private_segment_buffer 1
		.amdhsa_user_sgpr_dispatch_ptr 0
		.amdhsa_user_sgpr_queue_ptr 0
		.amdhsa_user_sgpr_kernarg_segment_ptr 1
		.amdhsa_user_sgpr_dispatch_id 0
		.amdhsa_user_sgpr_flat_scratch_init 0
		.amdhsa_user_sgpr_private_segment_size 0
		.amdhsa_wavefront_size32 1
		.amdhsa_uses_dynamic_stack 0
		.amdhsa_system_sgpr_private_segment_wavefront_offset 0
		.amdhsa_system_sgpr_workgroup_id_x 1
		.amdhsa_system_sgpr_workgroup_id_y 1
		.amdhsa_system_sgpr_workgroup_id_z 0
		.amdhsa_system_sgpr_workgroup_info 0
		.amdhsa_system_vgpr_workitem_id 1
		.amdhsa_next_free_vgpr 13
		.amdhsa_next_free_sgpr 9
		.amdhsa_reserve_vcc 1
		.amdhsa_reserve_flat_scratch 0
		.amdhsa_float_round_mode_32 0
		.amdhsa_float_round_mode_16_64 0
		.amdhsa_float_denorm_mode_32 3
		.amdhsa_float_denorm_mode_16_64 3
		.amdhsa_dx10_clamp 1
		.amdhsa_ieee_mode 1
		.amdhsa_fp16_overflow 0
		.amdhsa_workgroup_processor_mode 1
		.amdhsa_memory_ordered 1
		.amdhsa_forward_progress 1
		.amdhsa_shared_vgpr_count 0
		.amdhsa_exception_fp_ieee_invalid_op 0
		.amdhsa_exception_fp_denorm_src 0
		.amdhsa_exception_fp_ieee_div_zero 0
		.amdhsa_exception_fp_ieee_overflow 0
		.amdhsa_exception_fp_ieee_underflow 0
		.amdhsa_exception_fp_ieee_inexact 0
		.amdhsa_exception_int_div_zero 0
	.end_amdhsa_kernel
	.section	.text._ZL13quantize_q8_1IN3c108BFloat16EEvPKT_Pvii,"axG",@progbits,_ZL13quantize_q8_1IN3c108BFloat16EEvPKT_Pvii,comdat
.Lfunc_end97:
	.size	_ZL13quantize_q8_1IN3c108BFloat16EEvPKT_Pvii, .Lfunc_end97-_ZL13quantize_q8_1IN3c108BFloat16EEvPKT_Pvii
                                        ; -- End function
	.set _ZL13quantize_q8_1IN3c108BFloat16EEvPKT_Pvii.num_vgpr, 13
	.set _ZL13quantize_q8_1IN3c108BFloat16EEvPKT_Pvii.num_agpr, 0
	.set _ZL13quantize_q8_1IN3c108BFloat16EEvPKT_Pvii.numbered_sgpr, 9
	.set _ZL13quantize_q8_1IN3c108BFloat16EEvPKT_Pvii.num_named_barrier, 0
	.set _ZL13quantize_q8_1IN3c108BFloat16EEvPKT_Pvii.private_seg_size, 0
	.set _ZL13quantize_q8_1IN3c108BFloat16EEvPKT_Pvii.uses_vcc, 1
	.set _ZL13quantize_q8_1IN3c108BFloat16EEvPKT_Pvii.uses_flat_scratch, 0
	.set _ZL13quantize_q8_1IN3c108BFloat16EEvPKT_Pvii.has_dyn_sized_stack, 0
	.set _ZL13quantize_q8_1IN3c108BFloat16EEvPKT_Pvii.has_recursion, 0
	.set _ZL13quantize_q8_1IN3c108BFloat16EEvPKT_Pvii.has_indirect_call, 0
	.section	.AMDGPU.csdata,"",@progbits
; Kernel info:
; codeLenInByte = 792
; TotalNumSgprs: 11
; NumVgprs: 13
; ScratchSize: 0
; MemoryBound: 0
; FloatMode: 240
; IeeeMode: 1
; LDSByteSize: 0 bytes/workgroup (compile time only)
; SGPRBlocks: 0
; VGPRBlocks: 1
; NumSGPRsForWavesPerEU: 11
; NumVGPRsForWavesPerEU: 13
; Occupancy: 16
; WaveLimiterHint : 0
; COMPUTE_PGM_RSRC2:SCRATCH_EN: 0
; COMPUTE_PGM_RSRC2:USER_SGPR: 6
; COMPUTE_PGM_RSRC2:TRAP_HANDLER: 0
; COMPUTE_PGM_RSRC2:TGID_X_EN: 1
; COMPUTE_PGM_RSRC2:TGID_Y_EN: 1
; COMPUTE_PGM_RSRC2:TGID_Z_EN: 0
; COMPUTE_PGM_RSRC2:TIDIG_COMP_CNT: 1
	.section	.text._ZL13mul_mat_vec_qIN3c108BFloat16ELi32ELi4E10block_q4_0Li2EXadL_ZL17vec_dot_q4_0_q8_1PKvPK10block_q8_1RKiEEEvS4_S4_PT_iii,"axG",@progbits,_ZL13mul_mat_vec_qIN3c108BFloat16ELi32ELi4E10block_q4_0Li2EXadL_ZL17vec_dot_q4_0_q8_1PKvPK10block_q8_1RKiEEEvS4_S4_PT_iii,comdat
	.globl	_ZL13mul_mat_vec_qIN3c108BFloat16ELi32ELi4E10block_q4_0Li2EXadL_ZL17vec_dot_q4_0_q8_1PKvPK10block_q8_1RKiEEEvS4_S4_PT_iii ; -- Begin function _ZL13mul_mat_vec_qIN3c108BFloat16ELi32ELi4E10block_q4_0Li2EXadL_ZL17vec_dot_q4_0_q8_1PKvPK10block_q8_1RKiEEEvS4_S4_PT_iii
	.p2align	8
	.type	_ZL13mul_mat_vec_qIN3c108BFloat16ELi32ELi4E10block_q4_0Li2EXadL_ZL17vec_dot_q4_0_q8_1PKvPK10block_q8_1RKiEEEvS4_S4_PT_iii,@function
_ZL13mul_mat_vec_qIN3c108BFloat16ELi32ELi4E10block_q4_0Li2EXadL_ZL17vec_dot_q4_0_q8_1PKvPK10block_q8_1RKiEEEvS4_S4_PT_iii: ; @_ZL13mul_mat_vec_qIN3c108BFloat16ELi32ELi4E10block_q4_0Li2EXadL_ZL17vec_dot_q4_0_q8_1PKvPK10block_q8_1RKiEEEvS4_S4_PT_iii
; %bb.0:
	s_clause 0x1
	s_load_dword s8, s[4:5], 0x34
	s_load_dwordx4 s[0:3], s[4:5], 0x18
	s_waitcnt lgkmcnt(0)
	s_lshr_b32 s3, s8, 16
	s_cmp_lt_u32 s7, s2
	v_mad_u64_u32 v[1:2], null, s6, s3, v[1:2]
	s_cselect_b32 s2, -1, 0
	v_cmp_gt_u32_e32 vcc_lo, s1, v1
	s_and_b32 s2, s2, vcc_lo
	s_and_saveexec_b32 s3, s2
	s_cbranch_execz .LBB98_7
; %bb.1:
	s_load_dwordx2 s[2:3], s[4:5], 0x10
	s_ashr_i32 s6, s0, 31
	v_lshrrev_b32_e32 v3, 1, v0
	s_lshr_b32 s6, s6, 27
	v_mov_b32_e32 v2, 0
	s_add_i32 s6, s0, s6
	s_ashr_i32 s12, s6, 5
	s_mov_b32 s6, exec_lo
	v_cmpx_gt_u32_e64 s12, v3
	s_cbranch_execz .LBB98_5
; %bb.2:
	s_load_dwordx4 s[8:11], s[4:5], 0x0
	s_addk_i32 s0, 0x1ff
	v_lshlrev_b32_e32 v2, 3, v0
	s_ashr_i32 s4, s0, 31
	v_mul_lo_u32 v4, v1, s12
	s_lshr_b32 s4, s4, 23
	s_add_i32 s0, s0, s4
	v_and_b32_e32 v5, 8, v2
	s_ashr_i32 s0, s0, 9
	v_mov_b32_e32 v2, 0
	s_mul_i32 s0, s7, s0
	s_mov_b32 s4, 0
	s_lshl_b32 s0, s0, 4
.LBB98_3:                               ; =>This Inner Loop Header: Depth=1
	v_add_nc_u32_e32 v6, v4, v3
	v_add_nc_u32_e32 v8, s0, v3
	;; [unrolled: 1-line block ×3, first 2 shown]
	s_waitcnt lgkmcnt(0)
	v_mad_i64_i32 v[6:7], null, v6, 18, s[8:9]
	v_mad_i64_i32 v[8:9], null, v8, 36, s[10:11]
	v_add_co_u32 v10, vcc_lo, v6, v5
	v_add_co_ci_u32_e64 v11, null, 0, v7, vcc_lo
	v_add_co_u32 v12, vcc_lo, v8, v5
	v_add_co_ci_u32_e64 v13, null, 0, v9, vcc_lo
	global_load_dwordx2 v[10:11], v[10:11], off offset:2
	s_clause 0x2
	global_load_dwordx2 v[14:15], v[12:13], off offset:4
	global_load_dwordx2 v[12:13], v[12:13], off offset:20
	global_load_dword v8, v[8:9], off
	global_load_ushort v6, v[6:7], off
	v_mov_b32_e32 v7, 0
	v_cmp_le_u32_e32 vcc_lo, s12, v3
	s_or_b32 s4, vcc_lo, s4
	s_waitcnt vmcnt(4)
	v_lshrrev_b32_e32 v9, 4, v10
	v_and_b32_e32 v10, 0xf0f0f0f, v10
	v_and_b32_e32 v9, 0xf0f0f0f, v9
	s_waitcnt vmcnt(3)
	v_dot4c_i32_i8 v7, v10, v14
	v_and_b32_e32 v10, 0xf0f0f0f, v11
	v_lshrrev_b32_e32 v11, 4, v11
	s_waitcnt vmcnt(2)
	v_dot4c_i32_i8 v7, v9, v12
	v_and_b32_e32 v9, 0xf0f0f0f, v11
	v_dot4c_i32_i8 v7, v10, v15
	s_waitcnt vmcnt(1)
	v_cvt_f32_f16_sdwa v10, v8 dst_sel:DWORD dst_unused:UNUSED_PAD src0_sel:WORD_1
	v_dot4c_i32_i8 v7, v9, v13
	v_mul_f32_e32 v9, -4.0, v10
	v_cvt_f32_i32_e32 v7, v7
	v_fma_mix_f32 v7, v7, v8, v9 op_sel_hi:[0,1,0]
	s_waitcnt vmcnt(0)
	v_fma_mix_f32 v2, v7, v6, v2 op_sel_hi:[0,1,0]
	s_andn2_b32 exec_lo, exec_lo, s4
	s_cbranch_execnz .LBB98_3
; %bb.4:
	s_or_b32 exec_lo, exec_lo, s4
.LBB98_5:
	s_or_b32 exec_lo, exec_lo, s6
	v_mbcnt_lo_u32_b32 v3, -1, 0
	v_xor_b32_e32 v4, 16, v3
	v_xor_b32_e32 v5, 8, v3
	v_cmp_gt_i32_e32 vcc_lo, 32, v4
	v_cndmask_b32_e32 v4, v3, v4, vcc_lo
	v_cmp_gt_i32_e32 vcc_lo, 32, v5
	v_lshlrev_b32_e32 v4, 2, v4
	v_cndmask_b32_e32 v5, v3, v5, vcc_lo
	ds_bpermute_b32 v4, v4, v2
	v_lshlrev_b32_e32 v5, 2, v5
	s_waitcnt lgkmcnt(0)
	v_add_f32_e32 v2, v2, v4
	ds_bpermute_b32 v4, v5, v2
	v_xor_b32_e32 v5, 4, v3
	v_cmp_gt_i32_e32 vcc_lo, 32, v5
	v_cndmask_b32_e32 v5, v3, v5, vcc_lo
	v_lshlrev_b32_e32 v5, 2, v5
	s_waitcnt lgkmcnt(0)
	v_add_f32_e32 v2, v2, v4
	ds_bpermute_b32 v4, v5, v2
	v_xor_b32_e32 v5, 2, v3
	v_cmp_gt_i32_e32 vcc_lo, 32, v5
	v_cndmask_b32_e32 v5, v3, v5, vcc_lo
	;; [unrolled: 7-line block ×3, first 2 shown]
	v_cmp_eq_u32_e32 vcc_lo, 0, v0
	v_lshlrev_b32_e32 v3, 2, v3
	s_waitcnt lgkmcnt(0)
	v_add_f32_e32 v2, v2, v4
	ds_bpermute_b32 v3, v3, v2
	s_and_b32 exec_lo, exec_lo, vcc_lo
	s_cbranch_execz .LBB98_7
; %bb.6:
	s_waitcnt lgkmcnt(0)
	v_add_f32_e32 v2, v2, v3
	v_mov_b32_e32 v4, 0x7fc0
	v_mad_u64_u32 v[0:1], null, s1, s7, v[1:2]
	v_mov_b32_e32 v1, 0
	v_bfe_u32 v3, v2, 16, 1
	v_cmp_o_f32_e32 vcc_lo, v2, v2
	v_add3_u32 v2, v2, v3, 0x7fff
	v_lshlrev_b64 v[0:1], 1, v[0:1]
	v_cndmask_b32_sdwa v2, v4, v2, vcc_lo dst_sel:DWORD dst_unused:UNUSED_PAD src0_sel:DWORD src1_sel:WORD_1
	v_add_co_u32 v0, vcc_lo, s2, v0
	v_add_co_ci_u32_e64 v1, null, s3, v1, vcc_lo
	global_store_short v[0:1], v2, off
.LBB98_7:
	s_endpgm
	.section	.rodata,"a",@progbits
	.p2align	6, 0x0
	.amdhsa_kernel _ZL13mul_mat_vec_qIN3c108BFloat16ELi32ELi4E10block_q4_0Li2EXadL_ZL17vec_dot_q4_0_q8_1PKvPK10block_q8_1RKiEEEvS4_S4_PT_iii
		.amdhsa_group_segment_fixed_size 0
		.amdhsa_private_segment_fixed_size 0
		.amdhsa_kernarg_size 296
		.amdhsa_user_sgpr_count 6
		.amdhsa_user_sgpr_private_segment_buffer 1
		.amdhsa_user_sgpr_dispatch_ptr 0
		.amdhsa_user_sgpr_queue_ptr 0
		.amdhsa_user_sgpr_kernarg_segment_ptr 1
		.amdhsa_user_sgpr_dispatch_id 0
		.amdhsa_user_sgpr_flat_scratch_init 0
		.amdhsa_user_sgpr_private_segment_size 0
		.amdhsa_wavefront_size32 1
		.amdhsa_uses_dynamic_stack 0
		.amdhsa_system_sgpr_private_segment_wavefront_offset 0
		.amdhsa_system_sgpr_workgroup_id_x 1
		.amdhsa_system_sgpr_workgroup_id_y 1
		.amdhsa_system_sgpr_workgroup_id_z 0
		.amdhsa_system_sgpr_workgroup_info 0
		.amdhsa_system_vgpr_workitem_id 1
		.amdhsa_next_free_vgpr 16
		.amdhsa_next_free_sgpr 13
		.amdhsa_reserve_vcc 1
		.amdhsa_reserve_flat_scratch 0
		.amdhsa_float_round_mode_32 0
		.amdhsa_float_round_mode_16_64 0
		.amdhsa_float_denorm_mode_32 3
		.amdhsa_float_denorm_mode_16_64 3
		.amdhsa_dx10_clamp 1
		.amdhsa_ieee_mode 1
		.amdhsa_fp16_overflow 0
		.amdhsa_workgroup_processor_mode 1
		.amdhsa_memory_ordered 1
		.amdhsa_forward_progress 1
		.amdhsa_shared_vgpr_count 0
		.amdhsa_exception_fp_ieee_invalid_op 0
		.amdhsa_exception_fp_denorm_src 0
		.amdhsa_exception_fp_ieee_div_zero 0
		.amdhsa_exception_fp_ieee_overflow 0
		.amdhsa_exception_fp_ieee_underflow 0
		.amdhsa_exception_fp_ieee_inexact 0
		.amdhsa_exception_int_div_zero 0
	.end_amdhsa_kernel
	.section	.text._ZL13mul_mat_vec_qIN3c108BFloat16ELi32ELi4E10block_q4_0Li2EXadL_ZL17vec_dot_q4_0_q8_1PKvPK10block_q8_1RKiEEEvS4_S4_PT_iii,"axG",@progbits,_ZL13mul_mat_vec_qIN3c108BFloat16ELi32ELi4E10block_q4_0Li2EXadL_ZL17vec_dot_q4_0_q8_1PKvPK10block_q8_1RKiEEEvS4_S4_PT_iii,comdat
.Lfunc_end98:
	.size	_ZL13mul_mat_vec_qIN3c108BFloat16ELi32ELi4E10block_q4_0Li2EXadL_ZL17vec_dot_q4_0_q8_1PKvPK10block_q8_1RKiEEEvS4_S4_PT_iii, .Lfunc_end98-_ZL13mul_mat_vec_qIN3c108BFloat16ELi32ELi4E10block_q4_0Li2EXadL_ZL17vec_dot_q4_0_q8_1PKvPK10block_q8_1RKiEEEvS4_S4_PT_iii
                                        ; -- End function
	.set _ZL13mul_mat_vec_qIN3c108BFloat16ELi32ELi4E10block_q4_0Li2EXadL_ZL17vec_dot_q4_0_q8_1PKvPK10block_q8_1RKiEEEvS4_S4_PT_iii.num_vgpr, 16
	.set _ZL13mul_mat_vec_qIN3c108BFloat16ELi32ELi4E10block_q4_0Li2EXadL_ZL17vec_dot_q4_0_q8_1PKvPK10block_q8_1RKiEEEvS4_S4_PT_iii.num_agpr, 0
	.set _ZL13mul_mat_vec_qIN3c108BFloat16ELi32ELi4E10block_q4_0Li2EXadL_ZL17vec_dot_q4_0_q8_1PKvPK10block_q8_1RKiEEEvS4_S4_PT_iii.numbered_sgpr, 13
	.set _ZL13mul_mat_vec_qIN3c108BFloat16ELi32ELi4E10block_q4_0Li2EXadL_ZL17vec_dot_q4_0_q8_1PKvPK10block_q8_1RKiEEEvS4_S4_PT_iii.num_named_barrier, 0
	.set _ZL13mul_mat_vec_qIN3c108BFloat16ELi32ELi4E10block_q4_0Li2EXadL_ZL17vec_dot_q4_0_q8_1PKvPK10block_q8_1RKiEEEvS4_S4_PT_iii.private_seg_size, 0
	.set _ZL13mul_mat_vec_qIN3c108BFloat16ELi32ELi4E10block_q4_0Li2EXadL_ZL17vec_dot_q4_0_q8_1PKvPK10block_q8_1RKiEEEvS4_S4_PT_iii.uses_vcc, 1
	.set _ZL13mul_mat_vec_qIN3c108BFloat16ELi32ELi4E10block_q4_0Li2EXadL_ZL17vec_dot_q4_0_q8_1PKvPK10block_q8_1RKiEEEvS4_S4_PT_iii.uses_flat_scratch, 0
	.set _ZL13mul_mat_vec_qIN3c108BFloat16ELi32ELi4E10block_q4_0Li2EXadL_ZL17vec_dot_q4_0_q8_1PKvPK10block_q8_1RKiEEEvS4_S4_PT_iii.has_dyn_sized_stack, 0
	.set _ZL13mul_mat_vec_qIN3c108BFloat16ELi32ELi4E10block_q4_0Li2EXadL_ZL17vec_dot_q4_0_q8_1PKvPK10block_q8_1RKiEEEvS4_S4_PT_iii.has_recursion, 0
	.set _ZL13mul_mat_vec_qIN3c108BFloat16ELi32ELi4E10block_q4_0Li2EXadL_ZL17vec_dot_q4_0_q8_1PKvPK10block_q8_1RKiEEEvS4_S4_PT_iii.has_indirect_call, 0
	.section	.AMDGPU.csdata,"",@progbits
; Kernel info:
; codeLenInByte = 680
; TotalNumSgprs: 15
; NumVgprs: 16
; ScratchSize: 0
; MemoryBound: 0
; FloatMode: 240
; IeeeMode: 1
; LDSByteSize: 0 bytes/workgroup (compile time only)
; SGPRBlocks: 0
; VGPRBlocks: 1
; NumSGPRsForWavesPerEU: 15
; NumVGPRsForWavesPerEU: 16
; Occupancy: 16
; WaveLimiterHint : 0
; COMPUTE_PGM_RSRC2:SCRATCH_EN: 0
; COMPUTE_PGM_RSRC2:USER_SGPR: 6
; COMPUTE_PGM_RSRC2:TRAP_HANDLER: 0
; COMPUTE_PGM_RSRC2:TGID_X_EN: 1
; COMPUTE_PGM_RSRC2:TGID_Y_EN: 1
; COMPUTE_PGM_RSRC2:TGID_Z_EN: 0
; COMPUTE_PGM_RSRC2:TIDIG_COMP_CNT: 1
	.section	.text._ZL13mul_mat_vec_qIN3c108BFloat16ELi32ELi4E10block_q4_1Li2EXadL_ZL17vec_dot_q4_1_q8_1PKvPK10block_q8_1RKiEEEvS4_S4_PT_iii,"axG",@progbits,_ZL13mul_mat_vec_qIN3c108BFloat16ELi32ELi4E10block_q4_1Li2EXadL_ZL17vec_dot_q4_1_q8_1PKvPK10block_q8_1RKiEEEvS4_S4_PT_iii,comdat
	.globl	_ZL13mul_mat_vec_qIN3c108BFloat16ELi32ELi4E10block_q4_1Li2EXadL_ZL17vec_dot_q4_1_q8_1PKvPK10block_q8_1RKiEEEvS4_S4_PT_iii ; -- Begin function _ZL13mul_mat_vec_qIN3c108BFloat16ELi32ELi4E10block_q4_1Li2EXadL_ZL17vec_dot_q4_1_q8_1PKvPK10block_q8_1RKiEEEvS4_S4_PT_iii
	.p2align	8
	.type	_ZL13mul_mat_vec_qIN3c108BFloat16ELi32ELi4E10block_q4_1Li2EXadL_ZL17vec_dot_q4_1_q8_1PKvPK10block_q8_1RKiEEEvS4_S4_PT_iii,@function
_ZL13mul_mat_vec_qIN3c108BFloat16ELi32ELi4E10block_q4_1Li2EXadL_ZL17vec_dot_q4_1_q8_1PKvPK10block_q8_1RKiEEEvS4_S4_PT_iii: ; @_ZL13mul_mat_vec_qIN3c108BFloat16ELi32ELi4E10block_q4_1Li2EXadL_ZL17vec_dot_q4_1_q8_1PKvPK10block_q8_1RKiEEEvS4_S4_PT_iii
; %bb.0:
	s_clause 0x1
	s_load_dword s8, s[4:5], 0x34
	s_load_dwordx4 s[0:3], s[4:5], 0x18
	s_waitcnt lgkmcnt(0)
	s_lshr_b32 s3, s8, 16
	s_cmp_lt_u32 s7, s2
	v_mad_u64_u32 v[1:2], null, s6, s3, v[1:2]
	s_cselect_b32 s2, -1, 0
	v_cmp_gt_u32_e32 vcc_lo, s1, v1
	s_and_b32 s2, s2, vcc_lo
	s_and_saveexec_b32 s3, s2
	s_cbranch_execz .LBB99_7
; %bb.1:
	s_load_dwordx2 s[2:3], s[4:5], 0x10
	s_ashr_i32 s6, s0, 31
	v_lshrrev_b32_e32 v3, 1, v0
	s_lshr_b32 s6, s6, 27
	v_mov_b32_e32 v2, 0
	s_add_i32 s6, s0, s6
	s_ashr_i32 s12, s6, 5
	s_mov_b32 s6, exec_lo
	v_cmpx_gt_u32_e64 s12, v3
	s_cbranch_execz .LBB99_5
; %bb.2:
	s_load_dwordx4 s[8:11], s[4:5], 0x0
	s_addk_i32 s0, 0x1ff
	v_lshlrev_b32_e32 v2, 3, v0
	s_ashr_i32 s4, s0, 31
	v_mul_lo_u32 v4, v1, s12
	s_lshr_b32 s4, s4, 23
	s_add_i32 s0, s0, s4
	v_and_b32_e32 v5, 8, v2
	s_ashr_i32 s0, s0, 9
	v_mov_b32_e32 v2, 0
	s_mul_i32 s0, s7, s0
	s_mov_b32 s4, 0
	s_lshl_b32 s0, s0, 4
.LBB99_3:                               ; =>This Inner Loop Header: Depth=1
	v_add_nc_u32_e32 v6, v4, v3
	v_add_nc_u32_e32 v8, s0, v3
	;; [unrolled: 1-line block ×3, first 2 shown]
	s_waitcnt lgkmcnt(0)
	v_mad_i64_i32 v[6:7], null, v6, 20, s[8:9]
	v_mad_i64_i32 v[8:9], null, v8, 36, s[10:11]
	v_add_co_u32 v10, vcc_lo, v6, v5
	v_add_co_ci_u32_e64 v11, null, 0, v7, vcc_lo
	v_add_co_u32 v12, vcc_lo, v8, v5
	v_add_co_ci_u32_e64 v13, null, 0, v9, vcc_lo
	global_load_dwordx2 v[10:11], v[10:11], off offset:4
	s_clause 0x1
	global_load_dwordx2 v[14:15], v[12:13], off offset:4
	global_load_dwordx2 v[12:13], v[12:13], off offset:20
	global_load_dword v6, v[6:7], off
	global_load_dword v7, v[8:9], off
	v_mov_b32_e32 v8, 0
	v_cmp_le_u32_e32 vcc_lo, s12, v3
	s_or_b32 s4, vcc_lo, s4
	s_waitcnt vmcnt(4)
	v_lshrrev_b32_e32 v9, 4, v10
	v_and_b32_e32 v10, 0xf0f0f0f, v10
	s_waitcnt vmcnt(0)
	v_pk_mul_f16 v6, v6, v7
	v_and_b32_e32 v9, 0xf0f0f0f, v9
	v_dot4c_i32_i8 v8, v10, v14
	v_and_b32_e32 v10, 0xf0f0f0f, v11
	v_lshrrev_b32_e32 v11, 4, v11
	v_dot4c_i32_i8 v8, v9, v12
	v_cvt_f32_f16_sdwa v9, v6 dst_sel:DWORD dst_unused:UNUSED_PAD src0_sel:WORD_1
	v_and_b32_e32 v7, 0xf0f0f0f, v11
	v_dot4c_i32_i8 v8, v10, v15
	v_dot4c_i32_i8 v8, v7, v13
	v_mul_f32_e32 v7, 0.5, v9
	v_cvt_f32_i32_e32 v8, v8
	v_fma_mix_f32 v6, v8, v6, v7 op_sel_hi:[0,1,0]
	v_add_f32_e32 v2, v2, v6
	s_andn2_b32 exec_lo, exec_lo, s4
	s_cbranch_execnz .LBB99_3
; %bb.4:
	s_or_b32 exec_lo, exec_lo, s4
.LBB99_5:
	s_or_b32 exec_lo, exec_lo, s6
	v_mbcnt_lo_u32_b32 v3, -1, 0
	v_xor_b32_e32 v4, 16, v3
	v_xor_b32_e32 v5, 8, v3
	v_cmp_gt_i32_e32 vcc_lo, 32, v4
	v_cndmask_b32_e32 v4, v3, v4, vcc_lo
	v_cmp_gt_i32_e32 vcc_lo, 32, v5
	v_lshlrev_b32_e32 v4, 2, v4
	v_cndmask_b32_e32 v5, v3, v5, vcc_lo
	ds_bpermute_b32 v4, v4, v2
	v_lshlrev_b32_e32 v5, 2, v5
	s_waitcnt lgkmcnt(0)
	v_add_f32_e32 v2, v2, v4
	ds_bpermute_b32 v4, v5, v2
	v_xor_b32_e32 v5, 4, v3
	v_cmp_gt_i32_e32 vcc_lo, 32, v5
	v_cndmask_b32_e32 v5, v3, v5, vcc_lo
	v_lshlrev_b32_e32 v5, 2, v5
	s_waitcnt lgkmcnt(0)
	v_add_f32_e32 v2, v2, v4
	ds_bpermute_b32 v4, v5, v2
	v_xor_b32_e32 v5, 2, v3
	v_cmp_gt_i32_e32 vcc_lo, 32, v5
	v_cndmask_b32_e32 v5, v3, v5, vcc_lo
	;; [unrolled: 7-line block ×3, first 2 shown]
	v_cmp_eq_u32_e32 vcc_lo, 0, v0
	v_lshlrev_b32_e32 v3, 2, v3
	s_waitcnt lgkmcnt(0)
	v_add_f32_e32 v2, v2, v4
	ds_bpermute_b32 v3, v3, v2
	s_and_b32 exec_lo, exec_lo, vcc_lo
	s_cbranch_execz .LBB99_7
; %bb.6:
	s_waitcnt lgkmcnt(0)
	v_add_f32_e32 v2, v2, v3
	v_mov_b32_e32 v4, 0x7fc0
	v_mad_u64_u32 v[0:1], null, s1, s7, v[1:2]
	v_mov_b32_e32 v1, 0
	v_bfe_u32 v3, v2, 16, 1
	v_cmp_o_f32_e32 vcc_lo, v2, v2
	v_add3_u32 v2, v2, v3, 0x7fff
	v_lshlrev_b64 v[0:1], 1, v[0:1]
	v_cndmask_b32_sdwa v2, v4, v2, vcc_lo dst_sel:DWORD dst_unused:UNUSED_PAD src0_sel:DWORD src1_sel:WORD_1
	v_add_co_u32 v0, vcc_lo, s2, v0
	v_add_co_ci_u32_e64 v1, null, s3, v1, vcc_lo
	global_store_short v[0:1], v2, off
.LBB99_7:
	s_endpgm
	.section	.rodata,"a",@progbits
	.p2align	6, 0x0
	.amdhsa_kernel _ZL13mul_mat_vec_qIN3c108BFloat16ELi32ELi4E10block_q4_1Li2EXadL_ZL17vec_dot_q4_1_q8_1PKvPK10block_q8_1RKiEEEvS4_S4_PT_iii
		.amdhsa_group_segment_fixed_size 0
		.amdhsa_private_segment_fixed_size 0
		.amdhsa_kernarg_size 296
		.amdhsa_user_sgpr_count 6
		.amdhsa_user_sgpr_private_segment_buffer 1
		.amdhsa_user_sgpr_dispatch_ptr 0
		.amdhsa_user_sgpr_queue_ptr 0
		.amdhsa_user_sgpr_kernarg_segment_ptr 1
		.amdhsa_user_sgpr_dispatch_id 0
		.amdhsa_user_sgpr_flat_scratch_init 0
		.amdhsa_user_sgpr_private_segment_size 0
		.amdhsa_wavefront_size32 1
		.amdhsa_uses_dynamic_stack 0
		.amdhsa_system_sgpr_private_segment_wavefront_offset 0
		.amdhsa_system_sgpr_workgroup_id_x 1
		.amdhsa_system_sgpr_workgroup_id_y 1
		.amdhsa_system_sgpr_workgroup_id_z 0
		.amdhsa_system_sgpr_workgroup_info 0
		.amdhsa_system_vgpr_workitem_id 1
		.amdhsa_next_free_vgpr 16
		.amdhsa_next_free_sgpr 13
		.amdhsa_reserve_vcc 1
		.amdhsa_reserve_flat_scratch 0
		.amdhsa_float_round_mode_32 0
		.amdhsa_float_round_mode_16_64 0
		.amdhsa_float_denorm_mode_32 3
		.amdhsa_float_denorm_mode_16_64 3
		.amdhsa_dx10_clamp 1
		.amdhsa_ieee_mode 1
		.amdhsa_fp16_overflow 0
		.amdhsa_workgroup_processor_mode 1
		.amdhsa_memory_ordered 1
		.amdhsa_forward_progress 1
		.amdhsa_shared_vgpr_count 0
		.amdhsa_exception_fp_ieee_invalid_op 0
		.amdhsa_exception_fp_denorm_src 0
		.amdhsa_exception_fp_ieee_div_zero 0
		.amdhsa_exception_fp_ieee_overflow 0
		.amdhsa_exception_fp_ieee_underflow 0
		.amdhsa_exception_fp_ieee_inexact 0
		.amdhsa_exception_int_div_zero 0
	.end_amdhsa_kernel
	.section	.text._ZL13mul_mat_vec_qIN3c108BFloat16ELi32ELi4E10block_q4_1Li2EXadL_ZL17vec_dot_q4_1_q8_1PKvPK10block_q8_1RKiEEEvS4_S4_PT_iii,"axG",@progbits,_ZL13mul_mat_vec_qIN3c108BFloat16ELi32ELi4E10block_q4_1Li2EXadL_ZL17vec_dot_q4_1_q8_1PKvPK10block_q8_1RKiEEEvS4_S4_PT_iii,comdat
.Lfunc_end99:
	.size	_ZL13mul_mat_vec_qIN3c108BFloat16ELi32ELi4E10block_q4_1Li2EXadL_ZL17vec_dot_q4_1_q8_1PKvPK10block_q8_1RKiEEEvS4_S4_PT_iii, .Lfunc_end99-_ZL13mul_mat_vec_qIN3c108BFloat16ELi32ELi4E10block_q4_1Li2EXadL_ZL17vec_dot_q4_1_q8_1PKvPK10block_q8_1RKiEEEvS4_S4_PT_iii
                                        ; -- End function
	.set _ZL13mul_mat_vec_qIN3c108BFloat16ELi32ELi4E10block_q4_1Li2EXadL_ZL17vec_dot_q4_1_q8_1PKvPK10block_q8_1RKiEEEvS4_S4_PT_iii.num_vgpr, 16
	.set _ZL13mul_mat_vec_qIN3c108BFloat16ELi32ELi4E10block_q4_1Li2EXadL_ZL17vec_dot_q4_1_q8_1PKvPK10block_q8_1RKiEEEvS4_S4_PT_iii.num_agpr, 0
	.set _ZL13mul_mat_vec_qIN3c108BFloat16ELi32ELi4E10block_q4_1Li2EXadL_ZL17vec_dot_q4_1_q8_1PKvPK10block_q8_1RKiEEEvS4_S4_PT_iii.numbered_sgpr, 13
	.set _ZL13mul_mat_vec_qIN3c108BFloat16ELi32ELi4E10block_q4_1Li2EXadL_ZL17vec_dot_q4_1_q8_1PKvPK10block_q8_1RKiEEEvS4_S4_PT_iii.num_named_barrier, 0
	.set _ZL13mul_mat_vec_qIN3c108BFloat16ELi32ELi4E10block_q4_1Li2EXadL_ZL17vec_dot_q4_1_q8_1PKvPK10block_q8_1RKiEEEvS4_S4_PT_iii.private_seg_size, 0
	.set _ZL13mul_mat_vec_qIN3c108BFloat16ELi32ELi4E10block_q4_1Li2EXadL_ZL17vec_dot_q4_1_q8_1PKvPK10block_q8_1RKiEEEvS4_S4_PT_iii.uses_vcc, 1
	.set _ZL13mul_mat_vec_qIN3c108BFloat16ELi32ELi4E10block_q4_1Li2EXadL_ZL17vec_dot_q4_1_q8_1PKvPK10block_q8_1RKiEEEvS4_S4_PT_iii.uses_flat_scratch, 0
	.set _ZL13mul_mat_vec_qIN3c108BFloat16ELi32ELi4E10block_q4_1Li2EXadL_ZL17vec_dot_q4_1_q8_1PKvPK10block_q8_1RKiEEEvS4_S4_PT_iii.has_dyn_sized_stack, 0
	.set _ZL13mul_mat_vec_qIN3c108BFloat16ELi32ELi4E10block_q4_1Li2EXadL_ZL17vec_dot_q4_1_q8_1PKvPK10block_q8_1RKiEEEvS4_S4_PT_iii.has_recursion, 0
	.set _ZL13mul_mat_vec_qIN3c108BFloat16ELi32ELi4E10block_q4_1Li2EXadL_ZL17vec_dot_q4_1_q8_1PKvPK10block_q8_1RKiEEEvS4_S4_PT_iii.has_indirect_call, 0
	.section	.AMDGPU.csdata,"",@progbits
; Kernel info:
; codeLenInByte = 672
; TotalNumSgprs: 15
; NumVgprs: 16
; ScratchSize: 0
; MemoryBound: 0
; FloatMode: 240
; IeeeMode: 1
; LDSByteSize: 0 bytes/workgroup (compile time only)
; SGPRBlocks: 0
; VGPRBlocks: 1
; NumSGPRsForWavesPerEU: 15
; NumVGPRsForWavesPerEU: 16
; Occupancy: 16
; WaveLimiterHint : 0
; COMPUTE_PGM_RSRC2:SCRATCH_EN: 0
; COMPUTE_PGM_RSRC2:USER_SGPR: 6
; COMPUTE_PGM_RSRC2:TRAP_HANDLER: 0
; COMPUTE_PGM_RSRC2:TGID_X_EN: 1
; COMPUTE_PGM_RSRC2:TGID_Y_EN: 1
; COMPUTE_PGM_RSRC2:TGID_Z_EN: 0
; COMPUTE_PGM_RSRC2:TIDIG_COMP_CNT: 1
	.section	.text._ZL13mul_mat_vec_qIN3c108BFloat16ELi32ELi4E10block_q5_0Li2EXadL_ZL17vec_dot_q5_0_q8_1PKvPK10block_q8_1RKiEEEvS4_S4_PT_iii,"axG",@progbits,_ZL13mul_mat_vec_qIN3c108BFloat16ELi32ELi4E10block_q5_0Li2EXadL_ZL17vec_dot_q5_0_q8_1PKvPK10block_q8_1RKiEEEvS4_S4_PT_iii,comdat
	.globl	_ZL13mul_mat_vec_qIN3c108BFloat16ELi32ELi4E10block_q5_0Li2EXadL_ZL17vec_dot_q5_0_q8_1PKvPK10block_q8_1RKiEEEvS4_S4_PT_iii ; -- Begin function _ZL13mul_mat_vec_qIN3c108BFloat16ELi32ELi4E10block_q5_0Li2EXadL_ZL17vec_dot_q5_0_q8_1PKvPK10block_q8_1RKiEEEvS4_S4_PT_iii
	.p2align	8
	.type	_ZL13mul_mat_vec_qIN3c108BFloat16ELi32ELi4E10block_q5_0Li2EXadL_ZL17vec_dot_q5_0_q8_1PKvPK10block_q8_1RKiEEEvS4_S4_PT_iii,@function
_ZL13mul_mat_vec_qIN3c108BFloat16ELi32ELi4E10block_q5_0Li2EXadL_ZL17vec_dot_q5_0_q8_1PKvPK10block_q8_1RKiEEEvS4_S4_PT_iii: ; @_ZL13mul_mat_vec_qIN3c108BFloat16ELi32ELi4E10block_q5_0Li2EXadL_ZL17vec_dot_q5_0_q8_1PKvPK10block_q8_1RKiEEEvS4_S4_PT_iii
; %bb.0:
	s_clause 0x1
	s_load_dword s8, s[4:5], 0x34
	s_load_dwordx4 s[0:3], s[4:5], 0x18
	s_waitcnt lgkmcnt(0)
	s_lshr_b32 s3, s8, 16
	s_cmp_lt_u32 s7, s2
	v_mad_u64_u32 v[1:2], null, s6, s3, v[1:2]
	s_cselect_b32 s2, -1, 0
	v_cmp_gt_u32_e32 vcc_lo, s1, v1
	s_and_b32 s2, s2, vcc_lo
	s_and_saveexec_b32 s3, s2
	s_cbranch_execz .LBB100_7
; %bb.1:
	s_load_dwordx2 s[2:3], s[4:5], 0x10
	s_ashr_i32 s6, s0, 31
	v_lshrrev_b32_e32 v2, 1, v0
	s_lshr_b32 s6, s6, 27
	v_mov_b32_e32 v3, 0
	s_add_i32 s6, s0, s6
	s_ashr_i32 s12, s6, 5
	s_mov_b32 s6, exec_lo
	v_cmpx_gt_u32_e64 s12, v2
	s_cbranch_execz .LBB100_5
; %bb.2:
	s_load_dwordx4 s[8:11], s[4:5], 0x0
	v_lshlrev_b32_e32 v3, 3, v0
	s_addk_i32 s0, 0x1ff
	v_mul_lo_u32 v5, v1, s12
	s_ashr_i32 s4, s0, 31
	s_lshr_b32 s4, s4, 23
	v_and_b32_e32 v4, 8, v3
	s_add_i32 s0, s0, s4
	v_mov_b32_e32 v3, 0
	s_ashr_i32 s0, s0, 9
	v_or_b32_e32 v6, 4, v4
	s_mul_i32 s0, s7, s0
	s_lshl_b32 s4, s0, 4
	s_mov_b32 s0, 0
.LBB100_3:                              ; =>This Inner Loop Header: Depth=1
	v_add_nc_u32_e32 v7, v5, v2
	v_add_nc_u32_e32 v11, s4, v2
	v_add_nc_u32_e32 v2, 16, v2
	s_waitcnt lgkmcnt(0)
	v_mad_i64_i32 v[7:8], null, v7, 22, s[8:9]
	v_mad_i64_i32 v[11:12], null, v11, 36, s[10:11]
	v_add_co_u32 v9, vcc_lo, v7, v4
	v_add_co_ci_u32_e64 v10, null, 0, v8, vcc_lo
	v_add_co_u32 v13, vcc_lo, v11, v4
	s_clause 0x1
	global_load_dword v17, v[7:8], off offset:2
	global_load_dwordx2 v[9:10], v[9:10], off offset:6
	v_add_co_ci_u32_e64 v14, null, 0, v12, vcc_lo
	s_clause 0x2
	global_load_dwordx2 v[15:16], v[13:14], off offset:4
	global_load_dwordx2 v[13:14], v[13:14], off offset:20
	global_load_dword v11, v[11:12], off
	global_load_ushort v7, v[7:8], off
	v_mov_b32_e32 v8, 0
	v_cmp_le_u32_e32 vcc_lo, s12, v2
	s_or_b32 s0, vcc_lo, s0
	s_waitcnt vmcnt(5)
	v_ashrrev_i32_e32 v12, v4, v17
	v_ashrrev_i32_e32 v17, v6, v17
	s_waitcnt vmcnt(4)
	v_and_b32_e32 v18, 0xf0f0f0f, v9
	v_lshrrev_b32_e32 v9, 4, v9
	v_and_b32_e32 v26, 0xf0f0f0f, v10
	v_lshlrev_b32_e32 v19, 4, v12
	v_lshlrev_b32_e32 v20, 11, v12
	;; [unrolled: 1-line block ×4, first 2 shown]
	v_lshrrev_b32_e32 v23, 12, v12
	v_lshrrev_b32_e32 v24, 5, v12
	v_lshlrev_b32_e32 v25, 2, v12
	v_and_b32_e32 v19, 16, v19
	v_and_b32_e32 v20, 0x1000, v20
	v_lshlrev_b32_e32 v12, 9, v12
	v_lshlrev_b32_e32 v27, 4, v17
	;; [unrolled: 1-line block ×4, first 2 shown]
	v_and_b32_e32 v21, 0x100000, v21
	v_and_b32_e32 v22, 0x10000000, v22
	v_and_b32_e32 v23, 16, v23
	v_and_b32_e32 v24, 0x1000, v24
	v_and_b32_e32 v25, 0x100000, v25
	v_or3_b32 v18, v19, v18, v20
	v_lshlrev_b32_e32 v30, 25, v17
	v_lshrrev_b32_e32 v31, 12, v17
	v_lshrrev_b32_e32 v32, 5, v17
	v_lshlrev_b32_e32 v33, 2, v17
	v_and_b32_e32 v9, 0xf0f0f0f, v9
	v_and_b32_e32 v12, 0x10000000, v12
	;; [unrolled: 1-line block ×5, first 2 shown]
	v_or3_b32 v23, v24, v23, v25
	v_or3_b32 v18, v18, v21, v22
	v_lshrrev_b32_e32 v10, 4, v10
	v_lshlrev_b32_e32 v17, 9, v17
	v_and_b32_e32 v20, 0x10000000, v30
	v_and_b32_e32 v29, 16, v31
	;; [unrolled: 1-line block ×4, first 2 shown]
	v_or3_b32 v19, v28, v27, v19
	v_or3_b32 v9, v23, v12, v9
	s_waitcnt vmcnt(3)
	v_dot4c_i32_i8 v8, v18, v15
	v_and_b32_e32 v10, 0xf0f0f0f, v10
	v_and_b32_e32 v12, 0x10000000, v17
	v_or3_b32 v15, v21, v29, v22
	v_or3_b32 v17, v19, v20, v26
	s_waitcnt vmcnt(2)
	v_dot4c_i32_i8 v8, v9, v13
	v_or3_b32 v9, v15, v12, v10
	s_waitcnt vmcnt(1)
	v_cvt_f32_f16_sdwa v10, v11 dst_sel:DWORD dst_unused:UNUSED_PAD src0_sel:WORD_1
	v_dot4c_i32_i8 v8, v17, v16
	v_dot4c_i32_i8 v8, v9, v14
	v_mul_f32_e32 v9, 0xc1000000, v10
	v_cvt_f32_i32_e32 v8, v8
	v_fma_mix_f32 v8, v11, v8, v9 op_sel_hi:[1,0,0]
	s_waitcnt vmcnt(0)
	v_fma_mix_f32 v3, v8, v7, v3 op_sel_hi:[0,1,0]
	s_andn2_b32 exec_lo, exec_lo, s0
	s_cbranch_execnz .LBB100_3
; %bb.4:
	s_or_b32 exec_lo, exec_lo, s0
.LBB100_5:
	s_or_b32 exec_lo, exec_lo, s6
	v_mbcnt_lo_u32_b32 v2, -1, 0
	v_xor_b32_e32 v4, 16, v2
	v_xor_b32_e32 v5, 8, v2
	v_cmp_gt_i32_e32 vcc_lo, 32, v4
	v_cndmask_b32_e32 v4, v2, v4, vcc_lo
	v_cmp_gt_i32_e32 vcc_lo, 32, v5
	v_lshlrev_b32_e32 v4, 2, v4
	v_cndmask_b32_e32 v5, v2, v5, vcc_lo
	ds_bpermute_b32 v4, v4, v3
	v_lshlrev_b32_e32 v5, 2, v5
	s_waitcnt lgkmcnt(0)
	v_add_f32_e32 v3, v3, v4
	ds_bpermute_b32 v4, v5, v3
	v_xor_b32_e32 v5, 4, v2
	v_cmp_gt_i32_e32 vcc_lo, 32, v5
	v_cndmask_b32_e32 v5, v2, v5, vcc_lo
	v_lshlrev_b32_e32 v5, 2, v5
	s_waitcnt lgkmcnt(0)
	v_add_f32_e32 v3, v3, v4
	ds_bpermute_b32 v4, v5, v3
	v_xor_b32_e32 v5, 2, v2
	v_cmp_gt_i32_e32 vcc_lo, 32, v5
	v_cndmask_b32_e32 v5, v2, v5, vcc_lo
	;; [unrolled: 7-line block ×3, first 2 shown]
	v_cmp_eq_u32_e32 vcc_lo, 0, v0
	s_waitcnt lgkmcnt(0)
	v_add_f32_e32 v2, v3, v4
	v_lshlrev_b32_e32 v3, 2, v5
	ds_bpermute_b32 v3, v3, v2
	s_and_b32 exec_lo, exec_lo, vcc_lo
	s_cbranch_execz .LBB100_7
; %bb.6:
	s_waitcnt lgkmcnt(0)
	v_add_f32_e32 v2, v2, v3
	v_mov_b32_e32 v4, 0x7fc0
	v_mad_u64_u32 v[0:1], null, s1, s7, v[1:2]
	v_mov_b32_e32 v1, 0
	v_bfe_u32 v3, v2, 16, 1
	v_cmp_o_f32_e32 vcc_lo, v2, v2
	v_add3_u32 v2, v2, v3, 0x7fff
	v_lshlrev_b64 v[0:1], 1, v[0:1]
	v_cndmask_b32_sdwa v2, v4, v2, vcc_lo dst_sel:DWORD dst_unused:UNUSED_PAD src0_sel:DWORD src1_sel:WORD_1
	v_add_co_u32 v0, vcc_lo, s2, v0
	v_add_co_ci_u32_e64 v1, null, s3, v1, vcc_lo
	global_store_short v[0:1], v2, off
.LBB100_7:
	s_endpgm
	.section	.rodata,"a",@progbits
	.p2align	6, 0x0
	.amdhsa_kernel _ZL13mul_mat_vec_qIN3c108BFloat16ELi32ELi4E10block_q5_0Li2EXadL_ZL17vec_dot_q5_0_q8_1PKvPK10block_q8_1RKiEEEvS4_S4_PT_iii
		.amdhsa_group_segment_fixed_size 0
		.amdhsa_private_segment_fixed_size 0
		.amdhsa_kernarg_size 296
		.amdhsa_user_sgpr_count 6
		.amdhsa_user_sgpr_private_segment_buffer 1
		.amdhsa_user_sgpr_dispatch_ptr 0
		.amdhsa_user_sgpr_queue_ptr 0
		.amdhsa_user_sgpr_kernarg_segment_ptr 1
		.amdhsa_user_sgpr_dispatch_id 0
		.amdhsa_user_sgpr_flat_scratch_init 0
		.amdhsa_user_sgpr_private_segment_size 0
		.amdhsa_wavefront_size32 1
		.amdhsa_uses_dynamic_stack 0
		.amdhsa_system_sgpr_private_segment_wavefront_offset 0
		.amdhsa_system_sgpr_workgroup_id_x 1
		.amdhsa_system_sgpr_workgroup_id_y 1
		.amdhsa_system_sgpr_workgroup_id_z 0
		.amdhsa_system_sgpr_workgroup_info 0
		.amdhsa_system_vgpr_workitem_id 1
		.amdhsa_next_free_vgpr 34
		.amdhsa_next_free_sgpr 13
		.amdhsa_reserve_vcc 1
		.amdhsa_reserve_flat_scratch 0
		.amdhsa_float_round_mode_32 0
		.amdhsa_float_round_mode_16_64 0
		.amdhsa_float_denorm_mode_32 3
		.amdhsa_float_denorm_mode_16_64 3
		.amdhsa_dx10_clamp 1
		.amdhsa_ieee_mode 1
		.amdhsa_fp16_overflow 0
		.amdhsa_workgroup_processor_mode 1
		.amdhsa_memory_ordered 1
		.amdhsa_forward_progress 1
		.amdhsa_shared_vgpr_count 0
		.amdhsa_exception_fp_ieee_invalid_op 0
		.amdhsa_exception_fp_denorm_src 0
		.amdhsa_exception_fp_ieee_div_zero 0
		.amdhsa_exception_fp_ieee_overflow 0
		.amdhsa_exception_fp_ieee_underflow 0
		.amdhsa_exception_fp_ieee_inexact 0
		.amdhsa_exception_int_div_zero 0
	.end_amdhsa_kernel
	.section	.text._ZL13mul_mat_vec_qIN3c108BFloat16ELi32ELi4E10block_q5_0Li2EXadL_ZL17vec_dot_q5_0_q8_1PKvPK10block_q8_1RKiEEEvS4_S4_PT_iii,"axG",@progbits,_ZL13mul_mat_vec_qIN3c108BFloat16ELi32ELi4E10block_q5_0Li2EXadL_ZL17vec_dot_q5_0_q8_1PKvPK10block_q8_1RKiEEEvS4_S4_PT_iii,comdat
.Lfunc_end100:
	.size	_ZL13mul_mat_vec_qIN3c108BFloat16ELi32ELi4E10block_q5_0Li2EXadL_ZL17vec_dot_q5_0_q8_1PKvPK10block_q8_1RKiEEEvS4_S4_PT_iii, .Lfunc_end100-_ZL13mul_mat_vec_qIN3c108BFloat16ELi32ELi4E10block_q5_0Li2EXadL_ZL17vec_dot_q5_0_q8_1PKvPK10block_q8_1RKiEEEvS4_S4_PT_iii
                                        ; -- End function
	.set _ZL13mul_mat_vec_qIN3c108BFloat16ELi32ELi4E10block_q5_0Li2EXadL_ZL17vec_dot_q5_0_q8_1PKvPK10block_q8_1RKiEEEvS4_S4_PT_iii.num_vgpr, 34
	.set _ZL13mul_mat_vec_qIN3c108BFloat16ELi32ELi4E10block_q5_0Li2EXadL_ZL17vec_dot_q5_0_q8_1PKvPK10block_q8_1RKiEEEvS4_S4_PT_iii.num_agpr, 0
	.set _ZL13mul_mat_vec_qIN3c108BFloat16ELi32ELi4E10block_q5_0Li2EXadL_ZL17vec_dot_q5_0_q8_1PKvPK10block_q8_1RKiEEEvS4_S4_PT_iii.numbered_sgpr, 13
	.set _ZL13mul_mat_vec_qIN3c108BFloat16ELi32ELi4E10block_q5_0Li2EXadL_ZL17vec_dot_q5_0_q8_1PKvPK10block_q8_1RKiEEEvS4_S4_PT_iii.num_named_barrier, 0
	.set _ZL13mul_mat_vec_qIN3c108BFloat16ELi32ELi4E10block_q5_0Li2EXadL_ZL17vec_dot_q5_0_q8_1PKvPK10block_q8_1RKiEEEvS4_S4_PT_iii.private_seg_size, 0
	.set _ZL13mul_mat_vec_qIN3c108BFloat16ELi32ELi4E10block_q5_0Li2EXadL_ZL17vec_dot_q5_0_q8_1PKvPK10block_q8_1RKiEEEvS4_S4_PT_iii.uses_vcc, 1
	.set _ZL13mul_mat_vec_qIN3c108BFloat16ELi32ELi4E10block_q5_0Li2EXadL_ZL17vec_dot_q5_0_q8_1PKvPK10block_q8_1RKiEEEvS4_S4_PT_iii.uses_flat_scratch, 0
	.set _ZL13mul_mat_vec_qIN3c108BFloat16ELi32ELi4E10block_q5_0Li2EXadL_ZL17vec_dot_q5_0_q8_1PKvPK10block_q8_1RKiEEEvS4_S4_PT_iii.has_dyn_sized_stack, 0
	.set _ZL13mul_mat_vec_qIN3c108BFloat16ELi32ELi4E10block_q5_0Li2EXadL_ZL17vec_dot_q5_0_q8_1PKvPK10block_q8_1RKiEEEvS4_S4_PT_iii.has_recursion, 0
	.set _ZL13mul_mat_vec_qIN3c108BFloat16ELi32ELi4E10block_q5_0Li2EXadL_ZL17vec_dot_q5_0_q8_1PKvPK10block_q8_1RKiEEEvS4_S4_PT_iii.has_indirect_call, 0
	.section	.AMDGPU.csdata,"",@progbits
; Kernel info:
; codeLenInByte = 952
; TotalNumSgprs: 15
; NumVgprs: 34
; ScratchSize: 0
; MemoryBound: 0
; FloatMode: 240
; IeeeMode: 1
; LDSByteSize: 0 bytes/workgroup (compile time only)
; SGPRBlocks: 0
; VGPRBlocks: 4
; NumSGPRsForWavesPerEU: 15
; NumVGPRsForWavesPerEU: 34
; Occupancy: 16
; WaveLimiterHint : 0
; COMPUTE_PGM_RSRC2:SCRATCH_EN: 0
; COMPUTE_PGM_RSRC2:USER_SGPR: 6
; COMPUTE_PGM_RSRC2:TRAP_HANDLER: 0
; COMPUTE_PGM_RSRC2:TGID_X_EN: 1
; COMPUTE_PGM_RSRC2:TGID_Y_EN: 1
; COMPUTE_PGM_RSRC2:TGID_Z_EN: 0
; COMPUTE_PGM_RSRC2:TIDIG_COMP_CNT: 1
	.section	.text._ZL13mul_mat_vec_qIN3c108BFloat16ELi32ELi4E10block_q5_1Li2EXadL_ZL17vec_dot_q5_1_q8_1PKvPK10block_q8_1RKiEEEvS4_S4_PT_iii,"axG",@progbits,_ZL13mul_mat_vec_qIN3c108BFloat16ELi32ELi4E10block_q5_1Li2EXadL_ZL17vec_dot_q5_1_q8_1PKvPK10block_q8_1RKiEEEvS4_S4_PT_iii,comdat
	.globl	_ZL13mul_mat_vec_qIN3c108BFloat16ELi32ELi4E10block_q5_1Li2EXadL_ZL17vec_dot_q5_1_q8_1PKvPK10block_q8_1RKiEEEvS4_S4_PT_iii ; -- Begin function _ZL13mul_mat_vec_qIN3c108BFloat16ELi32ELi4E10block_q5_1Li2EXadL_ZL17vec_dot_q5_1_q8_1PKvPK10block_q8_1RKiEEEvS4_S4_PT_iii
	.p2align	8
	.type	_ZL13mul_mat_vec_qIN3c108BFloat16ELi32ELi4E10block_q5_1Li2EXadL_ZL17vec_dot_q5_1_q8_1PKvPK10block_q8_1RKiEEEvS4_S4_PT_iii,@function
_ZL13mul_mat_vec_qIN3c108BFloat16ELi32ELi4E10block_q5_1Li2EXadL_ZL17vec_dot_q5_1_q8_1PKvPK10block_q8_1RKiEEEvS4_S4_PT_iii: ; @_ZL13mul_mat_vec_qIN3c108BFloat16ELi32ELi4E10block_q5_1Li2EXadL_ZL17vec_dot_q5_1_q8_1PKvPK10block_q8_1RKiEEEvS4_S4_PT_iii
; %bb.0:
	s_clause 0x1
	s_load_dword s8, s[4:5], 0x34
	s_load_dwordx4 s[0:3], s[4:5], 0x18
	s_waitcnt lgkmcnt(0)
	s_lshr_b32 s3, s8, 16
	s_cmp_lt_u32 s7, s2
	v_mad_u64_u32 v[1:2], null, s6, s3, v[1:2]
	s_cselect_b32 s2, -1, 0
	v_cmp_gt_u32_e32 vcc_lo, s1, v1
	s_and_b32 s2, s2, vcc_lo
	s_and_saveexec_b32 s3, s2
	s_cbranch_execz .LBB101_7
; %bb.1:
	s_load_dwordx2 s[2:3], s[4:5], 0x10
	s_ashr_i32 s6, s0, 31
	v_lshrrev_b32_e32 v2, 1, v0
	s_lshr_b32 s6, s6, 27
	v_mov_b32_e32 v3, 0
	s_add_i32 s6, s0, s6
	s_ashr_i32 s12, s6, 5
	s_mov_b32 s6, exec_lo
	v_cmpx_gt_u32_e64 s12, v2
	s_cbranch_execz .LBB101_5
; %bb.2:
	s_load_dwordx4 s[8:11], s[4:5], 0x0
	v_lshlrev_b32_e32 v3, 3, v0
	s_addk_i32 s0, 0x1ff
	v_mul_lo_u32 v5, v1, s12
	s_ashr_i32 s4, s0, 31
	s_lshr_b32 s4, s4, 23
	v_and_b32_e32 v4, 8, v3
	s_add_i32 s0, s0, s4
	v_mov_b32_e32 v3, 0
	s_ashr_i32 s0, s0, 9
	v_or_b32_e32 v6, 4, v4
	s_mul_i32 s0, s7, s0
	s_lshl_b32 s4, s0, 4
	s_mov_b32 s0, 0
.LBB101_3:                              ; =>This Inner Loop Header: Depth=1
	v_add_nc_u32_e32 v7, v5, v2
	v_add_nc_u32_e32 v11, s4, v2
	v_add_nc_u32_e32 v2, 16, v2
	s_waitcnt lgkmcnt(0)
	v_mad_i64_i32 v[7:8], null, v7, 24, s[8:9]
	v_mad_i64_i32 v[11:12], null, v11, 36, s[10:11]
	v_add_co_u32 v9, vcc_lo, v7, v4
	v_add_co_ci_u32_e64 v10, null, 0, v8, vcc_lo
	v_add_co_u32 v13, vcc_lo, v11, v4
	s_clause 0x1
	global_load_dwordx2 v[7:8], v[7:8], off
	global_load_dwordx2 v[9:10], v[9:10], off offset:8
	v_add_co_ci_u32_e64 v14, null, 0, v12, vcc_lo
	s_clause 0x2
	global_load_dwordx2 v[15:16], v[13:14], off offset:4
	global_load_dwordx2 v[13:14], v[13:14], off offset:20
	global_load_dword v11, v[11:12], off
	v_mov_b32_e32 v12, 0
	v_cmp_le_u32_e32 vcc_lo, s12, v2
	s_or_b32 s0, vcc_lo, s0
	s_waitcnt vmcnt(4)
	v_ashrrev_i32_e32 v17, v4, v8
	v_ashrrev_i32_e32 v8, v6, v8
	s_waitcnt vmcnt(3)
	v_and_b32_e32 v18, 0xf0f0f0f, v9
	v_lshrrev_b32_e32 v9, 4, v9
	v_and_b32_e32 v26, 0xf0f0f0f, v10
	v_lshlrev_b32_e32 v19, 4, v17
	v_lshlrev_b32_e32 v20, 11, v17
	;; [unrolled: 1-line block ×4, first 2 shown]
	v_lshrrev_b32_e32 v23, 12, v17
	v_lshrrev_b32_e32 v24, 5, v17
	v_lshlrev_b32_e32 v25, 2, v17
	v_and_b32_e32 v19, 16, v19
	v_and_b32_e32 v20, 0x1000, v20
	v_lshlrev_b32_e32 v17, 9, v17
	v_lshlrev_b32_e32 v27, 4, v8
	;; [unrolled: 1-line block ×4, first 2 shown]
	v_and_b32_e32 v21, 0x100000, v21
	v_and_b32_e32 v22, 0x10000000, v22
	;; [unrolled: 1-line block ×5, first 2 shown]
	v_or3_b32 v18, v19, v18, v20
	v_lshlrev_b32_e32 v30, 25, v8
	v_lshrrev_b32_e32 v31, 12, v8
	v_lshrrev_b32_e32 v32, 5, v8
	v_lshlrev_b32_e32 v33, 2, v8
	v_and_b32_e32 v9, 0xf0f0f0f, v9
	v_and_b32_e32 v17, 0x10000000, v17
	;; [unrolled: 1-line block ×5, first 2 shown]
	v_or3_b32 v23, v24, v23, v25
	v_or3_b32 v18, v18, v21, v22
	v_lshrrev_b32_e32 v10, 4, v10
	v_lshlrev_b32_e32 v8, 9, v8
	v_and_b32_e32 v20, 0x10000000, v30
	v_and_b32_e32 v29, 16, v31
	v_and_b32_e32 v21, 0x1000, v32
	v_and_b32_e32 v22, 0x100000, v33
	v_or3_b32 v19, v28, v27, v19
	v_or3_b32 v9, v23, v17, v9
	s_waitcnt vmcnt(2)
	v_dot4c_i32_i8 v12, v18, v15
	v_and_b32_e32 v10, 0xf0f0f0f, v10
	v_and_b32_e32 v8, 0x10000000, v8
	v_or3_b32 v15, v21, v29, v22
	v_or3_b32 v17, v19, v20, v26
	s_waitcnt vmcnt(1)
	v_dot4c_i32_i8 v12, v9, v13
	s_waitcnt vmcnt(0)
	v_pk_mul_f16 v7, v7, v11
	v_or3_b32 v8, v15, v8, v10
	v_dot4c_i32_i8 v12, v17, v16
	v_cvt_f32_f16_sdwa v9, v7 dst_sel:DWORD dst_unused:UNUSED_PAD src0_sel:WORD_1
	v_dot4c_i32_i8 v12, v8, v14
	v_mul_f32_e32 v8, 0.5, v9
	v_cvt_f32_i32_e32 v9, v12
	v_fma_mix_f32 v7, v9, v7, v8 op_sel_hi:[0,1,0]
	v_add_f32_e32 v3, v3, v7
	s_andn2_b32 exec_lo, exec_lo, s0
	s_cbranch_execnz .LBB101_3
; %bb.4:
	s_or_b32 exec_lo, exec_lo, s0
.LBB101_5:
	s_or_b32 exec_lo, exec_lo, s6
	v_mbcnt_lo_u32_b32 v2, -1, 0
	v_xor_b32_e32 v4, 16, v2
	v_xor_b32_e32 v5, 8, v2
	v_cmp_gt_i32_e32 vcc_lo, 32, v4
	v_cndmask_b32_e32 v4, v2, v4, vcc_lo
	v_cmp_gt_i32_e32 vcc_lo, 32, v5
	v_lshlrev_b32_e32 v4, 2, v4
	v_cndmask_b32_e32 v5, v2, v5, vcc_lo
	ds_bpermute_b32 v4, v4, v3
	v_lshlrev_b32_e32 v5, 2, v5
	s_waitcnt lgkmcnt(0)
	v_add_f32_e32 v3, v3, v4
	ds_bpermute_b32 v4, v5, v3
	v_xor_b32_e32 v5, 4, v2
	v_cmp_gt_i32_e32 vcc_lo, 32, v5
	v_cndmask_b32_e32 v5, v2, v5, vcc_lo
	v_lshlrev_b32_e32 v5, 2, v5
	s_waitcnt lgkmcnt(0)
	v_add_f32_e32 v3, v3, v4
	ds_bpermute_b32 v4, v5, v3
	v_xor_b32_e32 v5, 2, v2
	v_cmp_gt_i32_e32 vcc_lo, 32, v5
	v_cndmask_b32_e32 v5, v2, v5, vcc_lo
	;; [unrolled: 7-line block ×3, first 2 shown]
	v_cmp_eq_u32_e32 vcc_lo, 0, v0
	s_waitcnt lgkmcnt(0)
	v_add_f32_e32 v2, v3, v4
	v_lshlrev_b32_e32 v3, 2, v5
	ds_bpermute_b32 v3, v3, v2
	s_and_b32 exec_lo, exec_lo, vcc_lo
	s_cbranch_execz .LBB101_7
; %bb.6:
	s_waitcnt lgkmcnt(0)
	v_add_f32_e32 v2, v2, v3
	v_mov_b32_e32 v4, 0x7fc0
	v_mad_u64_u32 v[0:1], null, s1, s7, v[1:2]
	v_mov_b32_e32 v1, 0
	v_bfe_u32 v3, v2, 16, 1
	v_cmp_o_f32_e32 vcc_lo, v2, v2
	v_add3_u32 v2, v2, v3, 0x7fff
	v_lshlrev_b64 v[0:1], 1, v[0:1]
	v_cndmask_b32_sdwa v2, v4, v2, vcc_lo dst_sel:DWORD dst_unused:UNUSED_PAD src0_sel:DWORD src1_sel:WORD_1
	v_add_co_u32 v0, vcc_lo, s2, v0
	v_add_co_ci_u32_e64 v1, null, s3, v1, vcc_lo
	global_store_short v[0:1], v2, off
.LBB101_7:
	s_endpgm
	.section	.rodata,"a",@progbits
	.p2align	6, 0x0
	.amdhsa_kernel _ZL13mul_mat_vec_qIN3c108BFloat16ELi32ELi4E10block_q5_1Li2EXadL_ZL17vec_dot_q5_1_q8_1PKvPK10block_q8_1RKiEEEvS4_S4_PT_iii
		.amdhsa_group_segment_fixed_size 0
		.amdhsa_private_segment_fixed_size 0
		.amdhsa_kernarg_size 296
		.amdhsa_user_sgpr_count 6
		.amdhsa_user_sgpr_private_segment_buffer 1
		.amdhsa_user_sgpr_dispatch_ptr 0
		.amdhsa_user_sgpr_queue_ptr 0
		.amdhsa_user_sgpr_kernarg_segment_ptr 1
		.amdhsa_user_sgpr_dispatch_id 0
		.amdhsa_user_sgpr_flat_scratch_init 0
		.amdhsa_user_sgpr_private_segment_size 0
		.amdhsa_wavefront_size32 1
		.amdhsa_uses_dynamic_stack 0
		.amdhsa_system_sgpr_private_segment_wavefront_offset 0
		.amdhsa_system_sgpr_workgroup_id_x 1
		.amdhsa_system_sgpr_workgroup_id_y 1
		.amdhsa_system_sgpr_workgroup_id_z 0
		.amdhsa_system_sgpr_workgroup_info 0
		.amdhsa_system_vgpr_workitem_id 1
		.amdhsa_next_free_vgpr 34
		.amdhsa_next_free_sgpr 13
		.amdhsa_reserve_vcc 1
		.amdhsa_reserve_flat_scratch 0
		.amdhsa_float_round_mode_32 0
		.amdhsa_float_round_mode_16_64 0
		.amdhsa_float_denorm_mode_32 3
		.amdhsa_float_denorm_mode_16_64 3
		.amdhsa_dx10_clamp 1
		.amdhsa_ieee_mode 1
		.amdhsa_fp16_overflow 0
		.amdhsa_workgroup_processor_mode 1
		.amdhsa_memory_ordered 1
		.amdhsa_forward_progress 1
		.amdhsa_shared_vgpr_count 0
		.amdhsa_exception_fp_ieee_invalid_op 0
		.amdhsa_exception_fp_denorm_src 0
		.amdhsa_exception_fp_ieee_div_zero 0
		.amdhsa_exception_fp_ieee_overflow 0
		.amdhsa_exception_fp_ieee_underflow 0
		.amdhsa_exception_fp_ieee_inexact 0
		.amdhsa_exception_int_div_zero 0
	.end_amdhsa_kernel
	.section	.text._ZL13mul_mat_vec_qIN3c108BFloat16ELi32ELi4E10block_q5_1Li2EXadL_ZL17vec_dot_q5_1_q8_1PKvPK10block_q8_1RKiEEEvS4_S4_PT_iii,"axG",@progbits,_ZL13mul_mat_vec_qIN3c108BFloat16ELi32ELi4E10block_q5_1Li2EXadL_ZL17vec_dot_q5_1_q8_1PKvPK10block_q8_1RKiEEEvS4_S4_PT_iii,comdat
.Lfunc_end101:
	.size	_ZL13mul_mat_vec_qIN3c108BFloat16ELi32ELi4E10block_q5_1Li2EXadL_ZL17vec_dot_q5_1_q8_1PKvPK10block_q8_1RKiEEEvS4_S4_PT_iii, .Lfunc_end101-_ZL13mul_mat_vec_qIN3c108BFloat16ELi32ELi4E10block_q5_1Li2EXadL_ZL17vec_dot_q5_1_q8_1PKvPK10block_q8_1RKiEEEvS4_S4_PT_iii
                                        ; -- End function
	.set _ZL13mul_mat_vec_qIN3c108BFloat16ELi32ELi4E10block_q5_1Li2EXadL_ZL17vec_dot_q5_1_q8_1PKvPK10block_q8_1RKiEEEvS4_S4_PT_iii.num_vgpr, 34
	.set _ZL13mul_mat_vec_qIN3c108BFloat16ELi32ELi4E10block_q5_1Li2EXadL_ZL17vec_dot_q5_1_q8_1PKvPK10block_q8_1RKiEEEvS4_S4_PT_iii.num_agpr, 0
	.set _ZL13mul_mat_vec_qIN3c108BFloat16ELi32ELi4E10block_q5_1Li2EXadL_ZL17vec_dot_q5_1_q8_1PKvPK10block_q8_1RKiEEEvS4_S4_PT_iii.numbered_sgpr, 13
	.set _ZL13mul_mat_vec_qIN3c108BFloat16ELi32ELi4E10block_q5_1Li2EXadL_ZL17vec_dot_q5_1_q8_1PKvPK10block_q8_1RKiEEEvS4_S4_PT_iii.num_named_barrier, 0
	.set _ZL13mul_mat_vec_qIN3c108BFloat16ELi32ELi4E10block_q5_1Li2EXadL_ZL17vec_dot_q5_1_q8_1PKvPK10block_q8_1RKiEEEvS4_S4_PT_iii.private_seg_size, 0
	.set _ZL13mul_mat_vec_qIN3c108BFloat16ELi32ELi4E10block_q5_1Li2EXadL_ZL17vec_dot_q5_1_q8_1PKvPK10block_q8_1RKiEEEvS4_S4_PT_iii.uses_vcc, 1
	.set _ZL13mul_mat_vec_qIN3c108BFloat16ELi32ELi4E10block_q5_1Li2EXadL_ZL17vec_dot_q5_1_q8_1PKvPK10block_q8_1RKiEEEvS4_S4_PT_iii.uses_flat_scratch, 0
	.set _ZL13mul_mat_vec_qIN3c108BFloat16ELi32ELi4E10block_q5_1Li2EXadL_ZL17vec_dot_q5_1_q8_1PKvPK10block_q8_1RKiEEEvS4_S4_PT_iii.has_dyn_sized_stack, 0
	.set _ZL13mul_mat_vec_qIN3c108BFloat16ELi32ELi4E10block_q5_1Li2EXadL_ZL17vec_dot_q5_1_q8_1PKvPK10block_q8_1RKiEEEvS4_S4_PT_iii.has_recursion, 0
	.set _ZL13mul_mat_vec_qIN3c108BFloat16ELi32ELi4E10block_q5_1Li2EXadL_ZL17vec_dot_q5_1_q8_1PKvPK10block_q8_1RKiEEEvS4_S4_PT_iii.has_indirect_call, 0
	.section	.AMDGPU.csdata,"",@progbits
; Kernel info:
; codeLenInByte = 940
; TotalNumSgprs: 15
; NumVgprs: 34
; ScratchSize: 0
; MemoryBound: 0
; FloatMode: 240
; IeeeMode: 1
; LDSByteSize: 0 bytes/workgroup (compile time only)
; SGPRBlocks: 0
; VGPRBlocks: 4
; NumSGPRsForWavesPerEU: 15
; NumVGPRsForWavesPerEU: 34
; Occupancy: 16
; WaveLimiterHint : 0
; COMPUTE_PGM_RSRC2:SCRATCH_EN: 0
; COMPUTE_PGM_RSRC2:USER_SGPR: 6
; COMPUTE_PGM_RSRC2:TRAP_HANDLER: 0
; COMPUTE_PGM_RSRC2:TGID_X_EN: 1
; COMPUTE_PGM_RSRC2:TGID_Y_EN: 1
; COMPUTE_PGM_RSRC2:TGID_Z_EN: 0
; COMPUTE_PGM_RSRC2:TIDIG_COMP_CNT: 1
	.section	.text._ZL13mul_mat_vec_qIN3c108BFloat16ELi32ELi8E10block_q8_0Li2EXadL_ZL17vec_dot_q8_0_q8_1PKvPK10block_q8_1RKiEEEvS4_S4_PT_iii,"axG",@progbits,_ZL13mul_mat_vec_qIN3c108BFloat16ELi32ELi8E10block_q8_0Li2EXadL_ZL17vec_dot_q8_0_q8_1PKvPK10block_q8_1RKiEEEvS4_S4_PT_iii,comdat
	.globl	_ZL13mul_mat_vec_qIN3c108BFloat16ELi32ELi8E10block_q8_0Li2EXadL_ZL17vec_dot_q8_0_q8_1PKvPK10block_q8_1RKiEEEvS4_S4_PT_iii ; -- Begin function _ZL13mul_mat_vec_qIN3c108BFloat16ELi32ELi8E10block_q8_0Li2EXadL_ZL17vec_dot_q8_0_q8_1PKvPK10block_q8_1RKiEEEvS4_S4_PT_iii
	.p2align	8
	.type	_ZL13mul_mat_vec_qIN3c108BFloat16ELi32ELi8E10block_q8_0Li2EXadL_ZL17vec_dot_q8_0_q8_1PKvPK10block_q8_1RKiEEEvS4_S4_PT_iii,@function
_ZL13mul_mat_vec_qIN3c108BFloat16ELi32ELi8E10block_q8_0Li2EXadL_ZL17vec_dot_q8_0_q8_1PKvPK10block_q8_1RKiEEEvS4_S4_PT_iii: ; @_ZL13mul_mat_vec_qIN3c108BFloat16ELi32ELi8E10block_q8_0Li2EXadL_ZL17vec_dot_q8_0_q8_1PKvPK10block_q8_1RKiEEEvS4_S4_PT_iii
; %bb.0:
	s_clause 0x1
	s_load_dword s8, s[4:5], 0x34
	s_load_dwordx4 s[0:3], s[4:5], 0x18
	s_waitcnt lgkmcnt(0)
	s_lshr_b32 s3, s8, 16
	s_cmp_lt_u32 s7, s2
	v_mad_u64_u32 v[1:2], null, s6, s3, v[1:2]
	s_cselect_b32 s2, -1, 0
	v_cmp_gt_u32_e32 vcc_lo, s1, v1
	s_and_b32 s2, s2, vcc_lo
	s_and_saveexec_b32 s3, s2
	s_cbranch_execz .LBB102_7
; %bb.1:
	s_load_dwordx2 s[2:3], s[4:5], 0x10
	s_ashr_i32 s6, s0, 31
	v_lshrrev_b32_e32 v3, 2, v0
	s_lshr_b32 s6, s6, 27
	v_mov_b32_e32 v2, 0
	s_add_i32 s6, s0, s6
	s_ashr_i32 s12, s6, 5
	s_mov_b32 s6, exec_lo
	v_cmpx_gt_u32_e64 s12, v3
	s_cbranch_execz .LBB102_5
; %bb.2:
	s_load_dwordx4 s[8:11], s[4:5], 0x0
	s_addk_i32 s0, 0x1ff
	v_lshlrev_b32_e32 v2, 3, v0
	s_ashr_i32 s4, s0, 31
	v_mul_lo_u32 v4, v1, s12
	s_lshr_b32 s4, s4, 23
	s_add_i32 s0, s0, s4
	v_and_b32_e32 v5, 24, v2
	s_ashr_i32 s0, s0, 9
	v_mov_b32_e32 v2, 0
	s_mul_i32 s0, s7, s0
	s_mov_b32 s4, 0
	s_lshl_b32 s0, s0, 4
	s_inst_prefetch 0x1
	.p2align	6
.LBB102_3:                              ; =>This Inner Loop Header: Depth=1
	v_add_nc_u32_e32 v6, v4, v3
	v_add_nc_u32_e32 v8, s0, v3
	;; [unrolled: 1-line block ×3, first 2 shown]
	s_waitcnt lgkmcnt(0)
	v_mad_i64_i32 v[6:7], null, v6, 34, s[8:9]
	v_mad_i64_i32 v[8:9], null, v8, 36, s[10:11]
	v_add_co_u32 v10, vcc_lo, v6, v5
	v_add_co_ci_u32_e64 v11, null, 0, v7, vcc_lo
	v_add_co_u32 v12, vcc_lo, v8, v5
	v_add_co_ci_u32_e64 v13, null, 0, v9, vcc_lo
	global_load_dwordx2 v[10:11], v[10:11], off offset:2
	global_load_dwordx2 v[12:13], v[12:13], off offset:4
	global_load_ushort v6, v[6:7], off
	global_load_dword v7, v[8:9], off
	v_mov_b32_e32 v8, 0
	v_cmp_le_u32_e32 vcc_lo, s12, v3
	s_or_b32 s4, vcc_lo, s4
	s_waitcnt vmcnt(2)
	v_dot4c_i32_i8 v8, v10, v12
	s_waitcnt vmcnt(1)
	v_cvt_f32_f16_e32 v6, v6
	s_waitcnt vmcnt(0)
	v_cvt_f32_f16_e32 v7, v7
	v_dot4c_i32_i8 v8, v11, v13
	v_mul_f32_e32 v6, v6, v7
	v_cvt_f32_i32_e32 v7, v8
	v_fmac_f32_e32 v2, v6, v7
	s_andn2_b32 exec_lo, exec_lo, s4
	s_cbranch_execnz .LBB102_3
; %bb.4:
	s_inst_prefetch 0x2
	s_or_b32 exec_lo, exec_lo, s4
.LBB102_5:
	s_or_b32 exec_lo, exec_lo, s6
	v_mbcnt_lo_u32_b32 v3, -1, 0
	v_xor_b32_e32 v4, 16, v3
	v_xor_b32_e32 v5, 8, v3
	v_cmp_gt_i32_e32 vcc_lo, 32, v4
	v_cndmask_b32_e32 v4, v3, v4, vcc_lo
	v_cmp_gt_i32_e32 vcc_lo, 32, v5
	v_lshlrev_b32_e32 v4, 2, v4
	v_cndmask_b32_e32 v5, v3, v5, vcc_lo
	ds_bpermute_b32 v4, v4, v2
	v_lshlrev_b32_e32 v5, 2, v5
	s_waitcnt lgkmcnt(0)
	v_add_f32_e32 v2, v2, v4
	ds_bpermute_b32 v4, v5, v2
	v_xor_b32_e32 v5, 4, v3
	v_cmp_gt_i32_e32 vcc_lo, 32, v5
	v_cndmask_b32_e32 v5, v3, v5, vcc_lo
	v_lshlrev_b32_e32 v5, 2, v5
	s_waitcnt lgkmcnt(0)
	v_add_f32_e32 v2, v2, v4
	ds_bpermute_b32 v4, v5, v2
	v_xor_b32_e32 v5, 2, v3
	v_cmp_gt_i32_e32 vcc_lo, 32, v5
	v_cndmask_b32_e32 v5, v3, v5, vcc_lo
	;; [unrolled: 7-line block ×3, first 2 shown]
	v_cmp_eq_u32_e32 vcc_lo, 0, v0
	v_lshlrev_b32_e32 v3, 2, v3
	s_waitcnt lgkmcnt(0)
	v_add_f32_e32 v2, v2, v4
	ds_bpermute_b32 v3, v3, v2
	s_and_b32 exec_lo, exec_lo, vcc_lo
	s_cbranch_execz .LBB102_7
; %bb.6:
	s_waitcnt lgkmcnt(0)
	v_add_f32_e32 v2, v2, v3
	v_mov_b32_e32 v4, 0x7fc0
	v_mad_u64_u32 v[0:1], null, s1, s7, v[1:2]
	v_mov_b32_e32 v1, 0
	v_bfe_u32 v3, v2, 16, 1
	v_cmp_o_f32_e32 vcc_lo, v2, v2
	v_add3_u32 v2, v2, v3, 0x7fff
	v_lshlrev_b64 v[0:1], 1, v[0:1]
	v_cndmask_b32_sdwa v2, v4, v2, vcc_lo dst_sel:DWORD dst_unused:UNUSED_PAD src0_sel:DWORD src1_sel:WORD_1
	v_add_co_u32 v0, vcc_lo, s2, v0
	v_add_co_ci_u32_e64 v1, null, s3, v1, vcc_lo
	global_store_short v[0:1], v2, off
.LBB102_7:
	s_endpgm
	.section	.rodata,"a",@progbits
	.p2align	6, 0x0
	.amdhsa_kernel _ZL13mul_mat_vec_qIN3c108BFloat16ELi32ELi8E10block_q8_0Li2EXadL_ZL17vec_dot_q8_0_q8_1PKvPK10block_q8_1RKiEEEvS4_S4_PT_iii
		.amdhsa_group_segment_fixed_size 0
		.amdhsa_private_segment_fixed_size 0
		.amdhsa_kernarg_size 296
		.amdhsa_user_sgpr_count 6
		.amdhsa_user_sgpr_private_segment_buffer 1
		.amdhsa_user_sgpr_dispatch_ptr 0
		.amdhsa_user_sgpr_queue_ptr 0
		.amdhsa_user_sgpr_kernarg_segment_ptr 1
		.amdhsa_user_sgpr_dispatch_id 0
		.amdhsa_user_sgpr_flat_scratch_init 0
		.amdhsa_user_sgpr_private_segment_size 0
		.amdhsa_wavefront_size32 1
		.amdhsa_uses_dynamic_stack 0
		.amdhsa_system_sgpr_private_segment_wavefront_offset 0
		.amdhsa_system_sgpr_workgroup_id_x 1
		.amdhsa_system_sgpr_workgroup_id_y 1
		.amdhsa_system_sgpr_workgroup_id_z 0
		.amdhsa_system_sgpr_workgroup_info 0
		.amdhsa_system_vgpr_workitem_id 1
		.amdhsa_next_free_vgpr 14
		.amdhsa_next_free_sgpr 13
		.amdhsa_reserve_vcc 1
		.amdhsa_reserve_flat_scratch 0
		.amdhsa_float_round_mode_32 0
		.amdhsa_float_round_mode_16_64 0
		.amdhsa_float_denorm_mode_32 3
		.amdhsa_float_denorm_mode_16_64 3
		.amdhsa_dx10_clamp 1
		.amdhsa_ieee_mode 1
		.amdhsa_fp16_overflow 0
		.amdhsa_workgroup_processor_mode 1
		.amdhsa_memory_ordered 1
		.amdhsa_forward_progress 1
		.amdhsa_shared_vgpr_count 0
		.amdhsa_exception_fp_ieee_invalid_op 0
		.amdhsa_exception_fp_denorm_src 0
		.amdhsa_exception_fp_ieee_div_zero 0
		.amdhsa_exception_fp_ieee_overflow 0
		.amdhsa_exception_fp_ieee_underflow 0
		.amdhsa_exception_fp_ieee_inexact 0
		.amdhsa_exception_int_div_zero 0
	.end_amdhsa_kernel
	.section	.text._ZL13mul_mat_vec_qIN3c108BFloat16ELi32ELi8E10block_q8_0Li2EXadL_ZL17vec_dot_q8_0_q8_1PKvPK10block_q8_1RKiEEEvS4_S4_PT_iii,"axG",@progbits,_ZL13mul_mat_vec_qIN3c108BFloat16ELi32ELi8E10block_q8_0Li2EXadL_ZL17vec_dot_q8_0_q8_1PKvPK10block_q8_1RKiEEEvS4_S4_PT_iii,comdat
.Lfunc_end102:
	.size	_ZL13mul_mat_vec_qIN3c108BFloat16ELi32ELi8E10block_q8_0Li2EXadL_ZL17vec_dot_q8_0_q8_1PKvPK10block_q8_1RKiEEEvS4_S4_PT_iii, .Lfunc_end102-_ZL13mul_mat_vec_qIN3c108BFloat16ELi32ELi8E10block_q8_0Li2EXadL_ZL17vec_dot_q8_0_q8_1PKvPK10block_q8_1RKiEEEvS4_S4_PT_iii
                                        ; -- End function
	.set _ZL13mul_mat_vec_qIN3c108BFloat16ELi32ELi8E10block_q8_0Li2EXadL_ZL17vec_dot_q8_0_q8_1PKvPK10block_q8_1RKiEEEvS4_S4_PT_iii.num_vgpr, 14
	.set _ZL13mul_mat_vec_qIN3c108BFloat16ELi32ELi8E10block_q8_0Li2EXadL_ZL17vec_dot_q8_0_q8_1PKvPK10block_q8_1RKiEEEvS4_S4_PT_iii.num_agpr, 0
	.set _ZL13mul_mat_vec_qIN3c108BFloat16ELi32ELi8E10block_q8_0Li2EXadL_ZL17vec_dot_q8_0_q8_1PKvPK10block_q8_1RKiEEEvS4_S4_PT_iii.numbered_sgpr, 13
	.set _ZL13mul_mat_vec_qIN3c108BFloat16ELi32ELi8E10block_q8_0Li2EXadL_ZL17vec_dot_q8_0_q8_1PKvPK10block_q8_1RKiEEEvS4_S4_PT_iii.num_named_barrier, 0
	.set _ZL13mul_mat_vec_qIN3c108BFloat16ELi32ELi8E10block_q8_0Li2EXadL_ZL17vec_dot_q8_0_q8_1PKvPK10block_q8_1RKiEEEvS4_S4_PT_iii.private_seg_size, 0
	.set _ZL13mul_mat_vec_qIN3c108BFloat16ELi32ELi8E10block_q8_0Li2EXadL_ZL17vec_dot_q8_0_q8_1PKvPK10block_q8_1RKiEEEvS4_S4_PT_iii.uses_vcc, 1
	.set _ZL13mul_mat_vec_qIN3c108BFloat16ELi32ELi8E10block_q8_0Li2EXadL_ZL17vec_dot_q8_0_q8_1PKvPK10block_q8_1RKiEEEvS4_S4_PT_iii.uses_flat_scratch, 0
	.set _ZL13mul_mat_vec_qIN3c108BFloat16ELi32ELi8E10block_q8_0Li2EXadL_ZL17vec_dot_q8_0_q8_1PKvPK10block_q8_1RKiEEEvS4_S4_PT_iii.has_dyn_sized_stack, 0
	.set _ZL13mul_mat_vec_qIN3c108BFloat16ELi32ELi8E10block_q8_0Li2EXadL_ZL17vec_dot_q8_0_q8_1PKvPK10block_q8_1RKiEEEvS4_S4_PT_iii.has_recursion, 0
	.set _ZL13mul_mat_vec_qIN3c108BFloat16ELi32ELi8E10block_q8_0Li2EXadL_ZL17vec_dot_q8_0_q8_1PKvPK10block_q8_1RKiEEEvS4_S4_PT_iii.has_indirect_call, 0
	.section	.AMDGPU.csdata,"",@progbits
; Kernel info:
; codeLenInByte = 628
; TotalNumSgprs: 15
; NumVgprs: 14
; ScratchSize: 0
; MemoryBound: 0
; FloatMode: 240
; IeeeMode: 1
; LDSByteSize: 0 bytes/workgroup (compile time only)
; SGPRBlocks: 0
; VGPRBlocks: 1
; NumSGPRsForWavesPerEU: 15
; NumVGPRsForWavesPerEU: 14
; Occupancy: 16
; WaveLimiterHint : 0
; COMPUTE_PGM_RSRC2:SCRATCH_EN: 0
; COMPUTE_PGM_RSRC2:USER_SGPR: 6
; COMPUTE_PGM_RSRC2:TRAP_HANDLER: 0
; COMPUTE_PGM_RSRC2:TGID_X_EN: 1
; COMPUTE_PGM_RSRC2:TGID_Y_EN: 1
; COMPUTE_PGM_RSRC2:TGID_Z_EN: 0
; COMPUTE_PGM_RSRC2:TIDIG_COMP_CNT: 1
	.section	.text._ZL13mul_mat_vec_qIN3c108BFloat16ELi256ELi16E10block_q2_KLi1EXadL_ZL17vec_dot_q2_K_q8_1PKvPK10block_q8_1RKiEEEvS4_S4_PT_iii,"axG",@progbits,_ZL13mul_mat_vec_qIN3c108BFloat16ELi256ELi16E10block_q2_KLi1EXadL_ZL17vec_dot_q2_K_q8_1PKvPK10block_q8_1RKiEEEvS4_S4_PT_iii,comdat
	.globl	_ZL13mul_mat_vec_qIN3c108BFloat16ELi256ELi16E10block_q2_KLi1EXadL_ZL17vec_dot_q2_K_q8_1PKvPK10block_q8_1RKiEEEvS4_S4_PT_iii ; -- Begin function _ZL13mul_mat_vec_qIN3c108BFloat16ELi256ELi16E10block_q2_KLi1EXadL_ZL17vec_dot_q2_K_q8_1PKvPK10block_q8_1RKiEEEvS4_S4_PT_iii
	.p2align	8
	.type	_ZL13mul_mat_vec_qIN3c108BFloat16ELi256ELi16E10block_q2_KLi1EXadL_ZL17vec_dot_q2_K_q8_1PKvPK10block_q8_1RKiEEEvS4_S4_PT_iii,@function
_ZL13mul_mat_vec_qIN3c108BFloat16ELi256ELi16E10block_q2_KLi1EXadL_ZL17vec_dot_q2_K_q8_1PKvPK10block_q8_1RKiEEEvS4_S4_PT_iii: ; @_ZL13mul_mat_vec_qIN3c108BFloat16ELi256ELi16E10block_q2_KLi1EXadL_ZL17vec_dot_q2_K_q8_1PKvPK10block_q8_1RKiEEEvS4_S4_PT_iii
; %bb.0:
	s_clause 0x1
	s_load_dword s8, s[4:5], 0x34
	s_load_dwordx4 s[0:3], s[4:5], 0x18
	s_waitcnt lgkmcnt(0)
	s_lshr_b32 s3, s8, 16
	s_cmp_lt_u32 s7, s2
	v_mad_u64_u32 v[1:2], null, s6, s3, v[1:2]
	s_cselect_b32 s2, -1, 0
	v_cmp_gt_u32_e32 vcc_lo, s1, v1
	s_and_b32 s2, s2, vcc_lo
	s_and_saveexec_b32 s3, s2
	s_cbranch_execz .LBB103_7
; %bb.1:
	s_load_dwordx2 s[2:3], s[4:5], 0x10
	s_ashr_i32 s6, s0, 31
	v_lshrrev_b32_e32 v8, 4, v0
	s_lshr_b32 s6, s6, 24
	v_mov_b32_e32 v3, 0
	s_add_i32 s6, s0, s6
	s_ashr_i32 s12, s6, 8
	s_mov_b32 s6, exec_lo
	v_cmpx_gt_u32_e64 s12, v8
	s_cbranch_execz .LBB103_5
; %bb.2:
	v_and_b32_e32 v3, 15, v0
	s_load_dwordx4 s[8:11], s[4:5], 0x0
	v_lshrrev_b32_e32 v4, 1, v0
	s_addk_i32 s0, 0x1ff
	v_lshlrev_b32_e32 v12, 3, v8
	v_sub_co_u32 v2, vcc_lo, v3, 8
	s_ashr_i32 s13, s0, 31
	v_and_b32_e32 v4, 4, v4
	s_lshr_b32 s4, s13, 23
	v_cndmask_b32_e32 v2, v2, v3, vcc_lo
	s_add_i32 s0, s0, s4
	v_lshlrev_b32_e32 v10, 2, v3
	s_ashr_i32 s0, s0, 9
	v_mul_lo_u32 v9, v1, s12
	v_sub_nc_u32_e32 v5, v3, v2
	v_cmp_lt_u32_e32 vcc_lo, 3, v2
	v_mov_b32_e32 v3, 0
	s_mul_i32 s0, s7, s0
	v_lshl_add_u32 v12, s0, 4, v12
	v_add_co_ci_u32_e64 v11, null, 0, v5, vcc_lo
	s_waitcnt lgkmcnt(0)
	v_mad_u64_u32 v[4:5], null, v4, 36, s[10:11]
	v_lshlrev_b64 v[6:7], 2, v[2:3]
	v_ashrrev_i32_e32 v2, 31, v11
	s_mov_b32 s0, 0
.LBB103_3:                              ; =>This Inner Loop Header: Depth=1
	v_add_nc_u32_e32 v15, v9, v8
	v_mad_i64_i32 v[13:14], null, v12, 36, v[4:5]
	v_mov_b32_e32 v29, 0
	v_mov_b32_e32 v30, 0
	v_mad_i64_i32 v[15:16], null, 0x54, v15, s[8:9]
	v_mov_b32_e32 v31, 0
	v_mov_b32_e32 v33, 0
	v_add_co_u32 v17, vcc_lo, v13, v6
	v_add_co_ci_u32_e64 v18, null, v14, v7, vcc_lo
	v_add_co_u32 v19, vcc_lo, v15, v10
	v_add_co_ci_u32_e64 v20, null, 0, v16, vcc_lo
	;; [unrolled: 2-line block ×3, first 2 shown]
	s_clause 0x3
	global_load_dword v23, v[13:14], off
	global_load_dword v24, v[17:18], off offset:4
	global_load_dword v25, v[17:18], off offset:40
	;; [unrolled: 1-line block ×3, first 2 shown]
	s_clause 0x4
	global_load_dword v19, v[19:20], off offset:16
	global_load_ubyte v20, v[21:22], off
	global_load_ubyte v27, v[21:22], off offset:2
	global_load_ubyte v28, v[21:22], off offset:4
	;; [unrolled: 1-line block ×3, first 2 shown]
	s_clause 0x3
	global_load_dword v17, v[17:18], off offset:112
	global_load_dword v18, v[13:14], off offset:36
	global_load_dword v22, v[13:14], off offset:72
	global_load_dword v13, v[13:14], off offset:108
	global_load_dword v14, v[15:16], off offset:80
	v_mov_b32_e32 v15, 0
	v_mov_b32_e32 v16, 0
	;; [unrolled: 1-line block ×4, first 2 shown]
	v_add_nc_u32_e32 v8, 2, v8
	v_add_nc_u32_e32 v12, 16, v12
	v_cmp_le_u32_e32 vcc_lo, s12, v8
	s_or_b32 s0, vcc_lo, s0
	s_waitcnt vmcnt(9)
	v_and_b32_e32 v35, 0x3030303, v19
	s_waitcnt vmcnt(8)
	v_and_b32_e32 v36, 15, v20
	v_lshrrev_b32_e32 v20, 4, v20
	v_lshrrev_b32_e32 v37, 2, v19
	s_waitcnt vmcnt(7)
	v_and_b32_e32 v38, 15, v27
	v_lshrrev_b32_e32 v27, 4, v27
	s_waitcnt vmcnt(5)
	v_and_b32_e32 v41, 15, v21
	v_mul_lo_u32 v20, 0x1010101, v20
	v_lshrrev_b32_e32 v21, 4, v21
	v_lshrrev_b32_e32 v39, 4, v19
	v_and_b32_e32 v40, 15, v28
	v_lshrrev_b32_e32 v28, 4, v28
	v_lshrrev_b32_e32 v19, 6, v19
	v_dot4c_i32_i8 v15, v35, v24
	v_and_b32_e32 v35, 0x3030303, v37
	v_mul_lo_u32 v27, 0x1010101, v27
	v_mul_lo_u32 v21, 0x1010101, v21
	v_dot4c_i32_i8 v16, v20, v24
	v_and_b32_e32 v37, 0x3030303, v39
	v_mul_lo_u32 v28, 0x1010101, v28
	v_and_b32_e32 v19, 0x3030303, v19
	v_mul_lo_u32 v15, v36, v15
	v_dot4c_i32_i8 v29, v35, v25
	v_dot4c_i32_i8 v30, v27, v25
	v_cvt_f32_i32_e32 v16, v16
	v_dot4c_i32_i8 v31, v37, v26
	s_waitcnt vmcnt(4)
	v_dot4c_i32_i8 v33, v19, v17
	v_dot4c_i32_i8 v34, v21, v17
	v_mul_lo_u32 v17, v38, v29
	v_dot4c_i32_i8 v32, v28, v26
	v_cvt_f32_i32_e32 v15, v15
	v_cvt_f32_i32_e32 v20, v30
	v_fma_mix_f32 v16, v23, v16, 0 op_sel_hi:[1,0,0]
	v_mul_lo_u32 v19, v40, v31
	v_cvt_f32_i32_e32 v21, v32
	v_fma_mix_f32 v15, v23, v15, 0 op_sel_hi:[1,0,0]
	v_cvt_f32_i32_e32 v17, v17
	s_waitcnt vmcnt(3)
	v_fma_mix_f32 v16, v18, v20, v16 op_sel_hi:[1,0,0]
	v_mul_lo_u32 v20, v41, v33
	v_cvt_f32_i32_e32 v23, v34
	v_cvt_f32_i32_e32 v19, v19
	v_fma_mix_f32 v15, v18, v17, v15 op_sel_hi:[1,0,0]
	s_waitcnt vmcnt(2)
	v_fma_mix_f32 v16, v22, v21, v16 op_sel_hi:[1,0,0]
	s_waitcnt vmcnt(0)
	v_cvt_f32_f16_sdwa v17, v14 dst_sel:DWORD dst_unused:UNUSED_PAD src0_sel:WORD_1
	v_cvt_f32_i32_e32 v18, v20
	v_fma_mix_f32 v15, v22, v19, v15 op_sel_hi:[1,0,0]
	v_fma_mix_f32 v16, v13, v23, v16 op_sel_hi:[1,0,0]
	;; [unrolled: 1-line block ×3, first 2 shown]
	v_mul_f32_e32 v15, v16, v17
	v_fma_mix_f32 v13, v13, v14, -v15 op_sel_hi:[0,1,0]
	v_add_f32_e32 v3, v3, v13
	s_andn2_b32 exec_lo, exec_lo, s0
	s_cbranch_execnz .LBB103_3
; %bb.4:
	s_or_b32 exec_lo, exec_lo, s0
.LBB103_5:
	s_or_b32 exec_lo, exec_lo, s6
	v_mbcnt_lo_u32_b32 v2, -1, 0
	v_xor_b32_e32 v4, 16, v2
	v_xor_b32_e32 v5, 8, v2
	v_cmp_gt_i32_e32 vcc_lo, 32, v4
	v_cndmask_b32_e32 v4, v2, v4, vcc_lo
	v_cmp_gt_i32_e32 vcc_lo, 32, v5
	v_lshlrev_b32_e32 v4, 2, v4
	v_cndmask_b32_e32 v5, v2, v5, vcc_lo
	ds_bpermute_b32 v4, v4, v3
	v_lshlrev_b32_e32 v5, 2, v5
	s_waitcnt lgkmcnt(0)
	v_add_f32_e32 v3, v3, v4
	ds_bpermute_b32 v4, v5, v3
	v_xor_b32_e32 v5, 4, v2
	v_cmp_gt_i32_e32 vcc_lo, 32, v5
	v_cndmask_b32_e32 v5, v2, v5, vcc_lo
	v_lshlrev_b32_e32 v5, 2, v5
	s_waitcnt lgkmcnt(0)
	v_add_f32_e32 v3, v3, v4
	ds_bpermute_b32 v4, v5, v3
	v_xor_b32_e32 v5, 2, v2
	v_cmp_gt_i32_e32 vcc_lo, 32, v5
	v_cndmask_b32_e32 v5, v2, v5, vcc_lo
	;; [unrolled: 7-line block ×3, first 2 shown]
	v_cmp_eq_u32_e32 vcc_lo, 0, v0
	s_waitcnt lgkmcnt(0)
	v_add_f32_e32 v2, v3, v4
	v_lshlrev_b32_e32 v3, 2, v5
	ds_bpermute_b32 v3, v3, v2
	s_and_b32 exec_lo, exec_lo, vcc_lo
	s_cbranch_execz .LBB103_7
; %bb.6:
	s_waitcnt lgkmcnt(0)
	v_add_f32_e32 v2, v2, v3
	v_mov_b32_e32 v4, 0x7fc0
	v_mad_u64_u32 v[0:1], null, s1, s7, v[1:2]
	v_mov_b32_e32 v1, 0
	v_bfe_u32 v3, v2, 16, 1
	v_cmp_o_f32_e32 vcc_lo, v2, v2
	v_add3_u32 v2, v2, v3, 0x7fff
	v_lshlrev_b64 v[0:1], 1, v[0:1]
	v_cndmask_b32_sdwa v2, v4, v2, vcc_lo dst_sel:DWORD dst_unused:UNUSED_PAD src0_sel:DWORD src1_sel:WORD_1
	v_add_co_u32 v0, vcc_lo, s2, v0
	v_add_co_ci_u32_e64 v1, null, s3, v1, vcc_lo
	global_store_short v[0:1], v2, off
.LBB103_7:
	s_endpgm
	.section	.rodata,"a",@progbits
	.p2align	6, 0x0
	.amdhsa_kernel _ZL13mul_mat_vec_qIN3c108BFloat16ELi256ELi16E10block_q2_KLi1EXadL_ZL17vec_dot_q2_K_q8_1PKvPK10block_q8_1RKiEEEvS4_S4_PT_iii
		.amdhsa_group_segment_fixed_size 0
		.amdhsa_private_segment_fixed_size 0
		.amdhsa_kernarg_size 296
		.amdhsa_user_sgpr_count 6
		.amdhsa_user_sgpr_private_segment_buffer 1
		.amdhsa_user_sgpr_dispatch_ptr 0
		.amdhsa_user_sgpr_queue_ptr 0
		.amdhsa_user_sgpr_kernarg_segment_ptr 1
		.amdhsa_user_sgpr_dispatch_id 0
		.amdhsa_user_sgpr_flat_scratch_init 0
		.amdhsa_user_sgpr_private_segment_size 0
		.amdhsa_wavefront_size32 1
		.amdhsa_uses_dynamic_stack 0
		.amdhsa_system_sgpr_private_segment_wavefront_offset 0
		.amdhsa_system_sgpr_workgroup_id_x 1
		.amdhsa_system_sgpr_workgroup_id_y 1
		.amdhsa_system_sgpr_workgroup_id_z 0
		.amdhsa_system_sgpr_workgroup_info 0
		.amdhsa_system_vgpr_workitem_id 1
		.amdhsa_next_free_vgpr 42
		.amdhsa_next_free_sgpr 14
		.amdhsa_reserve_vcc 1
		.amdhsa_reserve_flat_scratch 0
		.amdhsa_float_round_mode_32 0
		.amdhsa_float_round_mode_16_64 0
		.amdhsa_float_denorm_mode_32 3
		.amdhsa_float_denorm_mode_16_64 3
		.amdhsa_dx10_clamp 1
		.amdhsa_ieee_mode 1
		.amdhsa_fp16_overflow 0
		.amdhsa_workgroup_processor_mode 1
		.amdhsa_memory_ordered 1
		.amdhsa_forward_progress 1
		.amdhsa_shared_vgpr_count 0
		.amdhsa_exception_fp_ieee_invalid_op 0
		.amdhsa_exception_fp_denorm_src 0
		.amdhsa_exception_fp_ieee_div_zero 0
		.amdhsa_exception_fp_ieee_overflow 0
		.amdhsa_exception_fp_ieee_underflow 0
		.amdhsa_exception_fp_ieee_inexact 0
		.amdhsa_exception_int_div_zero 0
	.end_amdhsa_kernel
	.section	.text._ZL13mul_mat_vec_qIN3c108BFloat16ELi256ELi16E10block_q2_KLi1EXadL_ZL17vec_dot_q2_K_q8_1PKvPK10block_q8_1RKiEEEvS4_S4_PT_iii,"axG",@progbits,_ZL13mul_mat_vec_qIN3c108BFloat16ELi256ELi16E10block_q2_KLi1EXadL_ZL17vec_dot_q2_K_q8_1PKvPK10block_q8_1RKiEEEvS4_S4_PT_iii,comdat
.Lfunc_end103:
	.size	_ZL13mul_mat_vec_qIN3c108BFloat16ELi256ELi16E10block_q2_KLi1EXadL_ZL17vec_dot_q2_K_q8_1PKvPK10block_q8_1RKiEEEvS4_S4_PT_iii, .Lfunc_end103-_ZL13mul_mat_vec_qIN3c108BFloat16ELi256ELi16E10block_q2_KLi1EXadL_ZL17vec_dot_q2_K_q8_1PKvPK10block_q8_1RKiEEEvS4_S4_PT_iii
                                        ; -- End function
	.set _ZL13mul_mat_vec_qIN3c108BFloat16ELi256ELi16E10block_q2_KLi1EXadL_ZL17vec_dot_q2_K_q8_1PKvPK10block_q8_1RKiEEEvS4_S4_PT_iii.num_vgpr, 42
	.set _ZL13mul_mat_vec_qIN3c108BFloat16ELi256ELi16E10block_q2_KLi1EXadL_ZL17vec_dot_q2_K_q8_1PKvPK10block_q8_1RKiEEEvS4_S4_PT_iii.num_agpr, 0
	.set _ZL13mul_mat_vec_qIN3c108BFloat16ELi256ELi16E10block_q2_KLi1EXadL_ZL17vec_dot_q2_K_q8_1PKvPK10block_q8_1RKiEEEvS4_S4_PT_iii.numbered_sgpr, 14
	.set _ZL13mul_mat_vec_qIN3c108BFloat16ELi256ELi16E10block_q2_KLi1EXadL_ZL17vec_dot_q2_K_q8_1PKvPK10block_q8_1RKiEEEvS4_S4_PT_iii.num_named_barrier, 0
	.set _ZL13mul_mat_vec_qIN3c108BFloat16ELi256ELi16E10block_q2_KLi1EXadL_ZL17vec_dot_q2_K_q8_1PKvPK10block_q8_1RKiEEEvS4_S4_PT_iii.private_seg_size, 0
	.set _ZL13mul_mat_vec_qIN3c108BFloat16ELi256ELi16E10block_q2_KLi1EXadL_ZL17vec_dot_q2_K_q8_1PKvPK10block_q8_1RKiEEEvS4_S4_PT_iii.uses_vcc, 1
	.set _ZL13mul_mat_vec_qIN3c108BFloat16ELi256ELi16E10block_q2_KLi1EXadL_ZL17vec_dot_q2_K_q8_1PKvPK10block_q8_1RKiEEEvS4_S4_PT_iii.uses_flat_scratch, 0
	.set _ZL13mul_mat_vec_qIN3c108BFloat16ELi256ELi16E10block_q2_KLi1EXadL_ZL17vec_dot_q2_K_q8_1PKvPK10block_q8_1RKiEEEvS4_S4_PT_iii.has_dyn_sized_stack, 0
	.set _ZL13mul_mat_vec_qIN3c108BFloat16ELi256ELi16E10block_q2_KLi1EXadL_ZL17vec_dot_q2_K_q8_1PKvPK10block_q8_1RKiEEEvS4_S4_PT_iii.has_recursion, 0
	.set _ZL13mul_mat_vec_qIN3c108BFloat16ELi256ELi16E10block_q2_KLi1EXadL_ZL17vec_dot_q2_K_q8_1PKvPK10block_q8_1RKiEEEvS4_S4_PT_iii.has_indirect_call, 0
	.section	.AMDGPU.csdata,"",@progbits
; Kernel info:
; codeLenInByte = 1104
; TotalNumSgprs: 16
; NumVgprs: 42
; ScratchSize: 0
; MemoryBound: 0
; FloatMode: 240
; IeeeMode: 1
; LDSByteSize: 0 bytes/workgroup (compile time only)
; SGPRBlocks: 0
; VGPRBlocks: 5
; NumSGPRsForWavesPerEU: 16
; NumVGPRsForWavesPerEU: 42
; Occupancy: 16
; WaveLimiterHint : 0
; COMPUTE_PGM_RSRC2:SCRATCH_EN: 0
; COMPUTE_PGM_RSRC2:USER_SGPR: 6
; COMPUTE_PGM_RSRC2:TRAP_HANDLER: 0
; COMPUTE_PGM_RSRC2:TGID_X_EN: 1
; COMPUTE_PGM_RSRC2:TGID_Y_EN: 1
; COMPUTE_PGM_RSRC2:TGID_Z_EN: 0
; COMPUTE_PGM_RSRC2:TIDIG_COMP_CNT: 1
	.section	.text._ZL13mul_mat_vec_qIN3c108BFloat16ELi256ELi16E10block_q3_KLi1EXadL_ZL17vec_dot_q3_K_q8_1PKvPK10block_q8_1RKiEEEvS4_S4_PT_iii,"axG",@progbits,_ZL13mul_mat_vec_qIN3c108BFloat16ELi256ELi16E10block_q3_KLi1EXadL_ZL17vec_dot_q3_K_q8_1PKvPK10block_q8_1RKiEEEvS4_S4_PT_iii,comdat
	.globl	_ZL13mul_mat_vec_qIN3c108BFloat16ELi256ELi16E10block_q3_KLi1EXadL_ZL17vec_dot_q3_K_q8_1PKvPK10block_q8_1RKiEEEvS4_S4_PT_iii ; -- Begin function _ZL13mul_mat_vec_qIN3c108BFloat16ELi256ELi16E10block_q3_KLi1EXadL_ZL17vec_dot_q3_K_q8_1PKvPK10block_q8_1RKiEEEvS4_S4_PT_iii
	.p2align	8
	.type	_ZL13mul_mat_vec_qIN3c108BFloat16ELi256ELi16E10block_q3_KLi1EXadL_ZL17vec_dot_q3_K_q8_1PKvPK10block_q8_1RKiEEEvS4_S4_PT_iii,@function
_ZL13mul_mat_vec_qIN3c108BFloat16ELi256ELi16E10block_q3_KLi1EXadL_ZL17vec_dot_q3_K_q8_1PKvPK10block_q8_1RKiEEEvS4_S4_PT_iii: ; @_ZL13mul_mat_vec_qIN3c108BFloat16ELi256ELi16E10block_q3_KLi1EXadL_ZL17vec_dot_q3_K_q8_1PKvPK10block_q8_1RKiEEEvS4_S4_PT_iii
; %bb.0:
	s_clause 0x1
	s_load_dword s8, s[4:5], 0x34
	s_load_dwordx4 s[0:3], s[4:5], 0x18
	s_waitcnt lgkmcnt(0)
	s_lshr_b32 s3, s8, 16
	s_cmp_lt_u32 s7, s2
	v_mad_u64_u32 v[1:2], null, s6, s3, v[1:2]
	s_cselect_b32 s2, -1, 0
	v_cmp_gt_u32_e32 vcc_lo, s1, v1
	s_and_b32 s2, s2, vcc_lo
	s_and_saveexec_b32 s3, s2
	s_cbranch_execz .LBB104_7
; %bb.1:
	s_load_dwordx2 s[2:3], s[4:5], 0x10
	s_ashr_i32 s6, s0, 31
	v_lshrrev_b32_e32 v10, 4, v0
	s_lshr_b32 s6, s6, 24
	v_mov_b32_e32 v3, 0
	s_add_i32 s6, s0, s6
	s_ashr_i32 s12, s6, 8
	s_mov_b32 s6, exec_lo
	v_cmpx_gt_u32_e64 s12, v10
	s_cbranch_execz .LBB104_5
; %bb.2:
	v_and_b32_e32 v4, 15, v0
	v_lshrrev_b32_e32 v6, 1, v0
	v_mov_b32_e32 v3, 0
	v_mov_b32_e32 v35, 1
	;; [unrolled: 1-line block ×3, first 2 shown]
	v_sub_co_u32 v2, vcc_lo, v4, 8
	v_lshlrev_b32_e32 v13, 2, v4
	v_and_b32_e32 v12, 4, v6
	s_load_dwordx4 s[8:11], s[4:5], 0x0
	v_cndmask_b32_e32 v2, v2, v4, vcc_lo
	s_addk_i32 s0, 0x1ff
	v_mul_lo_u32 v11, v1, s12
	s_ashr_i32 s4, s0, 31
	s_lshr_b32 s4, s4, 23
	v_sub_nc_u32_e32 v5, v4, v2
	v_cmp_lt_u32_e32 vcc_lo, 3, v2
	s_add_i32 s0, s0, s4
	s_ashr_i32 s0, s0, 9
	v_add_co_ci_u32_e64 v8, null, 0, v5, vcc_lo
	s_mul_i32 s0, s7, s0
	v_bfe_i32 v5, v8, 0, 8
	v_add_nc_u16 v22, v8, 2
	v_add_nc_u16 v27, v8, 4
	v_lshrrev_b16 v4, 7, v5
	v_bfe_i32 v5, v22, 0, 8
	v_bfe_i32 v6, v27, 0, 8
	v_and_b32_e32 v7, 0xff, v4
	v_lshrrev_b16 v14, 7, v5
	v_lshlrev_b64 v[4:5], 2, v[2:3]
	v_lshrrev_b16 v2, 7, v6
	v_lshrrev_b16 v15, 5, v7
	;; [unrolled: 1-line block ×3, first 2 shown]
	v_and_b32_e32 v14, 0xff, v14
	v_and_b32_e32 v23, 0xff, v2
	s_waitcnt lgkmcnt(0)
	v_mad_u64_u32 v[6:7], null, v12, 36, s[10:11]
	v_add_nc_u16 v15, v8, v15
	v_add_nc_u16 v2, v8, v16
	v_lshrrev_b16 v16, 5, v14
	v_lshrrev_b16 v14, 6, v14
	;; [unrolled: 1-line block ×3, first 2 shown]
	v_bfe_i32 v17, v15, 0, 8
	v_and_b32_e32 v15, 0xf8, v15
	v_bfe_i32 v18, v2, 0, 8
	v_and_b32_e32 v2, 0xfc, v2
	v_add_nc_u16 v21, v22, v14
	v_add_nc_u16 v16, v22, v16
	v_sub_nc_u16 v14, v8, v15
	v_add_nc_u16 v25, v27, v25
	v_sub_nc_u16 v15, v8, v2
	v_add_nc_u16 v8, v8, 6
	v_bfe_i32 v24, v21, 0, 8
	v_and_b32_e32 v20, 0xf8, v16
	v_and_b32_e32 v26, 0xfc, v21
	v_lshrrev_b16 v29, 6, v23
	v_bfe_i32 v28, v8, 0, 8
	v_ashrrev_i16 v24, 2, v24
	v_sub_nc_u16 v20, v22, v20
	v_sub_nc_u16 v26, v22, v26
	v_add_nc_u16 v29, v27, v29
	v_lshrrev_b16 v28, 7, v28
	v_lshlrev_b32_sdwa v22, v35, sext(v24) dst_sel:DWORD dst_unused:UNUSED_PAD src0_sel:DWORD src1_sel:WORD_0
	v_bfe_i32 v24, v25, 0, 8
	v_and_b32_e32 v25, 0xf8, v25
	v_bfe_i32 v23, v26, 0, 8
	v_and_b32_e32 v28, 0xff, v28
	v_bfe_i32 v32, v29, 0, 8
	v_lshrrev_b16 v26, 3, v24
	v_sub_nc_u16 v30, v27, v25
	v_and_b32_e32 v29, 0xfc, v29
	v_lshrrev_b16 v31, 5, v28
	v_lshrrev_b16 v28, 6, v28
	v_lshlrev_b32_sdwa v25, v9, v26 dst_sel:DWORD dst_unused:UNUSED_PAD src0_sel:DWORD src1_sel:BYTE_0
	v_bfe_i32 v26, v30, 0, 8
	v_bfe_i32 v19, v16, 0, 8
	v_add_nc_u16 v30, v8, v31
	v_lshrrev_b16 v31, 2, v32
	v_add_nc_u16 v32, v8, v28
	v_sub_nc_u16 v29, v27, v29
	v_lshrrev_b16 v17, 3, v17
	v_and_b32_e32 v33, 0xf8, v30
	v_lshlrev_b32_sdwa v28, v35, v31 dst_sel:DWORD dst_unused:UNUSED_PAD src0_sel:DWORD src1_sel:BYTE_0
	v_and_b32_e32 v31, 0xfc, v32
	v_bfe_i32 v34, v30, 0, 8
	v_bfe_i32 v32, v32, 0, 8
	v_sub_nc_u16 v33, v8, v33
	v_ashrrev_i16 v18, 2, v18
	v_sub_nc_u16 v8, v8, v31
	v_bfe_i32 v2, v14, 0, 8
	v_bfe_i32 v14, v15, 0, 8
	v_lshrrev_b16 v19, 3, v19
	v_bfe_i32 v20, v20, 0, 8
	v_bfe_i32 v29, v29, 0, 8
	v_lshrrev_b16 v34, 3, v34
	v_bfe_i32 v31, v33, 0, 8
	v_lshrrev_b16 v36, 2, v32
	v_bfe_i32 v32, v8, 0, 8
	v_lshlrev_b32_e32 v8, 3, v10
	v_lshlrev_b32_sdwa v15, v9, v17 dst_sel:DWORD dst_unused:UNUSED_PAD src0_sel:DWORD src1_sel:BYTE_0
	v_lshlrev_b32_sdwa v16, v35, sext(v18) dst_sel:DWORD dst_unused:UNUSED_PAD src0_sel:DWORD src1_sel:WORD_0
	v_ashrrev_i32_e32 v17, 31, v2
	v_ashrrev_i32_e32 v18, 31, v14
	v_lshlrev_b32_sdwa v19, v9, v19 dst_sel:DWORD dst_unused:UNUSED_PAD src0_sel:DWORD src1_sel:BYTE_0
	v_ashrrev_i32_e32 v21, 31, v20
	v_ashrrev_i32_e32 v24, 31, v23
	v_ashrrev_i32_e32 v27, 31, v26
	v_ashrrev_i32_e32 v30, 31, v29
	v_lshlrev_b32_sdwa v33, v9, v34 dst_sel:DWORD dst_unused:UNUSED_PAD src0_sel:DWORD src1_sel:BYTE_0
	v_ashrrev_i32_e32 v34, 31, v31
	v_lshlrev_b32_sdwa v35, v35, v36 dst_sel:DWORD dst_unused:UNUSED_PAD src0_sel:DWORD src1_sel:BYTE_0
	v_ashrrev_i32_e32 v36, 31, v32
	v_lshl_add_u32 v37, s0, 4, v8
	s_mov_b32 s0, 0
.LBB104_3:                              ; =>This Inner Loop Header: Depth=1
	v_add_nc_u32_e32 v8, v11, v10
	v_mad_i64_i32 v[42:43], null, v37, 36, v[6:7]
	v_add_nc_u32_e32 v10, 2, v10
	v_add_nc_u32_e32 v37, 16, v37
	v_mad_i64_i32 v[8:9], null, 0x6e, v8, s[8:9]
	v_add_co_u32 v39, vcc_lo, v8, v13
	v_add_co_ci_u32_e64 v40, null, 0, v9, vcc_lo
	s_clause 0x1
	global_load_ushort v38, v[8:9], off offset:108
	global_load_dword v41, v[39:40], off offset:32
	v_add_co_u32 v39, vcc_lo, v8, v4
	v_add_co_ci_u32_e64 v40, null, v9, v5, vcc_lo
	global_load_dword v44, v[39:40], off
	v_add_co_u32 v39, vcc_lo, v42, v4
	v_add_co_ci_u32_e64 v40, null, v43, v5, vcc_lo
	s_clause 0x7
	global_load_dword v45, v[39:40], off offset:4
	global_load_dword v46, v[42:43], off
	global_load_dword v47, v[39:40], off offset:40
	global_load_dword v48, v[42:43], off offset:36
	;; [unrolled: 1-line block ×6, first 2 shown]
	v_add_co_u32 v43, vcc_lo, v8, v2
	s_waitcnt vmcnt(9)
	v_bfe_u32 v52, v41, 24, 2
	s_waitcnt vmcnt(8)
	v_ashrrev_i32_e32 v42, v12, v44
	v_add_co_ci_u32_e64 v44, null, v9, v17, vcc_lo
	v_not_b32_e32 v42, v42
	global_load_ubyte v43, v[43:44], off offset:96
	v_lshlrev_b32_e32 v54, 2, v42
	v_and_b32_e32 v54, 0x4040404, v54
	v_lshrrev_b32_e32 v56, 24, v54
	v_lshrrev_b16 v57, 8, v54
	v_lshrrev_b32_e32 v55, 16, v54
	v_sub_nc_u16 v52, v52, v56
	v_lshlrev_b16 v52, 8, v52
	s_waitcnt vmcnt(0)
	v_bfe_u32 v51, v43, v15, 4
	v_add_co_u32 v43, vcc_lo, v8, v14
	v_add_co_ci_u32_e64 v44, null, v9, v18, vcc_lo
	global_load_ubyte v43, v[43:44], off offset:104
	v_and_b32_e32 v44, 0x3030303, v41
	v_lshrrev_b16 v53, 8, v44
	v_sub_nc_u16 v53, v53, v57
	v_lshlrev_b16 v53, 8, v53
	s_waitcnt vmcnt(0)
	v_lshrrev_b32_e32 v43, v16, v43
	v_lshlrev_b32_e32 v43, 4, v43
	v_and_or_b32 v43, v43, 48, v51
	v_lshrrev_b32_e32 v51, 16, v44
	v_sub_nc_u16 v44, v44, v54
	v_subrev_nc_u32_e32 v43, 32, v43
	v_sub_nc_u16 v51, v51, v55
	v_or_b32_sdwa v44, v44, v53 dst_sel:DWORD dst_unused:UNUSED_PAD src0_sel:BYTE_0 src1_sel:DWORD
	v_lshlrev_b32_e32 v53, 1, v42
	v_or_b32_sdwa v51, v51, v52 dst_sel:WORD_1 dst_unused:UNUSED_PAD src0_sel:BYTE_0 src1_sel:DWORD
	v_and_b32_e32 v53, 0x4040404, v53
	v_or_b32_sdwa v44, v44, v51 dst_sel:DWORD dst_unused:UNUSED_PAD src0_sel:WORD_0 src1_sel:DWORD
	v_mov_b32_e32 v51, 0
	v_lshrrev_b32_e32 v55, 24, v53
	v_lshrrev_b16 v56, 8, v53
	v_lshrrev_b32_e32 v54, 16, v53
	v_dot4c_i32_i8 v51, v44, v45
	v_mul_lo_u32 v43, v43, v51
	v_cvt_f32_i32_e32 v43, v43
	v_fma_mix_f32 v45, v46, v43, 0 op_sel_hi:[1,0,0]
	v_add_co_u32 v43, vcc_lo, v8, v20
	v_add_co_ci_u32_e64 v44, null, v9, v21, vcc_lo
	global_load_ubyte v43, v[43:44], off offset:96
	s_waitcnt vmcnt(0)
	v_bfe_u32 v46, v43, v19, 4
	v_add_co_u32 v43, vcc_lo, v8, v23
	v_add_co_ci_u32_e64 v44, null, v9, v24, vcc_lo
	global_load_ubyte v43, v[43:44], off offset:104
	v_lshrrev_b32_e32 v44, 2, v41
	s_waitcnt vmcnt(0)
	v_lshrrev_b32_e32 v43, v22, v43
	v_lshlrev_b32_e32 v43, 4, v43
	v_and_or_b32 v43, v43, 48, v46
	v_and_b32_e32 v46, 0x3030303, v44
	v_bfe_u32 v44, v44, 24, 2
	v_subrev_nc_u32_e32 v43, 32, v43
	v_lshrrev_b16 v52, 8, v46
	v_lshrrev_b32_e32 v51, 16, v46
	v_sub_nc_u16 v44, v44, v55
	v_sub_nc_u16 v46, v46, v53
	;; [unrolled: 1-line block ×4, first 2 shown]
	v_lshlrev_b16 v44, 8, v44
	v_lshlrev_b16 v52, 8, v52
	v_or_b32_sdwa v44, v51, v44 dst_sel:WORD_1 dst_unused:UNUSED_PAD src0_sel:BYTE_0 src1_sel:DWORD
	v_and_b32_e32 v51, 0x4040404, v42
	v_lshrrev_b32_e32 v42, 1, v42
	v_or_b32_sdwa v46, v46, v52 dst_sel:DWORD dst_unused:UNUSED_PAD src0_sel:BYTE_0 src1_sel:DWORD
	v_lshrrev_b32_e32 v53, 24, v51
	v_lshrrev_b16 v54, 8, v51
	v_or_b32_sdwa v44, v46, v44 dst_sel:DWORD dst_unused:UNUSED_PAD src0_sel:WORD_0 src1_sel:DWORD
	v_mov_b32_e32 v46, 0
	v_lshrrev_b32_e32 v52, 16, v51
	v_and_b32_e32 v42, 0x4040404, v42
	v_dot4c_i32_i8 v46, v44, v47
	v_mul_lo_u32 v43, v43, v46
	v_cvt_f32_i32_e32 v43, v43
	v_fma_mix_f32 v45, v48, v43, v45 op_sel_hi:[1,0,0]
	v_add_co_u32 v43, vcc_lo, v8, v26
	v_add_co_ci_u32_e64 v44, null, v9, v27, vcc_lo
	global_load_ubyte v43, v[43:44], off offset:96
	s_waitcnt vmcnt(0)
	v_bfe_u32 v46, v43, v25, 4
	v_add_co_u32 v43, vcc_lo, v8, v29
	v_add_co_ci_u32_e64 v44, null, v9, v30, vcc_lo
	global_load_ubyte v43, v[43:44], off offset:104
	v_lshrrev_b32_e32 v44, 4, v41
	s_waitcnt vmcnt(0)
	v_lshrrev_b32_e32 v43, v28, v43
	v_lshlrev_b32_e32 v43, 4, v43
	v_and_or_b32 v43, v43, 48, v46
	v_and_b32_e32 v46, 0x3030303, v44
	v_bfe_u32 v44, v44, 24, 2
	v_subrev_nc_u32_e32 v43, 32, v43
	v_lshrrev_b16 v48, 8, v46
	v_lshrrev_b32_e32 v47, 16, v46
	v_sub_nc_u16 v44, v44, v53
	v_sub_nc_u16 v46, v46, v51
	;; [unrolled: 1-line block ×4, first 2 shown]
	v_lshlrev_b16 v44, 8, v44
	v_lshlrev_b16 v48, 8, v48
	v_or_b32_sdwa v44, v47, v44 dst_sel:WORD_1 dst_unused:UNUSED_PAD src0_sel:BYTE_0 src1_sel:DWORD
	v_lshrrev_b32_e32 v47, 24, v42
	v_or_b32_sdwa v46, v46, v48 dst_sel:DWORD dst_unused:UNUSED_PAD src0_sel:BYTE_0 src1_sel:DWORD
	v_lshrrev_b16 v48, 8, v42
	v_or_b32_sdwa v44, v46, v44 dst_sel:DWORD dst_unused:UNUSED_PAD src0_sel:WORD_0 src1_sel:DWORD
	v_mov_b32_e32 v46, 0
	v_dot4c_i32_i8 v46, v44, v49
	v_mul_lo_u32 v43, v43, v46
	v_lshrrev_b32_e32 v46, 16, v42
	v_cvt_f32_i32_e32 v43, v43
	v_fma_mix_f32 v45, v50, v43, v45 op_sel_hi:[1,0,0]
	v_add_co_u32 v43, vcc_lo, v8, v31
	v_add_co_ci_u32_e64 v44, null, v9, v34, vcc_lo
	v_add_co_u32 v8, vcc_lo, v8, v32
	v_add_co_ci_u32_e64 v9, null, v9, v36, vcc_lo
	global_load_ubyte v43, v[43:44], off offset:96
	v_cmp_le_u32_e32 vcc_lo, s12, v10
	global_load_ubyte v8, v[8:9], off offset:104
	v_lshrrev_b32_e32 v9, 6, v41
	v_lshrrev_b32_e32 v41, 30, v41
	s_or_b32 s0, vcc_lo, s0
	v_and_b32_e32 v9, 0x3030303, v9
	v_sub_nc_u16 v41, v41, v47
	v_lshrrev_b16 v44, 8, v9
	v_lshlrev_b16 v41, 8, v41
	s_waitcnt vmcnt(1)
	v_bfe_u32 v43, v43, v33, 4
	s_waitcnt vmcnt(0)
	v_lshrrev_b32_e32 v8, v35, v8
	v_lshlrev_b32_e32 v8, 4, v8
	v_and_or_b32 v8, v8, 48, v43
	v_lshrrev_b32_e32 v43, 16, v9
	v_sub_nc_u16 v9, v9, v42
	v_sub_nc_u16 v42, v44, v48
	v_subrev_nc_u32_e32 v8, 32, v8
	v_lshlrev_b16 v42, 8, v42
	v_or_b32_sdwa v9, v9, v42 dst_sel:DWORD dst_unused:UNUSED_PAD src0_sel:BYTE_0 src1_sel:DWORD
	v_sub_nc_u16 v42, v43, v46
	v_or_b32_sdwa v41, v42, v41 dst_sel:WORD_1 dst_unused:UNUSED_PAD src0_sel:BYTE_0 src1_sel:DWORD
	v_or_b32_sdwa v9, v9, v41 dst_sel:DWORD dst_unused:UNUSED_PAD src0_sel:WORD_0 src1_sel:DWORD
	v_mov_b32_e32 v41, 0
	v_dot4c_i32_i8 v41, v9, v40
	v_mul_lo_u32 v8, v8, v41
	v_cvt_f32_i32_e32 v8, v8
	v_fma_mix_f32 v8, v39, v8, v45 op_sel_hi:[1,0,0]
	v_fma_mix_f32 v3, v8, v38, v3 op_sel_hi:[0,1,0]
	s_andn2_b32 exec_lo, exec_lo, s0
	s_cbranch_execnz .LBB104_3
; %bb.4:
	s_or_b32 exec_lo, exec_lo, s0
.LBB104_5:
	s_or_b32 exec_lo, exec_lo, s6
	v_mbcnt_lo_u32_b32 v2, -1, 0
	v_xor_b32_e32 v4, 16, v2
	v_xor_b32_e32 v5, 8, v2
	v_cmp_gt_i32_e32 vcc_lo, 32, v4
	v_cndmask_b32_e32 v4, v2, v4, vcc_lo
	v_cmp_gt_i32_e32 vcc_lo, 32, v5
	v_lshlrev_b32_e32 v4, 2, v4
	v_cndmask_b32_e32 v5, v2, v5, vcc_lo
	ds_bpermute_b32 v4, v4, v3
	v_lshlrev_b32_e32 v5, 2, v5
	s_waitcnt lgkmcnt(0)
	v_add_f32_e32 v3, v3, v4
	ds_bpermute_b32 v4, v5, v3
	v_xor_b32_e32 v5, 4, v2
	v_cmp_gt_i32_e32 vcc_lo, 32, v5
	v_cndmask_b32_e32 v5, v2, v5, vcc_lo
	v_lshlrev_b32_e32 v5, 2, v5
	s_waitcnt lgkmcnt(0)
	v_add_f32_e32 v3, v3, v4
	ds_bpermute_b32 v4, v5, v3
	v_xor_b32_e32 v5, 2, v2
	v_cmp_gt_i32_e32 vcc_lo, 32, v5
	v_cndmask_b32_e32 v5, v2, v5, vcc_lo
	;; [unrolled: 7-line block ×3, first 2 shown]
	v_cmp_eq_u32_e32 vcc_lo, 0, v0
	s_waitcnt lgkmcnt(0)
	v_add_f32_e32 v2, v3, v4
	v_lshlrev_b32_e32 v3, 2, v5
	ds_bpermute_b32 v3, v3, v2
	s_and_b32 exec_lo, exec_lo, vcc_lo
	s_cbranch_execz .LBB104_7
; %bb.6:
	s_waitcnt lgkmcnt(0)
	v_add_f32_e32 v2, v2, v3
	v_mov_b32_e32 v4, 0x7fc0
	v_mad_u64_u32 v[0:1], null, s1, s7, v[1:2]
	v_mov_b32_e32 v1, 0
	v_bfe_u32 v3, v2, 16, 1
	v_cmp_o_f32_e32 vcc_lo, v2, v2
	v_add3_u32 v2, v2, v3, 0x7fff
	v_lshlrev_b64 v[0:1], 1, v[0:1]
	v_cndmask_b32_sdwa v2, v4, v2, vcc_lo dst_sel:DWORD dst_unused:UNUSED_PAD src0_sel:DWORD src1_sel:WORD_1
	v_add_co_u32 v0, vcc_lo, s2, v0
	v_add_co_ci_u32_e64 v1, null, s3, v1, vcc_lo
	global_store_short v[0:1], v2, off
.LBB104_7:
	s_endpgm
	.section	.rodata,"a",@progbits
	.p2align	6, 0x0
	.amdhsa_kernel _ZL13mul_mat_vec_qIN3c108BFloat16ELi256ELi16E10block_q3_KLi1EXadL_ZL17vec_dot_q3_K_q8_1PKvPK10block_q8_1RKiEEEvS4_S4_PT_iii
		.amdhsa_group_segment_fixed_size 0
		.amdhsa_private_segment_fixed_size 0
		.amdhsa_kernarg_size 296
		.amdhsa_user_sgpr_count 6
		.amdhsa_user_sgpr_private_segment_buffer 1
		.amdhsa_user_sgpr_dispatch_ptr 0
		.amdhsa_user_sgpr_queue_ptr 0
		.amdhsa_user_sgpr_kernarg_segment_ptr 1
		.amdhsa_user_sgpr_dispatch_id 0
		.amdhsa_user_sgpr_flat_scratch_init 0
		.amdhsa_user_sgpr_private_segment_size 0
		.amdhsa_wavefront_size32 1
		.amdhsa_uses_dynamic_stack 0
		.amdhsa_system_sgpr_private_segment_wavefront_offset 0
		.amdhsa_system_sgpr_workgroup_id_x 1
		.amdhsa_system_sgpr_workgroup_id_y 1
		.amdhsa_system_sgpr_workgroup_id_z 0
		.amdhsa_system_sgpr_workgroup_info 0
		.amdhsa_system_vgpr_workitem_id 1
		.amdhsa_next_free_vgpr 58
		.amdhsa_next_free_sgpr 13
		.amdhsa_reserve_vcc 1
		.amdhsa_reserve_flat_scratch 0
		.amdhsa_float_round_mode_32 0
		.amdhsa_float_round_mode_16_64 0
		.amdhsa_float_denorm_mode_32 3
		.amdhsa_float_denorm_mode_16_64 3
		.amdhsa_dx10_clamp 1
		.amdhsa_ieee_mode 1
		.amdhsa_fp16_overflow 0
		.amdhsa_workgroup_processor_mode 1
		.amdhsa_memory_ordered 1
		.amdhsa_forward_progress 1
		.amdhsa_shared_vgpr_count 0
		.amdhsa_exception_fp_ieee_invalid_op 0
		.amdhsa_exception_fp_denorm_src 0
		.amdhsa_exception_fp_ieee_div_zero 0
		.amdhsa_exception_fp_ieee_overflow 0
		.amdhsa_exception_fp_ieee_underflow 0
		.amdhsa_exception_fp_ieee_inexact 0
		.amdhsa_exception_int_div_zero 0
	.end_amdhsa_kernel
	.section	.text._ZL13mul_mat_vec_qIN3c108BFloat16ELi256ELi16E10block_q3_KLi1EXadL_ZL17vec_dot_q3_K_q8_1PKvPK10block_q8_1RKiEEEvS4_S4_PT_iii,"axG",@progbits,_ZL13mul_mat_vec_qIN3c108BFloat16ELi256ELi16E10block_q3_KLi1EXadL_ZL17vec_dot_q3_K_q8_1PKvPK10block_q8_1RKiEEEvS4_S4_PT_iii,comdat
.Lfunc_end104:
	.size	_ZL13mul_mat_vec_qIN3c108BFloat16ELi256ELi16E10block_q3_KLi1EXadL_ZL17vec_dot_q3_K_q8_1PKvPK10block_q8_1RKiEEEvS4_S4_PT_iii, .Lfunc_end104-_ZL13mul_mat_vec_qIN3c108BFloat16ELi256ELi16E10block_q3_KLi1EXadL_ZL17vec_dot_q3_K_q8_1PKvPK10block_q8_1RKiEEEvS4_S4_PT_iii
                                        ; -- End function
	.set _ZL13mul_mat_vec_qIN3c108BFloat16ELi256ELi16E10block_q3_KLi1EXadL_ZL17vec_dot_q3_K_q8_1PKvPK10block_q8_1RKiEEEvS4_S4_PT_iii.num_vgpr, 58
	.set _ZL13mul_mat_vec_qIN3c108BFloat16ELi256ELi16E10block_q3_KLi1EXadL_ZL17vec_dot_q3_K_q8_1PKvPK10block_q8_1RKiEEEvS4_S4_PT_iii.num_agpr, 0
	.set _ZL13mul_mat_vec_qIN3c108BFloat16ELi256ELi16E10block_q3_KLi1EXadL_ZL17vec_dot_q3_K_q8_1PKvPK10block_q8_1RKiEEEvS4_S4_PT_iii.numbered_sgpr, 13
	.set _ZL13mul_mat_vec_qIN3c108BFloat16ELi256ELi16E10block_q3_KLi1EXadL_ZL17vec_dot_q3_K_q8_1PKvPK10block_q8_1RKiEEEvS4_S4_PT_iii.num_named_barrier, 0
	.set _ZL13mul_mat_vec_qIN3c108BFloat16ELi256ELi16E10block_q3_KLi1EXadL_ZL17vec_dot_q3_K_q8_1PKvPK10block_q8_1RKiEEEvS4_S4_PT_iii.private_seg_size, 0
	.set _ZL13mul_mat_vec_qIN3c108BFloat16ELi256ELi16E10block_q3_KLi1EXadL_ZL17vec_dot_q3_K_q8_1PKvPK10block_q8_1RKiEEEvS4_S4_PT_iii.uses_vcc, 1
	.set _ZL13mul_mat_vec_qIN3c108BFloat16ELi256ELi16E10block_q3_KLi1EXadL_ZL17vec_dot_q3_K_q8_1PKvPK10block_q8_1RKiEEEvS4_S4_PT_iii.uses_flat_scratch, 0
	.set _ZL13mul_mat_vec_qIN3c108BFloat16ELi256ELi16E10block_q3_KLi1EXadL_ZL17vec_dot_q3_K_q8_1PKvPK10block_q8_1RKiEEEvS4_S4_PT_iii.has_dyn_sized_stack, 0
	.set _ZL13mul_mat_vec_qIN3c108BFloat16ELi256ELi16E10block_q3_KLi1EXadL_ZL17vec_dot_q3_K_q8_1PKvPK10block_q8_1RKiEEEvS4_S4_PT_iii.has_recursion, 0
	.set _ZL13mul_mat_vec_qIN3c108BFloat16ELi256ELi16E10block_q3_KLi1EXadL_ZL17vec_dot_q3_K_q8_1PKvPK10block_q8_1RKiEEEvS4_S4_PT_iii.has_indirect_call, 0
	.section	.AMDGPU.csdata,"",@progbits
; Kernel info:
; codeLenInByte = 2360
; TotalNumSgprs: 15
; NumVgprs: 58
; ScratchSize: 0
; MemoryBound: 0
; FloatMode: 240
; IeeeMode: 1
; LDSByteSize: 0 bytes/workgroup (compile time only)
; SGPRBlocks: 0
; VGPRBlocks: 7
; NumSGPRsForWavesPerEU: 15
; NumVGPRsForWavesPerEU: 58
; Occupancy: 16
; WaveLimiterHint : 0
; COMPUTE_PGM_RSRC2:SCRATCH_EN: 0
; COMPUTE_PGM_RSRC2:USER_SGPR: 6
; COMPUTE_PGM_RSRC2:TRAP_HANDLER: 0
; COMPUTE_PGM_RSRC2:TGID_X_EN: 1
; COMPUTE_PGM_RSRC2:TGID_Y_EN: 1
; COMPUTE_PGM_RSRC2:TGID_Z_EN: 0
; COMPUTE_PGM_RSRC2:TIDIG_COMP_CNT: 1
	.section	.text._ZL13mul_mat_vec_qIN3c108BFloat16ELi256ELi32E10block_q4_KLi2EXadL_ZL17vec_dot_q4_K_q8_1PKvPK10block_q8_1RKiEEEvS4_S4_PT_iii,"axG",@progbits,_ZL13mul_mat_vec_qIN3c108BFloat16ELi256ELi32E10block_q4_KLi2EXadL_ZL17vec_dot_q4_K_q8_1PKvPK10block_q8_1RKiEEEvS4_S4_PT_iii,comdat
	.globl	_ZL13mul_mat_vec_qIN3c108BFloat16ELi256ELi32E10block_q4_KLi2EXadL_ZL17vec_dot_q4_K_q8_1PKvPK10block_q8_1RKiEEEvS4_S4_PT_iii ; -- Begin function _ZL13mul_mat_vec_qIN3c108BFloat16ELi256ELi32E10block_q4_KLi2EXadL_ZL17vec_dot_q4_K_q8_1PKvPK10block_q8_1RKiEEEvS4_S4_PT_iii
	.p2align	8
	.type	_ZL13mul_mat_vec_qIN3c108BFloat16ELi256ELi32E10block_q4_KLi2EXadL_ZL17vec_dot_q4_K_q8_1PKvPK10block_q8_1RKiEEEvS4_S4_PT_iii,@function
_ZL13mul_mat_vec_qIN3c108BFloat16ELi256ELi32E10block_q4_KLi2EXadL_ZL17vec_dot_q4_K_q8_1PKvPK10block_q8_1RKiEEEvS4_S4_PT_iii: ; @_ZL13mul_mat_vec_qIN3c108BFloat16ELi256ELi32E10block_q4_KLi2EXadL_ZL17vec_dot_q4_K_q8_1PKvPK10block_q8_1RKiEEEvS4_S4_PT_iii
; %bb.0:
	s_clause 0x1
	s_load_dword s8, s[4:5], 0x34
	s_load_dwordx4 s[0:3], s[4:5], 0x18
	s_waitcnt lgkmcnt(0)
	s_lshr_b32 s3, s8, 16
	s_cmp_lt_u32 s7, s2
	v_mad_u64_u32 v[1:2], null, s6, s3, v[1:2]
	s_cselect_b32 s2, -1, 0
	v_cmp_gt_u32_e32 vcc_lo, s1, v1
	s_and_b32 s2, s2, vcc_lo
	s_and_saveexec_b32 s3, s2
	s_cbranch_execz .LBB105_11
; %bb.1:
	s_load_dwordx2 s[2:3], s[4:5], 0x10
	s_ashr_i32 s6, s0, 31
	v_lshrrev_b32_e32 v9, 4, v0
	s_lshr_b32 s6, s6, 24
	v_mov_b32_e32 v8, 0
	s_add_i32 s6, s0, s6
	s_ashr_i32 s12, s6, 8
	s_mov_b32 s6, exec_lo
	v_cmpx_gt_u32_e64 s12, v9
	s_cbranch_execz .LBB105_9
; %bb.2:
	s_load_dwordx4 s[8:11], s[4:5], 0x0
	v_lshlrev_b32_e32 v2, 1, v0
	s_addk_i32 s0, 0x1ff
	v_and_b32_e32 v4, 3, v0
	s_ashr_i32 s4, s0, 31
	v_lshlrev_b32_e32 v5, 3, v9
	v_bfe_u32 v6, v2, 3, 2
	s_lshr_b32 s4, s4, 23
	v_and_b32_e32 v2, 30, v2
	s_add_i32 s0, s0, s4
	v_mul_lo_u32 v10, v1, s12
	v_lshlrev_b32_e32 v3, 1, v6
	s_ashr_i32 s0, s0, 9
	v_cmp_lt_u32_e32 vcc_lo, 15, v2
	s_mul_i32 s0, s7, s0
	v_mov_b32_e32 v8, 0
	v_lshlrev_b32_e32 v11, 2, v4
	v_lshlrev_b32_e32 v12, 5, v6
	v_lshl_add_u32 v13, s0, 4, v5
	v_lshlrev_b32_e32 v14, 1, v6
	s_waitcnt lgkmcnt(0)
	v_mad_u64_u32 v[2:3], null, v3, 36, s[10:11]
	v_lshlrev_b32_e32 v15, 2, v4
	v_mov_b32_e32 v16, 0xffff
	s_mov_b32 s4, 0
	s_branch .LBB105_4
.LBB105_3:                              ;   in Loop: Header=BB105_4 Depth=1
	s_or_b32 exec_lo, exec_lo, s0
	v_mad_i64_i32 v[6:7], null, v13, 36, v[2:3]
	v_mov_b32_e32 v27, 0
	v_mov_b32_e32 v26, 0
	;; [unrolled: 1-line block ×3, first 2 shown]
	s_waitcnt vmcnt(0)
	v_and_b32_e32 v25, 0xf0f0f0f, v17
	v_and_b32_e32 v28, 0xff, v18
	v_lshrrev_b32_e32 v17, 4, v17
	v_add_co_u32 v20, s0, v6, v15
	v_add_co_ci_u32_e64 v21, null, 0, v7, s0
	v_mov_b32_e32 v29, 0
	v_bfe_u32 v31, v18, 16, 8
	v_add_nc_u32_e32 v9, 2, v9
	s_clause 0x4
	global_load_dword v22, v[20:21], off offset:4
	global_load_dword v23, v[20:21], off offset:40
	;; [unrolled: 1-line block ×4, first 2 shown]
	global_load_dword v21, v[6:7], off
	global_load_dword v4, v[4:5], off
	global_load_dword v5, v[6:7], off offset:36
	v_and_b32_e32 v7, 0xf0f0f0f, v19
	v_lshrrev_b32_e32 v19, 4, v19
	v_and_b32_sdwa v6, v16, v18 dst_sel:DWORD dst_unused:UNUSED_PAD src0_sel:DWORD src1_sel:BYTE_1
	v_lshrrev_b32_e32 v18, 24, v18
	v_cmp_le_u32_e64 s0, s12, v9
	v_add_nc_u32_e32 v13, 16, v13
	v_and_b32_e32 v19, 0xf0f0f0f, v19
	s_or_b32 s4, s0, s4
	s_waitcnt vmcnt(6)
	v_dot4c_i32_i8 v27, 0x1010101, v22
	v_dot4c_i32_i8 v26, v7, v22
	s_waitcnt vmcnt(5)
	v_dot4c_i32_i8 v30, 0x1010101, v23
	v_and_b32_e32 v7, 0xf0f0f0f, v17
	v_dot4c_i32_i8 v29, v19, v23
	s_waitcnt vmcnt(4)
	v_dot4c_i32_i8 v27, 0x1010101, v24
	v_dot4c_i32_i8 v26, v25, v24
	s_waitcnt vmcnt(3)
	v_dot4c_i32_i8 v30, 0x1010101, v20
	s_waitcnt vmcnt(1)
	v_cvt_f32_f16_sdwa v19, v4 dst_sel:DWORD dst_unused:UNUSED_PAD src0_sel:WORD_1
	v_dot4c_i32_i8 v29, v7, v20
	v_mul_lo_u32 v17, v27, v28
	v_mul_lo_u32 v7, v26, v31
	;; [unrolled: 1-line block ×4, first 2 shown]
	v_cvt_f32_i32_e32 v17, v17
	v_cvt_f32_i32_e32 v7, v7
	;; [unrolled: 1-line block ×4, first 2 shown]
	v_fma_mix_f32 v17, v21, v17, 0 op_sel_hi:[1,0,0]
	v_fma_mix_f32 v7, v21, v7, 0 op_sel_hi:[1,0,0]
	s_waitcnt vmcnt(0)
	v_fma_mix_f32 v6, v5, v6, v17 op_sel_hi:[1,0,0]
	v_fma_mix_f32 v5, v5, v18, v7 op_sel_hi:[1,0,0]
	v_mul_f32_e32 v6, v6, v19
	v_fma_mix_f32 v4, v5, v4, -v6 op_sel_hi:[0,1,0]
	v_add_f32_e32 v8, v8, v4
	s_andn2_b32 exec_lo, exec_lo, s4
	s_cbranch_execz .LBB105_8
.LBB105_4:                              ; =>This Inner Loop Header: Depth=1
	v_add_nc_u32_e32 v4, v10, v9
                                        ; implicit-def: $vgpr18
	v_mad_i64_i32 v[4:5], null, 0x90, v4, s[8:9]
	v_add_co_u32 v6, s0, v4, v12
	v_add_co_ci_u32_e64 v7, null, 0, v5, s0
	v_add_co_u32 v6, s0, v6, v11
	v_add_co_ci_u32_e64 v7, null, 0, v7, s0
	s_clause 0x1
	global_load_dword v19, v[6:7], off offset:16
	global_load_dword v17, v[6:7], off offset:32
	v_add_co_u32 v6, s0, v4, v14
	v_add_co_ci_u32_e64 v7, null, 0, v5, s0
	s_and_saveexec_b32 s0, vcc_lo
	s_xor_b32 s0, exec_lo, s0
	s_cbranch_execz .LBB105_6
; %bb.5:                                ;   in Loop: Header=BB105_4 Depth=1
	s_clause 0x1
	global_load_ushort v18, v[6:7], off offset:8
	global_load_ushort v20, v[6:7], off offset:4
	s_waitcnt vmcnt(1)
	v_mov_b32_e32 v21, v18
	global_load_short_d16_hi v21, v[6:7], off
	s_waitcnt vmcnt(1)
	v_perm_b32 v6, v18, v20, 0x5040100
	v_pk_lshrrev_b16 v6, 2, v6
	v_and_b32_e32 v6, 0xf0f3030, v6
	s_waitcnt vmcnt(0)
	v_pk_lshrrev_b16 v7, 0x20004, v21
	v_and_or_b32 v18, 0x30300f0f, v7, v6
                                        ; implicit-def: $vgpr6_vgpr7
.LBB105_6:                              ;   in Loop: Header=BB105_4 Depth=1
	s_andn2_saveexec_b32 s0, s0
	s_cbranch_execz .LBB105_3
; %bb.7:                                ;   in Loop: Header=BB105_4 Depth=1
	s_clause 0x1
	global_load_ushort v18, v[6:7], off offset:8
	global_load_short_d16_hi v18, v[6:7], off offset:4
	s_waitcnt vmcnt(0)
	v_and_b32_e32 v18, 0x3f3f3f3f, v18
	s_branch .LBB105_3
.LBB105_8:
	s_or_b32 exec_lo, exec_lo, s4
.LBB105_9:
	s_or_b32 exec_lo, exec_lo, s6
	v_mbcnt_lo_u32_b32 v2, -1, 0
	v_xor_b32_e32 v3, 16, v2
	v_xor_b32_e32 v4, 8, v2
	;; [unrolled: 1-line block ×3, first 2 shown]
	v_cmp_gt_i32_e32 vcc_lo, 32, v3
	v_cndmask_b32_e32 v3, v2, v3, vcc_lo
	v_cmp_gt_i32_e32 vcc_lo, 32, v4
	v_lshlrev_b32_e32 v3, 2, v3
	v_cndmask_b32_e32 v4, v2, v4, vcc_lo
	v_cmp_gt_i32_e32 vcc_lo, 32, v5
	ds_bpermute_b32 v3, v3, v8
	v_lshlrev_b32_e32 v4, 2, v4
	v_cndmask_b32_e32 v5, v2, v5, vcc_lo
	v_lshlrev_b32_e32 v5, 2, v5
	s_waitcnt lgkmcnt(0)
	v_add_f32_e32 v3, v8, v3
	ds_bpermute_b32 v4, v4, v3
	s_waitcnt lgkmcnt(0)
	v_add_f32_e32 v3, v3, v4
	ds_bpermute_b32 v4, v5, v3
	v_xor_b32_e32 v5, 2, v2
	v_cmp_gt_i32_e32 vcc_lo, 32, v5
	v_cndmask_b32_e32 v5, v2, v5, vcc_lo
	v_lshlrev_b32_e32 v5, 2, v5
	s_waitcnt lgkmcnt(0)
	v_add_f32_e32 v3, v3, v4
	ds_bpermute_b32 v4, v5, v3
	v_xor_b32_e32 v5, 1, v2
	v_cmp_gt_i32_e32 vcc_lo, 32, v5
	v_cndmask_b32_e32 v5, v2, v5, vcc_lo
	v_cmp_eq_u32_e32 vcc_lo, 0, v0
	s_waitcnt lgkmcnt(0)
	v_add_f32_e32 v2, v3, v4
	v_lshlrev_b32_e32 v3, 2, v5
	ds_bpermute_b32 v3, v3, v2
	s_and_b32 exec_lo, exec_lo, vcc_lo
	s_cbranch_execz .LBB105_11
; %bb.10:
	s_waitcnt lgkmcnt(0)
	v_add_f32_e32 v2, v2, v3
	v_mov_b32_e32 v4, 0x7fc0
	v_mad_u64_u32 v[0:1], null, s1, s7, v[1:2]
	v_mov_b32_e32 v1, 0
	v_bfe_u32 v3, v2, 16, 1
	v_cmp_o_f32_e32 vcc_lo, v2, v2
	v_add3_u32 v2, v2, v3, 0x7fff
	v_lshlrev_b64 v[0:1], 1, v[0:1]
	v_cndmask_b32_sdwa v2, v4, v2, vcc_lo dst_sel:DWORD dst_unused:UNUSED_PAD src0_sel:DWORD src1_sel:WORD_1
	v_add_co_u32 v0, vcc_lo, s2, v0
	v_add_co_ci_u32_e64 v1, null, s3, v1, vcc_lo
	global_store_short v[0:1], v2, off
.LBB105_11:
	s_endpgm
	.section	.rodata,"a",@progbits
	.p2align	6, 0x0
	.amdhsa_kernel _ZL13mul_mat_vec_qIN3c108BFloat16ELi256ELi32E10block_q4_KLi2EXadL_ZL17vec_dot_q4_K_q8_1PKvPK10block_q8_1RKiEEEvS4_S4_PT_iii
		.amdhsa_group_segment_fixed_size 0
		.amdhsa_private_segment_fixed_size 0
		.amdhsa_kernarg_size 296
		.amdhsa_user_sgpr_count 6
		.amdhsa_user_sgpr_private_segment_buffer 1
		.amdhsa_user_sgpr_dispatch_ptr 0
		.amdhsa_user_sgpr_queue_ptr 0
		.amdhsa_user_sgpr_kernarg_segment_ptr 1
		.amdhsa_user_sgpr_dispatch_id 0
		.amdhsa_user_sgpr_flat_scratch_init 0
		.amdhsa_user_sgpr_private_segment_size 0
		.amdhsa_wavefront_size32 1
		.amdhsa_uses_dynamic_stack 0
		.amdhsa_system_sgpr_private_segment_wavefront_offset 0
		.amdhsa_system_sgpr_workgroup_id_x 1
		.amdhsa_system_sgpr_workgroup_id_y 1
		.amdhsa_system_sgpr_workgroup_id_z 0
		.amdhsa_system_sgpr_workgroup_info 0
		.amdhsa_system_vgpr_workitem_id 1
		.amdhsa_next_free_vgpr 32
		.amdhsa_next_free_sgpr 13
		.amdhsa_reserve_vcc 1
		.amdhsa_reserve_flat_scratch 0
		.amdhsa_float_round_mode_32 0
		.amdhsa_float_round_mode_16_64 0
		.amdhsa_float_denorm_mode_32 3
		.amdhsa_float_denorm_mode_16_64 3
		.amdhsa_dx10_clamp 1
		.amdhsa_ieee_mode 1
		.amdhsa_fp16_overflow 0
		.amdhsa_workgroup_processor_mode 1
		.amdhsa_memory_ordered 1
		.amdhsa_forward_progress 1
		.amdhsa_shared_vgpr_count 0
		.amdhsa_exception_fp_ieee_invalid_op 0
		.amdhsa_exception_fp_denorm_src 0
		.amdhsa_exception_fp_ieee_div_zero 0
		.amdhsa_exception_fp_ieee_overflow 0
		.amdhsa_exception_fp_ieee_underflow 0
		.amdhsa_exception_fp_ieee_inexact 0
		.amdhsa_exception_int_div_zero 0
	.end_amdhsa_kernel
	.section	.text._ZL13mul_mat_vec_qIN3c108BFloat16ELi256ELi32E10block_q4_KLi2EXadL_ZL17vec_dot_q4_K_q8_1PKvPK10block_q8_1RKiEEEvS4_S4_PT_iii,"axG",@progbits,_ZL13mul_mat_vec_qIN3c108BFloat16ELi256ELi32E10block_q4_KLi2EXadL_ZL17vec_dot_q4_K_q8_1PKvPK10block_q8_1RKiEEEvS4_S4_PT_iii,comdat
.Lfunc_end105:
	.size	_ZL13mul_mat_vec_qIN3c108BFloat16ELi256ELi32E10block_q4_KLi2EXadL_ZL17vec_dot_q4_K_q8_1PKvPK10block_q8_1RKiEEEvS4_S4_PT_iii, .Lfunc_end105-_ZL13mul_mat_vec_qIN3c108BFloat16ELi256ELi32E10block_q4_KLi2EXadL_ZL17vec_dot_q4_K_q8_1PKvPK10block_q8_1RKiEEEvS4_S4_PT_iii
                                        ; -- End function
	.set _ZL13mul_mat_vec_qIN3c108BFloat16ELi256ELi32E10block_q4_KLi2EXadL_ZL17vec_dot_q4_K_q8_1PKvPK10block_q8_1RKiEEEvS4_S4_PT_iii.num_vgpr, 32
	.set _ZL13mul_mat_vec_qIN3c108BFloat16ELi256ELi32E10block_q4_KLi2EXadL_ZL17vec_dot_q4_K_q8_1PKvPK10block_q8_1RKiEEEvS4_S4_PT_iii.num_agpr, 0
	.set _ZL13mul_mat_vec_qIN3c108BFloat16ELi256ELi32E10block_q4_KLi2EXadL_ZL17vec_dot_q4_K_q8_1PKvPK10block_q8_1RKiEEEvS4_S4_PT_iii.numbered_sgpr, 13
	.set _ZL13mul_mat_vec_qIN3c108BFloat16ELi256ELi32E10block_q4_KLi2EXadL_ZL17vec_dot_q4_K_q8_1PKvPK10block_q8_1RKiEEEvS4_S4_PT_iii.num_named_barrier, 0
	.set _ZL13mul_mat_vec_qIN3c108BFloat16ELi256ELi32E10block_q4_KLi2EXadL_ZL17vec_dot_q4_K_q8_1PKvPK10block_q8_1RKiEEEvS4_S4_PT_iii.private_seg_size, 0
	.set _ZL13mul_mat_vec_qIN3c108BFloat16ELi256ELi32E10block_q4_KLi2EXadL_ZL17vec_dot_q4_K_q8_1PKvPK10block_q8_1RKiEEEvS4_S4_PT_iii.uses_vcc, 1
	.set _ZL13mul_mat_vec_qIN3c108BFloat16ELi256ELi32E10block_q4_KLi2EXadL_ZL17vec_dot_q4_K_q8_1PKvPK10block_q8_1RKiEEEvS4_S4_PT_iii.uses_flat_scratch, 0
	.set _ZL13mul_mat_vec_qIN3c108BFloat16ELi256ELi32E10block_q4_KLi2EXadL_ZL17vec_dot_q4_K_q8_1PKvPK10block_q8_1RKiEEEvS4_S4_PT_iii.has_dyn_sized_stack, 0
	.set _ZL13mul_mat_vec_qIN3c108BFloat16ELi256ELi32E10block_q4_KLi2EXadL_ZL17vec_dot_q4_K_q8_1PKvPK10block_q8_1RKiEEEvS4_S4_PT_iii.has_recursion, 0
	.set _ZL13mul_mat_vec_qIN3c108BFloat16ELi256ELi32E10block_q4_KLi2EXadL_ZL17vec_dot_q4_K_q8_1PKvPK10block_q8_1RKiEEEvS4_S4_PT_iii.has_indirect_call, 0
	.section	.AMDGPU.csdata,"",@progbits
; Kernel info:
; codeLenInByte = 1128
; TotalNumSgprs: 15
; NumVgprs: 32
; ScratchSize: 0
; MemoryBound: 0
; FloatMode: 240
; IeeeMode: 1
; LDSByteSize: 0 bytes/workgroup (compile time only)
; SGPRBlocks: 0
; VGPRBlocks: 3
; NumSGPRsForWavesPerEU: 15
; NumVGPRsForWavesPerEU: 32
; Occupancy: 16
; WaveLimiterHint : 0
; COMPUTE_PGM_RSRC2:SCRATCH_EN: 0
; COMPUTE_PGM_RSRC2:USER_SGPR: 6
; COMPUTE_PGM_RSRC2:TRAP_HANDLER: 0
; COMPUTE_PGM_RSRC2:TGID_X_EN: 1
; COMPUTE_PGM_RSRC2:TGID_Y_EN: 1
; COMPUTE_PGM_RSRC2:TGID_Z_EN: 0
; COMPUTE_PGM_RSRC2:TIDIG_COMP_CNT: 1
	.section	.text._ZL13mul_mat_vec_qIN3c108BFloat16ELi256ELi32E10block_q5_KLi2EXadL_ZL17vec_dot_q5_K_q8_1PKvPK10block_q8_1RKiEEEvS4_S4_PT_iii,"axG",@progbits,_ZL13mul_mat_vec_qIN3c108BFloat16ELi256ELi32E10block_q5_KLi2EXadL_ZL17vec_dot_q5_K_q8_1PKvPK10block_q8_1RKiEEEvS4_S4_PT_iii,comdat
	.globl	_ZL13mul_mat_vec_qIN3c108BFloat16ELi256ELi32E10block_q5_KLi2EXadL_ZL17vec_dot_q5_K_q8_1PKvPK10block_q8_1RKiEEEvS4_S4_PT_iii ; -- Begin function _ZL13mul_mat_vec_qIN3c108BFloat16ELi256ELi32E10block_q5_KLi2EXadL_ZL17vec_dot_q5_K_q8_1PKvPK10block_q8_1RKiEEEvS4_S4_PT_iii
	.p2align	8
	.type	_ZL13mul_mat_vec_qIN3c108BFloat16ELi256ELi32E10block_q5_KLi2EXadL_ZL17vec_dot_q5_K_q8_1PKvPK10block_q8_1RKiEEEvS4_S4_PT_iii,@function
_ZL13mul_mat_vec_qIN3c108BFloat16ELi256ELi32E10block_q5_KLi2EXadL_ZL17vec_dot_q5_K_q8_1PKvPK10block_q8_1RKiEEEvS4_S4_PT_iii: ; @_ZL13mul_mat_vec_qIN3c108BFloat16ELi256ELi32E10block_q5_KLi2EXadL_ZL17vec_dot_q5_K_q8_1PKvPK10block_q8_1RKiEEEvS4_S4_PT_iii
; %bb.0:
	s_clause 0x1
	s_load_dword s8, s[4:5], 0x34
	s_load_dwordx4 s[0:3], s[4:5], 0x18
	s_waitcnt lgkmcnt(0)
	s_lshr_b32 s3, s8, 16
	s_cmp_lt_u32 s7, s2
	v_mad_u64_u32 v[1:2], null, s6, s3, v[1:2]
	s_cselect_b32 s2, -1, 0
	v_cmp_gt_u32_e32 vcc_lo, s1, v1
	s_and_b32 s2, s2, vcc_lo
	s_and_saveexec_b32 s3, s2
	s_cbranch_execz .LBB106_11
; %bb.1:
	s_load_dwordx2 s[2:3], s[4:5], 0x10
	s_ashr_i32 s6, s0, 31
	v_lshrrev_b32_e32 v9, 4, v0
	s_lshr_b32 s6, s6, 24
	v_mov_b32_e32 v8, 0
	s_add_i32 s6, s0, s6
	s_ashr_i32 s12, s6, 8
	s_mov_b32 s6, exec_lo
	v_cmpx_gt_u32_e64 s12, v9
	s_cbranch_execz .LBB106_9
; %bb.2:
	s_load_dwordx4 s[8:11], s[4:5], 0x0
	v_lshlrev_b32_e32 v2, 1, v0
	s_addk_i32 s0, 0x1ff
	v_and_b32_e32 v4, 3, v0
	s_ashr_i32 s4, s0, 31
	v_lshlrev_b32_e32 v5, 3, v9
	v_bfe_u32 v6, v2, 3, 2
	s_lshr_b32 s4, s4, 23
	v_and_b32_e32 v2, 30, v2
	s_add_i32 s0, s0, s4
	v_mul_lo_u32 v10, v1, s12
	v_lshlrev_b32_e32 v12, 1, v6
	s_ashr_i32 s0, s0, 9
	v_cmp_lt_u32_e32 vcc_lo, 15, v2
	s_mul_i32 s0, s7, s0
	v_mov_b32_e32 v8, 0
	v_lshlrev_b32_e32 v11, 2, v4
	v_lshlrev_b32_e32 v13, 5, v6
	v_lshl_add_u32 v14, s0, 4, v5
	v_lshlrev_b32_e32 v15, 1, v6
	s_waitcnt lgkmcnt(0)
	v_mad_u64_u32 v[2:3], null, v12, 36, s[10:11]
	v_lshlrev_b32_e32 v16, 2, v4
	v_mov_b32_e32 v17, 0xffff
	s_mov_b32 s4, 0
	s_branch .LBB106_4
.LBB106_3:                              ;   in Loop: Header=BB106_4 Depth=1
	s_or_b32 exec_lo, exec_lo, s0
	v_mad_i64_i32 v[6:7], null, v14, 36, v[2:3]
	s_waitcnt vmcnt(1)
	v_ashrrev_i32_e32 v21, v12, v21
	v_and_b32_e32 v28, 0xf0f0f0f, v19
	v_mov_b32_e32 v30, 0
	v_lshrrev_b32_e32 v19, 4, v19
	v_mov_b32_e32 v29, 0
	v_mov_b32_e32 v33, 0
	v_add_co_u32 v23, s0, v6, v16
	v_add_co_ci_u32_e64 v24, null, 0, v7, s0
	v_lshlrev_b32_e32 v36, 4, v21
	v_and_b32_e32 v19, 0xf0f0f0f, v19
	v_and_b32_e32 v31, 0xff, v18
	s_clause 0x4
	global_load_dword v25, v[23:24], off offset:20
	global_load_dword v26, v[23:24], off offset:56
	;; [unrolled: 1-line block ×4, first 2 shown]
	global_load_dword v24, v[6:7], off
	global_load_dword v4, v[4:5], off
	global_load_dword v5, v[6:7], off offset:36
	s_waitcnt vmcnt(7)
	v_ashrrev_i32_e32 v7, v12, v22
	v_and_b32_e32 v22, 0xf0f0f0f, v20
	v_lshrrev_b32_e32 v20, 4, v20
	v_mov_b32_e32 v32, 0
	v_lshlrev_b32_e32 v21, 3, v21
	v_lshlrev_b32_e32 v35, 4, v7
	;; [unrolled: 1-line block ×3, first 2 shown]
	v_and_b32_e32 v20, 0xf0f0f0f, v20
	v_and_or_b32 v22, 0x10101010, v36, v22
	v_and_b32_sdwa v6, v17, v18 dst_sel:DWORD dst_unused:UNUSED_PAD src0_sel:DWORD src1_sel:BYTE_1
	v_and_or_b32 v28, 0x10101010, v35, v28
	v_and_or_b32 v7, 0x10101010, v7, v19
	v_bfe_u32 v34, v18, 16, 8
	v_and_or_b32 v19, 0x10101010, v21, v20
	v_lshrrev_b32_e32 v18, 24, v18
	v_add_nc_u32_e32 v9, 2, v9
	v_add_nc_u32_e32 v14, 16, v14
	v_cmp_le_u32_e64 s0, s12, v9
	s_or_b32 s4, s0, s4
	s_waitcnt vmcnt(6)
	v_dot4c_i32_i8 v30, 0x1010101, v25
	v_dot4c_i32_i8 v29, v28, v25
	s_waitcnt vmcnt(5)
	v_dot4c_i32_i8 v33, 0x1010101, v26
	v_dot4c_i32_i8 v32, v7, v26
	;; [unrolled: 3-line block ×4, first 2 shown]
	s_waitcnt vmcnt(1)
	v_cvt_f32_f16_sdwa v20, v4 dst_sel:DWORD dst_unused:UNUSED_PAD src0_sel:WORD_1
	v_mul_lo_u32 v7, v30, v31
	v_mul_lo_u32 v19, v29, v34
	v_mul_lo_u32 v6, v33, v6
	v_mul_lo_u32 v18, v32, v18
	v_cvt_f32_i32_e32 v7, v7
	v_cvt_f32_i32_e32 v19, v19
	v_cvt_f32_i32_e32 v6, v6
	v_cvt_f32_i32_e32 v18, v18
	v_fma_mix_f32 v7, v24, v7, 0 op_sel_hi:[1,0,0]
	v_fma_mix_f32 v19, v24, v19, 0 op_sel_hi:[1,0,0]
	s_waitcnt vmcnt(0)
	v_fma_mix_f32 v6, v5, v6, v7 op_sel_hi:[1,0,0]
	v_fma_mix_f32 v5, v5, v18, v19 op_sel_hi:[1,0,0]
	v_mul_f32_e32 v6, v6, v20
	v_fma_mix_f32 v4, v5, v4, -v6 op_sel_hi:[0,1,0]
	v_add_f32_e32 v8, v8, v4
	s_andn2_b32 exec_lo, exec_lo, s4
	s_cbranch_execz .LBB106_8
.LBB106_4:                              ; =>This Inner Loop Header: Depth=1
	v_add_nc_u32_e32 v4, v10, v9
                                        ; implicit-def: $vgpr18
	v_mad_i64_i32 v[4:5], null, 0xb0, v4, s[8:9]
	v_add_co_u32 v6, s0, v4, v13
	v_add_co_ci_u32_e64 v7, null, 0, v5, s0
	v_add_co_u32 v6, s0, v6, v11
	v_add_co_ci_u32_e64 v7, null, 0, v7, s0
	;; [unrolled: 2-line block ×3, first 2 shown]
	s_clause 0x3
	global_load_dword v20, v[6:7], off offset:48
	global_load_dword v19, v[6:7], off offset:64
	;; [unrolled: 1-line block ×4, first 2 shown]
	v_add_co_u32 v6, s0, v4, v15
	v_add_co_ci_u32_e64 v7, null, 0, v5, s0
	s_and_saveexec_b32 s0, vcc_lo
	s_xor_b32 s0, exec_lo, s0
	s_cbranch_execz .LBB106_6
; %bb.5:                                ;   in Loop: Header=BB106_4 Depth=1
	s_clause 0x1
	global_load_ushort v18, v[6:7], off offset:8
	global_load_ushort v23, v[6:7], off offset:4
	s_waitcnt vmcnt(1)
	v_mov_b32_e32 v24, v18
	global_load_short_d16_hi v24, v[6:7], off
	s_waitcnt vmcnt(1)
	v_perm_b32 v6, v18, v23, 0x5040100
	v_pk_lshrrev_b16 v6, 2, v6
	v_and_b32_e32 v6, 0xf0f3030, v6
	s_waitcnt vmcnt(0)
	v_pk_lshrrev_b16 v7, 0x20004, v24
	v_and_or_b32 v18, 0x30300f0f, v7, v6
                                        ; implicit-def: $vgpr6_vgpr7
.LBB106_6:                              ;   in Loop: Header=BB106_4 Depth=1
	s_andn2_saveexec_b32 s0, s0
	s_cbranch_execz .LBB106_3
; %bb.7:                                ;   in Loop: Header=BB106_4 Depth=1
	s_clause 0x1
	global_load_ushort v18, v[6:7], off offset:8
	global_load_short_d16_hi v18, v[6:7], off offset:4
	s_waitcnt vmcnt(0)
	v_and_b32_e32 v18, 0x3f3f3f3f, v18
	s_branch .LBB106_3
.LBB106_8:
	s_or_b32 exec_lo, exec_lo, s4
.LBB106_9:
	s_or_b32 exec_lo, exec_lo, s6
	v_mbcnt_lo_u32_b32 v2, -1, 0
	v_xor_b32_e32 v3, 16, v2
	v_xor_b32_e32 v4, 8, v2
	;; [unrolled: 1-line block ×3, first 2 shown]
	v_cmp_gt_i32_e32 vcc_lo, 32, v3
	v_cndmask_b32_e32 v3, v2, v3, vcc_lo
	v_cmp_gt_i32_e32 vcc_lo, 32, v4
	v_lshlrev_b32_e32 v3, 2, v3
	v_cndmask_b32_e32 v4, v2, v4, vcc_lo
	v_cmp_gt_i32_e32 vcc_lo, 32, v5
	ds_bpermute_b32 v3, v3, v8
	v_lshlrev_b32_e32 v4, 2, v4
	v_cndmask_b32_e32 v5, v2, v5, vcc_lo
	v_lshlrev_b32_e32 v5, 2, v5
	s_waitcnt lgkmcnt(0)
	v_add_f32_e32 v3, v8, v3
	ds_bpermute_b32 v4, v4, v3
	s_waitcnt lgkmcnt(0)
	v_add_f32_e32 v3, v3, v4
	ds_bpermute_b32 v4, v5, v3
	v_xor_b32_e32 v5, 2, v2
	v_cmp_gt_i32_e32 vcc_lo, 32, v5
	v_cndmask_b32_e32 v5, v2, v5, vcc_lo
	v_lshlrev_b32_e32 v5, 2, v5
	s_waitcnt lgkmcnt(0)
	v_add_f32_e32 v3, v3, v4
	ds_bpermute_b32 v4, v5, v3
	v_xor_b32_e32 v5, 1, v2
	v_cmp_gt_i32_e32 vcc_lo, 32, v5
	v_cndmask_b32_e32 v5, v2, v5, vcc_lo
	v_cmp_eq_u32_e32 vcc_lo, 0, v0
	s_waitcnt lgkmcnt(0)
	v_add_f32_e32 v2, v3, v4
	v_lshlrev_b32_e32 v3, 2, v5
	ds_bpermute_b32 v3, v3, v2
	s_and_b32 exec_lo, exec_lo, vcc_lo
	s_cbranch_execz .LBB106_11
; %bb.10:
	s_waitcnt lgkmcnt(0)
	v_add_f32_e32 v2, v2, v3
	v_mov_b32_e32 v4, 0x7fc0
	v_mad_u64_u32 v[0:1], null, s1, s7, v[1:2]
	v_mov_b32_e32 v1, 0
	v_bfe_u32 v3, v2, 16, 1
	v_cmp_o_f32_e32 vcc_lo, v2, v2
	v_add3_u32 v2, v2, v3, 0x7fff
	v_lshlrev_b64 v[0:1], 1, v[0:1]
	v_cndmask_b32_sdwa v2, v4, v2, vcc_lo dst_sel:DWORD dst_unused:UNUSED_PAD src0_sel:DWORD src1_sel:WORD_1
	v_add_co_u32 v0, vcc_lo, s2, v0
	v_add_co_ci_u32_e64 v1, null, s3, v1, vcc_lo
	global_store_short v[0:1], v2, off
.LBB106_11:
	s_endpgm
	.section	.rodata,"a",@progbits
	.p2align	6, 0x0
	.amdhsa_kernel _ZL13mul_mat_vec_qIN3c108BFloat16ELi256ELi32E10block_q5_KLi2EXadL_ZL17vec_dot_q5_K_q8_1PKvPK10block_q8_1RKiEEEvS4_S4_PT_iii
		.amdhsa_group_segment_fixed_size 0
		.amdhsa_private_segment_fixed_size 0
		.amdhsa_kernarg_size 296
		.amdhsa_user_sgpr_count 6
		.amdhsa_user_sgpr_private_segment_buffer 1
		.amdhsa_user_sgpr_dispatch_ptr 0
		.amdhsa_user_sgpr_queue_ptr 0
		.amdhsa_user_sgpr_kernarg_segment_ptr 1
		.amdhsa_user_sgpr_dispatch_id 0
		.amdhsa_user_sgpr_flat_scratch_init 0
		.amdhsa_user_sgpr_private_segment_size 0
		.amdhsa_wavefront_size32 1
		.amdhsa_uses_dynamic_stack 0
		.amdhsa_system_sgpr_private_segment_wavefront_offset 0
		.amdhsa_system_sgpr_workgroup_id_x 1
		.amdhsa_system_sgpr_workgroup_id_y 1
		.amdhsa_system_sgpr_workgroup_id_z 0
		.amdhsa_system_sgpr_workgroup_info 0
		.amdhsa_system_vgpr_workitem_id 1
		.amdhsa_next_free_vgpr 37
		.amdhsa_next_free_sgpr 13
		.amdhsa_reserve_vcc 1
		.amdhsa_reserve_flat_scratch 0
		.amdhsa_float_round_mode_32 0
		.amdhsa_float_round_mode_16_64 0
		.amdhsa_float_denorm_mode_32 3
		.amdhsa_float_denorm_mode_16_64 3
		.amdhsa_dx10_clamp 1
		.amdhsa_ieee_mode 1
		.amdhsa_fp16_overflow 0
		.amdhsa_workgroup_processor_mode 1
		.amdhsa_memory_ordered 1
		.amdhsa_forward_progress 1
		.amdhsa_shared_vgpr_count 0
		.amdhsa_exception_fp_ieee_invalid_op 0
		.amdhsa_exception_fp_denorm_src 0
		.amdhsa_exception_fp_ieee_div_zero 0
		.amdhsa_exception_fp_ieee_overflow 0
		.amdhsa_exception_fp_ieee_underflow 0
		.amdhsa_exception_fp_ieee_inexact 0
		.amdhsa_exception_int_div_zero 0
	.end_amdhsa_kernel
	.section	.text._ZL13mul_mat_vec_qIN3c108BFloat16ELi256ELi32E10block_q5_KLi2EXadL_ZL17vec_dot_q5_K_q8_1PKvPK10block_q8_1RKiEEEvS4_S4_PT_iii,"axG",@progbits,_ZL13mul_mat_vec_qIN3c108BFloat16ELi256ELi32E10block_q5_KLi2EXadL_ZL17vec_dot_q5_K_q8_1PKvPK10block_q8_1RKiEEEvS4_S4_PT_iii,comdat
.Lfunc_end106:
	.size	_ZL13mul_mat_vec_qIN3c108BFloat16ELi256ELi32E10block_q5_KLi2EXadL_ZL17vec_dot_q5_K_q8_1PKvPK10block_q8_1RKiEEEvS4_S4_PT_iii, .Lfunc_end106-_ZL13mul_mat_vec_qIN3c108BFloat16ELi256ELi32E10block_q5_KLi2EXadL_ZL17vec_dot_q5_K_q8_1PKvPK10block_q8_1RKiEEEvS4_S4_PT_iii
                                        ; -- End function
	.set _ZL13mul_mat_vec_qIN3c108BFloat16ELi256ELi32E10block_q5_KLi2EXadL_ZL17vec_dot_q5_K_q8_1PKvPK10block_q8_1RKiEEEvS4_S4_PT_iii.num_vgpr, 37
	.set _ZL13mul_mat_vec_qIN3c108BFloat16ELi256ELi32E10block_q5_KLi2EXadL_ZL17vec_dot_q5_K_q8_1PKvPK10block_q8_1RKiEEEvS4_S4_PT_iii.num_agpr, 0
	.set _ZL13mul_mat_vec_qIN3c108BFloat16ELi256ELi32E10block_q5_KLi2EXadL_ZL17vec_dot_q5_K_q8_1PKvPK10block_q8_1RKiEEEvS4_S4_PT_iii.numbered_sgpr, 13
	.set _ZL13mul_mat_vec_qIN3c108BFloat16ELi256ELi32E10block_q5_KLi2EXadL_ZL17vec_dot_q5_K_q8_1PKvPK10block_q8_1RKiEEEvS4_S4_PT_iii.num_named_barrier, 0
	.set _ZL13mul_mat_vec_qIN3c108BFloat16ELi256ELi32E10block_q5_KLi2EXadL_ZL17vec_dot_q5_K_q8_1PKvPK10block_q8_1RKiEEEvS4_S4_PT_iii.private_seg_size, 0
	.set _ZL13mul_mat_vec_qIN3c108BFloat16ELi256ELi32E10block_q5_KLi2EXadL_ZL17vec_dot_q5_K_q8_1PKvPK10block_q8_1RKiEEEvS4_S4_PT_iii.uses_vcc, 1
	.set _ZL13mul_mat_vec_qIN3c108BFloat16ELi256ELi32E10block_q5_KLi2EXadL_ZL17vec_dot_q5_K_q8_1PKvPK10block_q8_1RKiEEEvS4_S4_PT_iii.uses_flat_scratch, 0
	.set _ZL13mul_mat_vec_qIN3c108BFloat16ELi256ELi32E10block_q5_KLi2EXadL_ZL17vec_dot_q5_K_q8_1PKvPK10block_q8_1RKiEEEvS4_S4_PT_iii.has_dyn_sized_stack, 0
	.set _ZL13mul_mat_vec_qIN3c108BFloat16ELi256ELi32E10block_q5_KLi2EXadL_ZL17vec_dot_q5_K_q8_1PKvPK10block_q8_1RKiEEEvS4_S4_PT_iii.has_recursion, 0
	.set _ZL13mul_mat_vec_qIN3c108BFloat16ELi256ELi32E10block_q5_KLi2EXadL_ZL17vec_dot_q5_K_q8_1PKvPK10block_q8_1RKiEEEvS4_S4_PT_iii.has_indirect_call, 0
	.section	.AMDGPU.csdata,"",@progbits
; Kernel info:
; codeLenInByte = 1236
; TotalNumSgprs: 15
; NumVgprs: 37
; ScratchSize: 0
; MemoryBound: 0
; FloatMode: 240
; IeeeMode: 1
; LDSByteSize: 0 bytes/workgroup (compile time only)
; SGPRBlocks: 0
; VGPRBlocks: 4
; NumSGPRsForWavesPerEU: 15
; NumVGPRsForWavesPerEU: 37
; Occupancy: 16
; WaveLimiterHint : 0
; COMPUTE_PGM_RSRC2:SCRATCH_EN: 0
; COMPUTE_PGM_RSRC2:USER_SGPR: 6
; COMPUTE_PGM_RSRC2:TRAP_HANDLER: 0
; COMPUTE_PGM_RSRC2:TGID_X_EN: 1
; COMPUTE_PGM_RSRC2:TGID_Y_EN: 1
; COMPUTE_PGM_RSRC2:TGID_Z_EN: 0
; COMPUTE_PGM_RSRC2:TIDIG_COMP_CNT: 1
	.section	.text._ZL13mul_mat_vec_qIN3c108BFloat16ELi256ELi32E10block_q6_KLi1EXadL_ZL17vec_dot_q6_K_q8_1PKvPK10block_q8_1RKiEEEvS4_S4_PT_iii,"axG",@progbits,_ZL13mul_mat_vec_qIN3c108BFloat16ELi256ELi32E10block_q6_KLi1EXadL_ZL17vec_dot_q6_K_q8_1PKvPK10block_q8_1RKiEEEvS4_S4_PT_iii,comdat
	.globl	_ZL13mul_mat_vec_qIN3c108BFloat16ELi256ELi32E10block_q6_KLi1EXadL_ZL17vec_dot_q6_K_q8_1PKvPK10block_q8_1RKiEEEvS4_S4_PT_iii ; -- Begin function _ZL13mul_mat_vec_qIN3c108BFloat16ELi256ELi32E10block_q6_KLi1EXadL_ZL17vec_dot_q6_K_q8_1PKvPK10block_q8_1RKiEEEvS4_S4_PT_iii
	.p2align	8
	.type	_ZL13mul_mat_vec_qIN3c108BFloat16ELi256ELi32E10block_q6_KLi1EXadL_ZL17vec_dot_q6_K_q8_1PKvPK10block_q8_1RKiEEEvS4_S4_PT_iii,@function
_ZL13mul_mat_vec_qIN3c108BFloat16ELi256ELi32E10block_q6_KLi1EXadL_ZL17vec_dot_q6_K_q8_1PKvPK10block_q8_1RKiEEEvS4_S4_PT_iii: ; @_ZL13mul_mat_vec_qIN3c108BFloat16ELi256ELi32E10block_q6_KLi1EXadL_ZL17vec_dot_q6_K_q8_1PKvPK10block_q8_1RKiEEEvS4_S4_PT_iii
; %bb.0:
	s_clause 0x1
	s_load_dword s8, s[4:5], 0x34
	s_load_dwordx4 s[0:3], s[4:5], 0x18
	s_waitcnt lgkmcnt(0)
	s_lshr_b32 s3, s8, 16
	s_cmp_lt_u32 s7, s2
	v_mad_u64_u32 v[1:2], null, s6, s3, v[1:2]
	s_cselect_b32 s2, -1, 0
	v_cmp_gt_u32_e32 vcc_lo, s1, v1
	s_and_b32 s2, s2, vcc_lo
	s_and_saveexec_b32 s3, s2
	s_cbranch_execz .LBB107_7
; %bb.1:
	s_load_dwordx2 s[2:3], s[4:5], 0x10
	s_ashr_i32 s6, s0, 31
	v_lshrrev_b32_e32 v4, 5, v0
	s_lshr_b32 s6, s6, 24
	v_mov_b32_e32 v5, 0
	s_add_i32 s6, s0, s6
	s_ashr_i32 s12, s6, 8
	s_mov_b32 s6, exec_lo
	v_cmpx_gt_u32_e64 s12, v4
	s_cbranch_execz .LBB107_5
; %bb.2:
	v_and_b32_e32 v2, 31, v0
	s_load_dwordx4 s[8:11], s[4:5], 0x0
	s_addk_i32 s0, 0x1ff
	v_and_b32_e32 v9, 7, v0
	s_ashr_i32 s4, s0, 31
	v_add_nc_u32_e32 v3, 0xf0, v2
	v_cmp_gt_u32_e32 vcc_lo, 16, v2
	v_lshlrev_b32_e32 v7, 2, v2
	s_lshr_b32 s4, s4, 23
	v_lshlrev_b32_e32 v14, 3, v4
	s_add_i32 s0, s0, s4
	v_cndmask_b32_e32 v10, v3, v2, vcc_lo
	v_cmp_lt_u32_e32 vcc_lo, 15, v2
	s_ashr_i32 s0, s0, 9
	v_mul_lo_u32 v6, v1, s12
	s_mul_i32 s0, s7, s0
	v_and_b32_e32 v12, 0xf8, v10
	v_cndmask_b32_e64 v3, 0, 4, vcc_lo
	v_cndmask_b32_e64 v11, 0, 8, vcc_lo
	v_bfe_u32 v13, v10, 2, 6
	v_mov_b32_e32 v5, 0
	v_cmp_ne_u32_e32 vcc_lo, 0, v12
	s_waitcnt lgkmcnt(0)
	v_mad_u64_u32 v[2:3], null, v3, 36, s[10:11]
	v_or_b32_e32 v8, v11, v9
	v_lshlrev_b32_e32 v9, 2, v9
	v_cndmask_b32_e64 v12, 0, 1, vcc_lo
	v_cndmask_b32_e64 v10, 0, 2, vcc_lo
	v_add_nc_u32_e32 v11, v13, v11
	v_lshlrev_b32_e32 v8, 2, v8
	v_mad_u64_u32 v[2:3], null, v12, 36, v[2:3]
	v_lshl_add_u32 v12, s0, 4, v14
	s_mov_b32 s0, 0
.LBB107_3:                              ; =>This Inner Loop Header: Depth=1
	v_add_nc_u32_e32 v13, v6, v4
	v_add_nc_u32_e32 v4, 1, v4
	v_mad_i64_i32 v[13:14], null, 0xd2, v13, s[8:9]
	v_add_co_u32 v15, vcc_lo, v13, v8
	v_add_co_ci_u32_e64 v16, null, 0, v14, vcc_lo
	v_add_co_u32 v17, vcc_lo, v13, v7
	v_add_co_ci_u32_e64 v18, null, 0, v14, vcc_lo
	s_clause 0x1
	global_load_dword v21, v[15:16], off offset:128
	global_load_dword v22, v[17:18], off
	v_mad_i64_i32 v[15:16], null, v12, 36, v[2:3]
	v_add_nc_u32_e32 v12, 8, v12
	v_add_co_u32 v17, vcc_lo, v15, v9
	v_add_co_ci_u32_e64 v18, null, 0, v16, vcc_lo
	v_add_co_u32 v19, vcc_lo, v13, v11
	v_add_co_ci_u32_e64 v20, null, 0, v14, vcc_lo
	s_clause 0x1
	global_load_dword v23, v[17:18], off offset:4
	global_load_dword v17, v[17:18], off offset:76
	s_clause 0x1
	global_load_sbyte v18, v[19:20], off offset:192
	global_load_sbyte v19, v[19:20], off offset:196
	s_clause 0x1
	global_load_dword v20, v[15:16], off
	global_load_dword v15, v[15:16], off offset:72
	global_load_ushort v13, v[13:14], off offset:208
	v_cmp_le_u32_e32 vcc_lo, s12, v4
	s_or_b32 s0, vcc_lo, s0
	s_waitcnt vmcnt(8)
	v_ashrrev_i32_e32 v14, v10, v21
	s_waitcnt vmcnt(7)
	v_and_b32_e32 v16, 0xf0f0f0f, v22
	v_lshrrev_b32_e32 v21, 4, v22
	v_lshlrev_b32_e32 v22, 4, v14
	v_and_b32_e32 v21, 0xf0f0f0f, v21
	v_and_or_b32 v16, 0x30303030, v22, v16
	v_and_or_b32 v14, 0x30303030, v14, v21
	v_lshrrev_b32_e32 v21, 16, v16
	v_and_b32_e32 v25, 0x3f00, v16
	v_lshrrev_b32_e32 v22, 16, v14
	v_lshlrev_b16 v16, 8, v16
	v_lshlrev_b16 v27, 8, v14
	;; [unrolled: 1-line block ×3, first 2 shown]
	v_and_b32_e32 v21, 0x3f00, v21
	v_lshlrev_b16 v26, 8, v22
	v_add_nc_u16 v16, 0xe000, v16
	v_and_b32_e32 v22, 0x3f00, v22
	v_add_nc_u16 v24, 0xe000, v24
	v_and_b32_e32 v14, 0x3f00, v14
	v_add_nc_u16 v26, 0xe000, v26
	v_or_b32_sdwa v16, v25, v16 dst_sel:DWORD dst_unused:UNUSED_PAD src0_sel:DWORD src1_sel:BYTE_1
	v_or_b32_sdwa v21, v21, v24 dst_sel:DWORD dst_unused:UNUSED_PAD src0_sel:DWORD src1_sel:BYTE_1
	v_add_nc_u16 v24, 0xe000, v27
	v_or_b32_sdwa v22, v22, v26 dst_sel:DWORD dst_unused:UNUSED_PAD src0_sel:DWORD src1_sel:BYTE_1
	v_add_nc_u16 v16, 0xe000, v16
	v_add_nc_u16 v21, 0xe000, v21
	v_or_b32_sdwa v14, v14, v24 dst_sel:DWORD dst_unused:UNUSED_PAD src0_sel:DWORD src1_sel:BYTE_1
	v_add_nc_u16 v22, 0xe000, v22
	v_mov_b32_e32 v24, 0
	v_lshlrev_b32_e32 v21, 16, v21
	v_add_nc_u16 v14, 0xe000, v14
	v_lshlrev_b32_e32 v22, 16, v22
	v_or_b32_sdwa v16, v16, v21 dst_sel:DWORD dst_unused:UNUSED_PAD src0_sel:WORD_0 src1_sel:DWORD
	v_mov_b32_e32 v21, 0
	v_or_b32_sdwa v14, v14, v22 dst_sel:DWORD dst_unused:UNUSED_PAD src0_sel:WORD_0 src1_sel:DWORD
	s_waitcnt vmcnt(6)
	v_dot4c_i32_i8 v24, v16, v23
	s_waitcnt vmcnt(5)
	v_dot4c_i32_i8 v21, v14, v17
	s_waitcnt vmcnt(4)
	v_mul_lo_u32 v14, v24, v18
	s_waitcnt vmcnt(3)
	v_mul_lo_u32 v16, v21, v19
	v_cvt_f32_i32_e32 v14, v14
	v_cvt_f32_i32_e32 v16, v16
	s_waitcnt vmcnt(2)
	v_fma_mix_f32 v14, v20, v14, 0 op_sel_hi:[1,0,0]
	s_waitcnt vmcnt(1)
	v_fma_mix_f32 v14, v15, v16, v14 op_sel_hi:[1,0,0]
	;; [unrolled: 2-line block ×3, first 2 shown]
	s_andn2_b32 exec_lo, exec_lo, s0
	s_cbranch_execnz .LBB107_3
; %bb.4:
	s_or_b32 exec_lo, exec_lo, s0
.LBB107_5:
	s_or_b32 exec_lo, exec_lo, s6
	v_mbcnt_lo_u32_b32 v2, -1, 0
	v_xor_b32_e32 v3, 16, v2
	v_xor_b32_e32 v4, 8, v2
	v_cmp_gt_i32_e32 vcc_lo, 32, v3
	v_cndmask_b32_e32 v3, v2, v3, vcc_lo
	v_cmp_gt_i32_e32 vcc_lo, 32, v4
	v_lshlrev_b32_e32 v3, 2, v3
	v_cndmask_b32_e32 v4, v2, v4, vcc_lo
	ds_bpermute_b32 v3, v3, v5
	v_lshlrev_b32_e32 v4, 2, v4
	s_waitcnt lgkmcnt(0)
	v_add_f32_e32 v3, v5, v3
	v_xor_b32_e32 v5, 4, v2
	ds_bpermute_b32 v4, v4, v3
	v_cmp_gt_i32_e32 vcc_lo, 32, v5
	v_cndmask_b32_e32 v5, v2, v5, vcc_lo
	v_lshlrev_b32_e32 v5, 2, v5
	s_waitcnt lgkmcnt(0)
	v_add_f32_e32 v3, v3, v4
	ds_bpermute_b32 v4, v5, v3
	v_xor_b32_e32 v5, 2, v2
	v_cmp_gt_i32_e32 vcc_lo, 32, v5
	v_cndmask_b32_e32 v5, v2, v5, vcc_lo
	v_lshlrev_b32_e32 v5, 2, v5
	s_waitcnt lgkmcnt(0)
	v_add_f32_e32 v3, v3, v4
	ds_bpermute_b32 v4, v5, v3
	v_xor_b32_e32 v5, 1, v2
	v_cmp_gt_i32_e32 vcc_lo, 32, v5
	v_cndmask_b32_e32 v5, v2, v5, vcc_lo
	v_cmp_eq_u32_e32 vcc_lo, 0, v0
	s_waitcnt lgkmcnt(0)
	v_add_f32_e32 v2, v3, v4
	v_lshlrev_b32_e32 v3, 2, v5
	ds_bpermute_b32 v3, v3, v2
	s_and_b32 exec_lo, exec_lo, vcc_lo
	s_cbranch_execz .LBB107_7
; %bb.6:
	s_waitcnt lgkmcnt(0)
	v_add_f32_e32 v2, v2, v3
	v_mov_b32_e32 v4, 0x7fc0
	v_mad_u64_u32 v[0:1], null, s1, s7, v[1:2]
	v_mov_b32_e32 v1, 0
	v_bfe_u32 v3, v2, 16, 1
	v_cmp_o_f32_e32 vcc_lo, v2, v2
	v_add3_u32 v2, v2, v3, 0x7fff
	v_lshlrev_b64 v[0:1], 1, v[0:1]
	v_cndmask_b32_sdwa v2, v4, v2, vcc_lo dst_sel:DWORD dst_unused:UNUSED_PAD src0_sel:DWORD src1_sel:WORD_1
	v_add_co_u32 v0, vcc_lo, s2, v0
	v_add_co_ci_u32_e64 v1, null, s3, v1, vcc_lo
	global_store_short v[0:1], v2, off
.LBB107_7:
	s_endpgm
	.section	.rodata,"a",@progbits
	.p2align	6, 0x0
	.amdhsa_kernel _ZL13mul_mat_vec_qIN3c108BFloat16ELi256ELi32E10block_q6_KLi1EXadL_ZL17vec_dot_q6_K_q8_1PKvPK10block_q8_1RKiEEEvS4_S4_PT_iii
		.amdhsa_group_segment_fixed_size 0
		.amdhsa_private_segment_fixed_size 0
		.amdhsa_kernarg_size 296
		.amdhsa_user_sgpr_count 6
		.amdhsa_user_sgpr_private_segment_buffer 1
		.amdhsa_user_sgpr_dispatch_ptr 0
		.amdhsa_user_sgpr_queue_ptr 0
		.amdhsa_user_sgpr_kernarg_segment_ptr 1
		.amdhsa_user_sgpr_dispatch_id 0
		.amdhsa_user_sgpr_flat_scratch_init 0
		.amdhsa_user_sgpr_private_segment_size 0
		.amdhsa_wavefront_size32 1
		.amdhsa_uses_dynamic_stack 0
		.amdhsa_system_sgpr_private_segment_wavefront_offset 0
		.amdhsa_system_sgpr_workgroup_id_x 1
		.amdhsa_system_sgpr_workgroup_id_y 1
		.amdhsa_system_sgpr_workgroup_id_z 0
		.amdhsa_system_sgpr_workgroup_info 0
		.amdhsa_system_vgpr_workitem_id 1
		.amdhsa_next_free_vgpr 28
		.amdhsa_next_free_sgpr 13
		.amdhsa_reserve_vcc 1
		.amdhsa_reserve_flat_scratch 0
		.amdhsa_float_round_mode_32 0
		.amdhsa_float_round_mode_16_64 0
		.amdhsa_float_denorm_mode_32 3
		.amdhsa_float_denorm_mode_16_64 3
		.amdhsa_dx10_clamp 1
		.amdhsa_ieee_mode 1
		.amdhsa_fp16_overflow 0
		.amdhsa_workgroup_processor_mode 1
		.amdhsa_memory_ordered 1
		.amdhsa_forward_progress 1
		.amdhsa_shared_vgpr_count 0
		.amdhsa_exception_fp_ieee_invalid_op 0
		.amdhsa_exception_fp_denorm_src 0
		.amdhsa_exception_fp_ieee_div_zero 0
		.amdhsa_exception_fp_ieee_overflow 0
		.amdhsa_exception_fp_ieee_underflow 0
		.amdhsa_exception_fp_ieee_inexact 0
		.amdhsa_exception_int_div_zero 0
	.end_amdhsa_kernel
	.section	.text._ZL13mul_mat_vec_qIN3c108BFloat16ELi256ELi32E10block_q6_KLi1EXadL_ZL17vec_dot_q6_K_q8_1PKvPK10block_q8_1RKiEEEvS4_S4_PT_iii,"axG",@progbits,_ZL13mul_mat_vec_qIN3c108BFloat16ELi256ELi32E10block_q6_KLi1EXadL_ZL17vec_dot_q6_K_q8_1PKvPK10block_q8_1RKiEEEvS4_S4_PT_iii,comdat
.Lfunc_end107:
	.size	_ZL13mul_mat_vec_qIN3c108BFloat16ELi256ELi32E10block_q6_KLi1EXadL_ZL17vec_dot_q6_K_q8_1PKvPK10block_q8_1RKiEEEvS4_S4_PT_iii, .Lfunc_end107-_ZL13mul_mat_vec_qIN3c108BFloat16ELi256ELi32E10block_q6_KLi1EXadL_ZL17vec_dot_q6_K_q8_1PKvPK10block_q8_1RKiEEEvS4_S4_PT_iii
                                        ; -- End function
	.set _ZL13mul_mat_vec_qIN3c108BFloat16ELi256ELi32E10block_q6_KLi1EXadL_ZL17vec_dot_q6_K_q8_1PKvPK10block_q8_1RKiEEEvS4_S4_PT_iii.num_vgpr, 28
	.set _ZL13mul_mat_vec_qIN3c108BFloat16ELi256ELi32E10block_q6_KLi1EXadL_ZL17vec_dot_q6_K_q8_1PKvPK10block_q8_1RKiEEEvS4_S4_PT_iii.num_agpr, 0
	.set _ZL13mul_mat_vec_qIN3c108BFloat16ELi256ELi32E10block_q6_KLi1EXadL_ZL17vec_dot_q6_K_q8_1PKvPK10block_q8_1RKiEEEvS4_S4_PT_iii.numbered_sgpr, 13
	.set _ZL13mul_mat_vec_qIN3c108BFloat16ELi256ELi32E10block_q6_KLi1EXadL_ZL17vec_dot_q6_K_q8_1PKvPK10block_q8_1RKiEEEvS4_S4_PT_iii.num_named_barrier, 0
	.set _ZL13mul_mat_vec_qIN3c108BFloat16ELi256ELi32E10block_q6_KLi1EXadL_ZL17vec_dot_q6_K_q8_1PKvPK10block_q8_1RKiEEEvS4_S4_PT_iii.private_seg_size, 0
	.set _ZL13mul_mat_vec_qIN3c108BFloat16ELi256ELi32E10block_q6_KLi1EXadL_ZL17vec_dot_q6_K_q8_1PKvPK10block_q8_1RKiEEEvS4_S4_PT_iii.uses_vcc, 1
	.set _ZL13mul_mat_vec_qIN3c108BFloat16ELi256ELi32E10block_q6_KLi1EXadL_ZL17vec_dot_q6_K_q8_1PKvPK10block_q8_1RKiEEEvS4_S4_PT_iii.uses_flat_scratch, 0
	.set _ZL13mul_mat_vec_qIN3c108BFloat16ELi256ELi32E10block_q6_KLi1EXadL_ZL17vec_dot_q6_K_q8_1PKvPK10block_q8_1RKiEEEvS4_S4_PT_iii.has_dyn_sized_stack, 0
	.set _ZL13mul_mat_vec_qIN3c108BFloat16ELi256ELi32E10block_q6_KLi1EXadL_ZL17vec_dot_q6_K_q8_1PKvPK10block_q8_1RKiEEEvS4_S4_PT_iii.has_recursion, 0
	.set _ZL13mul_mat_vec_qIN3c108BFloat16ELi256ELi32E10block_q6_KLi1EXadL_ZL17vec_dot_q6_K_q8_1PKvPK10block_q8_1RKiEEEvS4_S4_PT_iii.has_indirect_call, 0
	.section	.AMDGPU.csdata,"",@progbits
; Kernel info:
; codeLenInByte = 1140
; TotalNumSgprs: 15
; NumVgprs: 28
; ScratchSize: 0
; MemoryBound: 0
; FloatMode: 240
; IeeeMode: 1
; LDSByteSize: 0 bytes/workgroup (compile time only)
; SGPRBlocks: 0
; VGPRBlocks: 3
; NumSGPRsForWavesPerEU: 15
; NumVGPRsForWavesPerEU: 28
; Occupancy: 16
; WaveLimiterHint : 0
; COMPUTE_PGM_RSRC2:SCRATCH_EN: 0
; COMPUTE_PGM_RSRC2:USER_SGPR: 6
; COMPUTE_PGM_RSRC2:TRAP_HANDLER: 0
; COMPUTE_PGM_RSRC2:TGID_X_EN: 1
; COMPUTE_PGM_RSRC2:TGID_Y_EN: 1
; COMPUTE_PGM_RSRC2:TGID_Z_EN: 0
; COMPUTE_PGM_RSRC2:TIDIG_COMP_CNT: 1
	.section	.text._ZL13mul_mat_vec_qIN3c108BFloat16ELi256ELi8E13block_iq2_xxsLi1EXadL_ZL20vec_dot_iq2_xxs_q8_1PKvPK10block_q8_1RKiEEEvS4_S4_PT_iii,"axG",@progbits,_ZL13mul_mat_vec_qIN3c108BFloat16ELi256ELi8E13block_iq2_xxsLi1EXadL_ZL20vec_dot_iq2_xxs_q8_1PKvPK10block_q8_1RKiEEEvS4_S4_PT_iii,comdat
	.globl	_ZL13mul_mat_vec_qIN3c108BFloat16ELi256ELi8E13block_iq2_xxsLi1EXadL_ZL20vec_dot_iq2_xxs_q8_1PKvPK10block_q8_1RKiEEEvS4_S4_PT_iii ; -- Begin function _ZL13mul_mat_vec_qIN3c108BFloat16ELi256ELi8E13block_iq2_xxsLi1EXadL_ZL20vec_dot_iq2_xxs_q8_1PKvPK10block_q8_1RKiEEEvS4_S4_PT_iii
	.p2align	8
	.type	_ZL13mul_mat_vec_qIN3c108BFloat16ELi256ELi8E13block_iq2_xxsLi1EXadL_ZL20vec_dot_iq2_xxs_q8_1PKvPK10block_q8_1RKiEEEvS4_S4_PT_iii,@function
_ZL13mul_mat_vec_qIN3c108BFloat16ELi256ELi8E13block_iq2_xxsLi1EXadL_ZL20vec_dot_iq2_xxs_q8_1PKvPK10block_q8_1RKiEEEvS4_S4_PT_iii: ; @_ZL13mul_mat_vec_qIN3c108BFloat16ELi256ELi8E13block_iq2_xxsLi1EXadL_ZL20vec_dot_iq2_xxs_q8_1PKvPK10block_q8_1RKiEEEvS4_S4_PT_iii
; %bb.0:
	s_clause 0x1
	s_load_dword s0, s[4:5], 0x34
	s_load_dwordx4 s[8:11], s[4:5], 0x18
	s_waitcnt lgkmcnt(0)
	s_lshr_b32 s0, s0, 16
	s_cmp_lt_u32 s7, s10
	v_mad_u64_u32 v[1:2], null, s6, s0, v[1:2]
	s_cselect_b32 s0, -1, 0
	v_cmp_gt_u32_e32 vcc_lo, s9, v1
	s_and_b32 s0, s0, vcc_lo
	s_and_saveexec_b32 s1, s0
	s_cbranch_execz .LBB108_7
; %bb.1:
	s_load_dwordx2 s[10:11], s[4:5], 0x10
	s_ashr_i32 s0, s8, 31
	v_lshrrev_b32_e32 v4, 3, v0
	s_lshr_b32 s0, s0, 24
	v_mov_b32_e32 v5, 0
	s_add_i32 s0, s8, s0
	s_mov_b32 s16, exec_lo
	s_ashr_i32 s17, s0, 8
	v_cmpx_gt_u32_e64 s17, v4
	s_cbranch_execz .LBB108_5
; %bb.2:
	s_load_dwordx4 s[12:15], s[4:5], 0x0
	s_add_i32 s0, s8, 0x1ff
	v_and_b32_e32 v2, 7, v0
	s_ashr_i32 s1, s0, 31
	v_lshlrev_b32_e32 v7, 3, v4
	s_lshr_b32 s1, s1, 23
	v_mul_lo_u32 v6, v1, s17
	s_add_i32 s0, s0, s1
	v_lshlrev_b32_e32 v8, 2, v2
	s_ashr_i32 s0, s0, 9
	v_mov_b32_e32 v5, 0
	s_mul_i32 s0, s7, s0
	v_mov_b32_e32 v9, 3
	v_lshl_add_u32 v7, s0, 4, v7
	v_lshlrev_b32_e32 v8, 1, v8
	s_waitcnt lgkmcnt(0)
	v_mad_u64_u32 v[2:3], null, v2, 36, s[14:15]
	s_mov_b32 s14, 0
.LBB108_3:                              ; =>This Inner Loop Header: Depth=1
	v_add_nc_u32_e32 v10, v6, v4
	v_mad_i64_i32 v[20:21], null, v7, 36, v[2:3]
	s_getpc_b64 s[0:1]
	s_add_u32 s0, s0, _ZL11iq2xxs_grid@rel32@lo+4
	s_addc_u32 s1, s1, _ZL11iq2xxs_grid@rel32@hi+12
	s_getpc_b64 s[2:3]
	s_add_u32 s2, s2, _ZL12ksigns_iq2xs@rel32@lo+4
	s_addc_u32 s3, s3, _ZL12ksigns_iq2xs@rel32@hi+12
	v_mad_i64_i32 v[18:19], null, 0x42, v10, s[12:13]
	v_add_nc_u32_e32 v4, 4, v4
	v_add_nc_u32_e32 v7, 32, v7
	v_add_co_u32 v10, vcc_lo, v18, v8
	v_add_co_ci_u32_e64 v11, null, 0, v19, vcc_lo
	s_clause 0x1
	global_load_dword v22, v[10:11], off offset:2
	global_load_dword v28, v[10:11], off offset:6
	s_clause 0x1
	global_load_dwordx4 v[10:13], v[20:21], off offset:4
	global_load_dwordx4 v[14:17], v[20:21], off offset:20
	global_load_ushort v29, v[18:19], off
	s_waitcnt vmcnt(4)
	v_lshlrev_b32_sdwa v18, v9, v22 dst_sel:DWORD dst_unused:UNUSED_PAD src0_sel:DWORD src1_sel:BYTE_0
	s_waitcnt vmcnt(3)
	v_and_b32_e32 v30, 0x7f, v28
	v_bfe_u32 v31, v28, 7, 7
	v_lshlrev_b32_sdwa v23, v9, v22 dst_sel:DWORD dst_unused:UNUSED_PAD src0_sel:DWORD src1_sel:BYTE_1
	v_lshlrev_b32_sdwa v24, v9, v22 dst_sel:DWORD dst_unused:UNUSED_PAD src0_sel:DWORD src1_sel:BYTE_2
	v_bfe_u32 v32, v28, 14, 7
	v_lshlrev_b32_sdwa v26, v9, v22 dst_sel:DWORD dst_unused:UNUSED_PAD src0_sel:DWORD src1_sel:BYTE_3
	v_bfe_u32 v33, v28, 21, 7
	global_load_sbyte v34, v30, s[2:3]
	global_load_dwordx2 v[18:19], v18, s[0:1]
	global_load_sbyte v35, v31, s[2:3]
	global_load_dwordx2 v[22:23], v23, s[0:1]
	;; [unrolled: 2-line block ×4, first 2 shown]
	global_load_ushort v20, v[20:21], off
	v_lshrrev_b32_e32 v21, 28, v28
	s_waitcnt vmcnt(9)
	v_cvt_f32_f16_e32 v28, v29
	v_cvt_f32_ubyte0_e32 v21, v21
	v_add_f32_e32 v21, 0.5, v21
	v_mul_f32_e32 v21, v21, v28
	s_waitcnt vmcnt(8)
	v_and_b32_e32 v29, 1, v34
	s_waitcnt vmcnt(7)
	v_mul_i32_i24_sdwa v28, v18, sext(v10) dst_sel:DWORD dst_unused:UNUSED_PAD src0_sel:BYTE_0 src1_sel:BYTE_0
	v_mul_i32_i24_sdwa v38, v18, sext(v10) dst_sel:DWORD dst_unused:UNUSED_PAD src0_sel:BYTE_1 src1_sel:BYTE_1
	v_and_b32_e32 v39, 2, v34
	v_mul_i32_i24_sdwa v40, v18, sext(v10) dst_sel:DWORD dst_unused:UNUSED_PAD src0_sel:BYTE_2 src1_sel:BYTE_2
	v_and_b32_e32 v41, 4, v34
	v_mul_i32_i24_sdwa v10, v18, sext(v10) dst_sel:DWORD dst_unused:UNUSED_PAD src0_sel:BYTE_3 src1_sel:BYTE_3
	v_and_b32_e32 v18, 8, v34
	v_sub_nc_u32_e32 v61, 0, v28
	v_cmp_eq_u16_e32 vcc_lo, 0, v29
	v_sub_nc_u32_e32 v29, 0, v38
	v_cmp_eq_u16_e64 s0, 0, v39
	v_sub_nc_u32_e32 v39, 0, v40
	v_cmp_eq_u16_e64 s1, 0, v41
	;; [unrolled: 2-line block ×3, first 2 shown]
	v_cndmask_b32_e32 v28, v61, v28, vcc_lo
	v_cndmask_b32_e64 v29, v29, v38, s0
	v_mul_i32_i24_sdwa v42, v19, sext(v11) dst_sel:DWORD dst_unused:UNUSED_PAD src0_sel:BYTE_0 src1_sel:BYTE_0
	v_and_b32_e32 v43, 16, v34
	v_mul_i32_i24_sdwa v44, v19, sext(v11) dst_sel:DWORD dst_unused:UNUSED_PAD src0_sel:BYTE_1 src1_sel:BYTE_1
	v_mul_i32_i24_sdwa v45, v19, sext(v11) dst_sel:DWORD dst_unused:UNUSED_PAD src0_sel:BYTE_2 src1_sel:BYTE_2
	v_mul_i32_i24_sdwa v11, v19, sext(v11) dst_sel:DWORD dst_unused:UNUSED_PAD src0_sel:BYTE_3 src1_sel:BYTE_3
	s_waitcnt vmcnt(5)
	v_mul_i32_i24_sdwa v19, v22, sext(v12) dst_sel:DWORD dst_unused:UNUSED_PAD src0_sel:BYTE_0 src1_sel:BYTE_0
	v_mul_i32_i24_sdwa v46, v22, sext(v12) dst_sel:DWORD dst_unused:UNUSED_PAD src0_sel:BYTE_1 src1_sel:BYTE_1
	v_mul_i32_i24_sdwa v47, v22, sext(v12) dst_sel:DWORD dst_unused:UNUSED_PAD src0_sel:BYTE_2 src1_sel:BYTE_2
	v_mul_i32_i24_sdwa v12, v22, sext(v12) dst_sel:DWORD dst_unused:UNUSED_PAD src0_sel:BYTE_3 src1_sel:BYTE_3
	v_mul_i32_i24_sdwa v22, v23, sext(v13) dst_sel:DWORD dst_unused:UNUSED_PAD src0_sel:BYTE_0 src1_sel:BYTE_0
	v_mul_i32_i24_sdwa v48, v23, sext(v13) dst_sel:DWORD dst_unused:UNUSED_PAD src0_sel:BYTE_1 src1_sel:BYTE_1
	v_mul_i32_i24_sdwa v49, v23, sext(v13) dst_sel:DWORD dst_unused:UNUSED_PAD src0_sel:BYTE_2 src1_sel:BYTE_2
	v_mul_i32_i24_sdwa v13, v23, sext(v13) dst_sel:DWORD dst_unused:UNUSED_PAD src0_sel:BYTE_3 src1_sel:BYTE_3
	s_waitcnt vmcnt(3)
	v_mul_i32_i24_sdwa v23, v24, sext(v14) dst_sel:DWORD dst_unused:UNUSED_PAD src0_sel:BYTE_0 src1_sel:BYTE_0
	v_mul_i32_i24_sdwa v50, v24, sext(v14) dst_sel:DWORD dst_unused:UNUSED_PAD src0_sel:BYTE_1 src1_sel:BYTE_1
	v_mul_i32_i24_sdwa v51, v24, sext(v14) dst_sel:DWORD dst_unused:UNUSED_PAD src0_sel:BYTE_2 src1_sel:BYTE_2
	v_mul_i32_i24_sdwa v14, v24, sext(v14) dst_sel:DWORD dst_unused:UNUSED_PAD src0_sel:BYTE_3 src1_sel:BYTE_3
	v_mul_i32_i24_sdwa v24, v25, sext(v15) dst_sel:DWORD dst_unused:UNUSED_PAD src0_sel:BYTE_0 src1_sel:BYTE_0
	;; [unrolled: 9-line block ×3, first 2 shown]
	v_mul_i32_i24_sdwa v56, v27, sext(v17) dst_sel:DWORD dst_unused:UNUSED_PAD src0_sel:BYTE_1 src1_sel:BYTE_1
	v_mul_i32_i24_sdwa v57, v27, sext(v17) dst_sel:DWORD dst_unused:UNUSED_PAD src0_sel:BYTE_2 src1_sel:BYTE_2
	v_mul_i32_i24_sdwa v17, v27, sext(v17) dst_sel:DWORD dst_unused:UNUSED_PAD src0_sel:BYTE_3 src1_sel:BYTE_3
	v_and_b32_e32 v27, 32, v34
	v_cndmask_b32_e64 v39, v39, v40, s1
	v_cndmask_b32_e64 v10, v41, v10, s2
	v_add_nc_u32_e32 v28, v29, v28
	v_cmp_eq_u16_e32 vcc_lo, 0, v43
	v_sub_nc_u32_e32 v43, 0, v44
	v_cmp_eq_u16_e64 s0, 0, v27
	v_and_b32_e32 v58, 1, v35
	v_add3_u32 v10, v28, v39, v10
	v_sub_nc_u32_e32 v39, 0, v42
	v_and_b32_e32 v59, 2, v35
	v_cndmask_b32_e64 v43, v43, v44, s0
	v_cmp_gt_i16_e64 s0, 0, v34
	v_and_b32_e32 v60, 4, v35
	v_cndmask_b32_e32 v39, v39, v42, vcc_lo
	v_cmp_gt_u32_e32 vcc_lo, 64, v30
	v_sub_nc_u32_e32 v30, 0, v11
	v_and_b32_e32 v18, 8, v35
	v_and_b32_e32 v61, 16, v35
	v_add3_u32 v10, v10, v39, v43
	v_sub_nc_u32_e32 v43, 0, v45
	v_cndmask_b32_e64 v11, v11, v30, s0
	v_cmp_eq_u16_e64 s0, 0, v59
	v_and_b32_e32 v38, 32, v35
	v_and_b32_e32 v41, 2, v36
	v_cndmask_b32_e32 v43, v43, v45, vcc_lo
	v_cmp_eq_u16_e32 vcc_lo, 0, v58
	v_sub_nc_u32_e32 v58, 0, v46
	v_sub_nc_u32_e32 v59, 0, v47
	v_cmp_eq_u16_e64 s1, 0, v60
	v_add3_u32 v10, v10, v43, v11
	v_sub_nc_u32_e32 v43, 0, v19
	v_sub_nc_u32_e32 v60, 0, v12
	v_cmp_eq_u16_e64 s2, 0, v18
	v_cndmask_b32_e64 v46, v58, v46, s0
	v_sub_nc_u32_e32 v18, 0, v48
	v_cndmask_b32_e32 v19, v43, v19, vcc_lo
	v_cmp_eq_u16_e64 s3, 0, v38
	v_cmp_eq_u16_e64 s5, 0, v41
	v_sub_nc_u32_e32 v41, 0, v22
	v_cndmask_b32_e64 v47, v59, v47, s1
	v_add3_u32 v10, v10, v19, v46
	v_cndmask_b32_e64 v12, v60, v12, s2
	v_cmp_eq_u16_e64 s1, 0, v61
	v_and_b32_e32 v40, 1, v36
	v_sub_nc_u32_e32 v38, 0, v13
	v_cmp_gt_i16_e64 s4, 0, v35
	v_sub_nc_u32_e32 v43, 0, v49
	v_cndmask_b32_e64 v22, v41, v22, s1
	v_cndmask_b32_e64 v18, v18, v48, s3
	v_add3_u32 v10, v10, v47, v12
	v_cmp_gt_u32_e64 s1, 64, v31
	v_and_b32_e32 v29, 4, v36
	v_and_b32_e32 v28, 8, v36
	v_sub_nc_u32_e32 v35, 0, v50
	v_sub_nc_u32_e32 v58, 0, v23
	v_cndmask_b32_e64 v31, v43, v49, s1
	v_cndmask_b32_e64 v13, v13, v38, s4
	v_add3_u32 v10, v10, v22, v18
	v_cmp_eq_u16_e64 s1, 0, v40
	v_and_b32_e32 v27, 16, v36
	v_and_b32_e32 v42, 32, v36
	;; [unrolled: 1-line block ×3, first 2 shown]
	v_sub_nc_u32_e32 v19, 0, v51
	v_sub_nc_u32_e32 v46, 0, v14
	v_cmp_eq_u16_e32 vcc_lo, 0, v28
	v_cndmask_b32_e64 v22, v58, v23, s1
	v_cndmask_b32_e64 v23, v35, v50, s5
	v_add3_u32 v10, v10, v31, v13
	v_cmp_eq_u16_e64 s2, 0, v29
	v_sub_nc_u32_e32 v28, 0, v52
	v_cmp_eq_u16_e64 s0, 0, v42
	v_cmp_eq_u16_e64 s8, 0, v39
	v_sub_nc_u32_e32 v39, 0, v24
	v_cndmask_b32_e64 v13, v19, v51, s2
	v_cndmask_b32_e32 v14, v46, v14, vcc_lo
	v_add3_u32 v10, v10, v22, v23
	v_cmp_eq_u16_e32 vcc_lo, 0, v27
	v_and_b32_e32 v44, 1, v37
	v_sub_nc_u32_e32 v42, 0, v15
	v_cmp_gt_i16_e64 s6, 0, v36
	v_sub_nc_u32_e32 v59, 0, v53
	v_cndmask_b32_e32 v22, v39, v24, vcc_lo
	v_cndmask_b32_e64 v23, v28, v52, s0
	v_add3_u32 v10, v10, v13, v14
	v_cmp_gt_u32_e32 vcc_lo, 64, v32
	v_and_b32_e32 v34, 4, v37
	v_and_b32_e32 v45, 8, v37
	;; [unrolled: 1-line block ×3, first 2 shown]
	v_sub_nc_u32_e32 v36, 0, v54
	v_sub_nc_u32_e32 v60, 0, v25
	v_cndmask_b32_e32 v14, v59, v53, vcc_lo
	v_cndmask_b32_e64 v15, v15, v42, s6
	v_add3_u32 v10, v10, v22, v23
	v_cmp_eq_u16_e64 s0, 0, v44
	v_and_b32_e32 v30, 16, v37
	v_sub_nc_u32_e32 v12, 0, v55
	v_sub_nc_u32_e32 v18, 0, v16
	v_cmp_eq_u16_e64 s1, 0, v45
	v_cmp_eq_u16_e32 vcc_lo, 0, v11
	v_cndmask_b32_e64 v11, v60, v25, s0
	v_cndmask_b32_e64 v22, v36, v54, s8
	v_add3_u32 v10, v10, v14, v15
	v_cmp_eq_u16_e64 s0, 0, v34
	v_sub_nc_u32_e32 v19, 0, v26
	v_sub_nc_u32_e32 v13, 0, v56
	v_cndmask_b32_e64 v15, v18, v16, s1
	v_add3_u32 v10, v10, v11, v22
	v_cndmask_b32_e64 v12, v12, v55, s0
	v_cmp_eq_u16_e64 s0, 0, v30
	v_sub_nc_u32_e32 v14, 0, v57
	v_sub_nc_u32_e32 v11, 0, v17
	v_cndmask_b32_e32 v13, v13, v56, vcc_lo
	v_add3_u32 v10, v10, v12, v15
	v_cndmask_b32_e64 v16, v19, v26, s0
	v_cmp_gt_i16_e32 vcc_lo, 0, v37
	v_cmp_gt_u32_e64 s0, 64, v33
	s_waitcnt vmcnt(0)
	v_cvt_f32_f16_e32 v20, v20
	v_add3_u32 v10, v10, v16, v13
	v_cndmask_b32_e32 v11, v17, v11, vcc_lo
	v_cndmask_b32_e64 v12, v14, v57, s0
	v_mul_f32_e32 v13, v21, v20
	v_cmp_le_u32_e32 vcc_lo, s17, v4
	v_add3_u32 v10, v10, v12, v11
	v_mul_f32_e32 v11, 0x3e800000, v13
	s_or_b32 s14, vcc_lo, s14
	v_cvt_f32_i32_e32 v10, v10
	v_fmac_f32_e32 v5, v11, v10
	s_andn2_b32 exec_lo, exec_lo, s14
	s_cbranch_execnz .LBB108_3
; %bb.4:
	s_or_b32 exec_lo, exec_lo, s14
.LBB108_5:
	s_or_b32 exec_lo, exec_lo, s16
	v_mbcnt_lo_u32_b32 v2, -1, 0
	v_xor_b32_e32 v3, 16, v2
	v_xor_b32_e32 v4, 8, v2
	v_cmp_gt_i32_e32 vcc_lo, 32, v3
	v_cndmask_b32_e32 v3, v2, v3, vcc_lo
	v_cmp_gt_i32_e32 vcc_lo, 32, v4
	v_lshlrev_b32_e32 v3, 2, v3
	v_cndmask_b32_e32 v4, v2, v4, vcc_lo
	ds_bpermute_b32 v3, v3, v5
	v_lshlrev_b32_e32 v4, 2, v4
	s_waitcnt lgkmcnt(0)
	v_add_f32_e32 v3, v5, v3
	v_xor_b32_e32 v5, 4, v2
	ds_bpermute_b32 v4, v4, v3
	v_cmp_gt_i32_e32 vcc_lo, 32, v5
	v_cndmask_b32_e32 v5, v2, v5, vcc_lo
	v_lshlrev_b32_e32 v5, 2, v5
	s_waitcnt lgkmcnt(0)
	v_add_f32_e32 v3, v3, v4
	ds_bpermute_b32 v4, v5, v3
	v_xor_b32_e32 v5, 2, v2
	v_cmp_gt_i32_e32 vcc_lo, 32, v5
	v_cndmask_b32_e32 v5, v2, v5, vcc_lo
	v_lshlrev_b32_e32 v5, 2, v5
	s_waitcnt lgkmcnt(0)
	v_add_f32_e32 v3, v3, v4
	ds_bpermute_b32 v4, v5, v3
	v_xor_b32_e32 v5, 1, v2
	v_cmp_gt_i32_e32 vcc_lo, 32, v5
	v_cndmask_b32_e32 v5, v2, v5, vcc_lo
	v_cmp_eq_u32_e32 vcc_lo, 0, v0
	s_waitcnt lgkmcnt(0)
	v_add_f32_e32 v2, v3, v4
	v_lshlrev_b32_e32 v3, 2, v5
	ds_bpermute_b32 v3, v3, v2
	s_and_b32 exec_lo, exec_lo, vcc_lo
	s_cbranch_execz .LBB108_7
; %bb.6:
	s_waitcnt lgkmcnt(0)
	v_add_f32_e32 v2, v2, v3
	v_mov_b32_e32 v4, 0x7fc0
	v_mad_u64_u32 v[0:1], null, s9, s7, v[1:2]
	v_mov_b32_e32 v1, 0
	v_bfe_u32 v3, v2, 16, 1
	v_cmp_o_f32_e32 vcc_lo, v2, v2
	v_add3_u32 v2, v2, v3, 0x7fff
	v_lshlrev_b64 v[0:1], 1, v[0:1]
	v_cndmask_b32_sdwa v2, v4, v2, vcc_lo dst_sel:DWORD dst_unused:UNUSED_PAD src0_sel:DWORD src1_sel:WORD_1
	v_add_co_u32 v0, vcc_lo, s10, v0
	v_add_co_ci_u32_e64 v1, null, s11, v1, vcc_lo
	global_store_short v[0:1], v2, off
.LBB108_7:
	s_endpgm
	.section	.rodata,"a",@progbits
	.p2align	6, 0x0
	.amdhsa_kernel _ZL13mul_mat_vec_qIN3c108BFloat16ELi256ELi8E13block_iq2_xxsLi1EXadL_ZL20vec_dot_iq2_xxs_q8_1PKvPK10block_q8_1RKiEEEvS4_S4_PT_iii
		.amdhsa_group_segment_fixed_size 0
		.amdhsa_private_segment_fixed_size 0
		.amdhsa_kernarg_size 296
		.amdhsa_user_sgpr_count 6
		.amdhsa_user_sgpr_private_segment_buffer 1
		.amdhsa_user_sgpr_dispatch_ptr 0
		.amdhsa_user_sgpr_queue_ptr 0
		.amdhsa_user_sgpr_kernarg_segment_ptr 1
		.amdhsa_user_sgpr_dispatch_id 0
		.amdhsa_user_sgpr_flat_scratch_init 0
		.amdhsa_user_sgpr_private_segment_size 0
		.amdhsa_wavefront_size32 1
		.amdhsa_uses_dynamic_stack 0
		.amdhsa_system_sgpr_private_segment_wavefront_offset 0
		.amdhsa_system_sgpr_workgroup_id_x 1
		.amdhsa_system_sgpr_workgroup_id_y 1
		.amdhsa_system_sgpr_workgroup_id_z 0
		.amdhsa_system_sgpr_workgroup_info 0
		.amdhsa_system_vgpr_workitem_id 1
		.amdhsa_next_free_vgpr 62
		.amdhsa_next_free_sgpr 18
		.amdhsa_reserve_vcc 1
		.amdhsa_reserve_flat_scratch 0
		.amdhsa_float_round_mode_32 0
		.amdhsa_float_round_mode_16_64 0
		.amdhsa_float_denorm_mode_32 3
		.amdhsa_float_denorm_mode_16_64 3
		.amdhsa_dx10_clamp 1
		.amdhsa_ieee_mode 1
		.amdhsa_fp16_overflow 0
		.amdhsa_workgroup_processor_mode 1
		.amdhsa_memory_ordered 1
		.amdhsa_forward_progress 1
		.amdhsa_shared_vgpr_count 0
		.amdhsa_exception_fp_ieee_invalid_op 0
		.amdhsa_exception_fp_denorm_src 0
		.amdhsa_exception_fp_ieee_div_zero 0
		.amdhsa_exception_fp_ieee_overflow 0
		.amdhsa_exception_fp_ieee_underflow 0
		.amdhsa_exception_fp_ieee_inexact 0
		.amdhsa_exception_int_div_zero 0
	.end_amdhsa_kernel
	.section	.text._ZL13mul_mat_vec_qIN3c108BFloat16ELi256ELi8E13block_iq2_xxsLi1EXadL_ZL20vec_dot_iq2_xxs_q8_1PKvPK10block_q8_1RKiEEEvS4_S4_PT_iii,"axG",@progbits,_ZL13mul_mat_vec_qIN3c108BFloat16ELi256ELi8E13block_iq2_xxsLi1EXadL_ZL20vec_dot_iq2_xxs_q8_1PKvPK10block_q8_1RKiEEEvS4_S4_PT_iii,comdat
.Lfunc_end108:
	.size	_ZL13mul_mat_vec_qIN3c108BFloat16ELi256ELi8E13block_iq2_xxsLi1EXadL_ZL20vec_dot_iq2_xxs_q8_1PKvPK10block_q8_1RKiEEEvS4_S4_PT_iii, .Lfunc_end108-_ZL13mul_mat_vec_qIN3c108BFloat16ELi256ELi8E13block_iq2_xxsLi1EXadL_ZL20vec_dot_iq2_xxs_q8_1PKvPK10block_q8_1RKiEEEvS4_S4_PT_iii
                                        ; -- End function
	.set _ZL13mul_mat_vec_qIN3c108BFloat16ELi256ELi8E13block_iq2_xxsLi1EXadL_ZL20vec_dot_iq2_xxs_q8_1PKvPK10block_q8_1RKiEEEvS4_S4_PT_iii.num_vgpr, 62
	.set _ZL13mul_mat_vec_qIN3c108BFloat16ELi256ELi8E13block_iq2_xxsLi1EXadL_ZL20vec_dot_iq2_xxs_q8_1PKvPK10block_q8_1RKiEEEvS4_S4_PT_iii.num_agpr, 0
	.set _ZL13mul_mat_vec_qIN3c108BFloat16ELi256ELi8E13block_iq2_xxsLi1EXadL_ZL20vec_dot_iq2_xxs_q8_1PKvPK10block_q8_1RKiEEEvS4_S4_PT_iii.numbered_sgpr, 18
	.set _ZL13mul_mat_vec_qIN3c108BFloat16ELi256ELi8E13block_iq2_xxsLi1EXadL_ZL20vec_dot_iq2_xxs_q8_1PKvPK10block_q8_1RKiEEEvS4_S4_PT_iii.num_named_barrier, 0
	.set _ZL13mul_mat_vec_qIN3c108BFloat16ELi256ELi8E13block_iq2_xxsLi1EXadL_ZL20vec_dot_iq2_xxs_q8_1PKvPK10block_q8_1RKiEEEvS4_S4_PT_iii.private_seg_size, 0
	.set _ZL13mul_mat_vec_qIN3c108BFloat16ELi256ELi8E13block_iq2_xxsLi1EXadL_ZL20vec_dot_iq2_xxs_q8_1PKvPK10block_q8_1RKiEEEvS4_S4_PT_iii.uses_vcc, 1
	.set _ZL13mul_mat_vec_qIN3c108BFloat16ELi256ELi8E13block_iq2_xxsLi1EXadL_ZL20vec_dot_iq2_xxs_q8_1PKvPK10block_q8_1RKiEEEvS4_S4_PT_iii.uses_flat_scratch, 0
	.set _ZL13mul_mat_vec_qIN3c108BFloat16ELi256ELi8E13block_iq2_xxsLi1EXadL_ZL20vec_dot_iq2_xxs_q8_1PKvPK10block_q8_1RKiEEEvS4_S4_PT_iii.has_dyn_sized_stack, 0
	.set _ZL13mul_mat_vec_qIN3c108BFloat16ELi256ELi8E13block_iq2_xxsLi1EXadL_ZL20vec_dot_iq2_xxs_q8_1PKvPK10block_q8_1RKiEEEvS4_S4_PT_iii.has_recursion, 0
	.set _ZL13mul_mat_vec_qIN3c108BFloat16ELi256ELi8E13block_iq2_xxsLi1EXadL_ZL20vec_dot_iq2_xxs_q8_1PKvPK10block_q8_1RKiEEEvS4_S4_PT_iii.has_indirect_call, 0
	.section	.AMDGPU.csdata,"",@progbits
; Kernel info:
; codeLenInByte = 1888
; TotalNumSgprs: 20
; NumVgprs: 62
; ScratchSize: 0
; MemoryBound: 0
; FloatMode: 240
; IeeeMode: 1
; LDSByteSize: 0 bytes/workgroup (compile time only)
; SGPRBlocks: 0
; VGPRBlocks: 7
; NumSGPRsForWavesPerEU: 20
; NumVGPRsForWavesPerEU: 62
; Occupancy: 16
; WaveLimiterHint : 0
; COMPUTE_PGM_RSRC2:SCRATCH_EN: 0
; COMPUTE_PGM_RSRC2:USER_SGPR: 6
; COMPUTE_PGM_RSRC2:TRAP_HANDLER: 0
; COMPUTE_PGM_RSRC2:TGID_X_EN: 1
; COMPUTE_PGM_RSRC2:TGID_Y_EN: 1
; COMPUTE_PGM_RSRC2:TGID_Z_EN: 0
; COMPUTE_PGM_RSRC2:TIDIG_COMP_CNT: 1
	.section	.text._ZL13mul_mat_vec_qIN3c108BFloat16ELi256ELi8E12block_iq2_xsLi1EXadL_ZL19vec_dot_iq2_xs_q8_1PKvPK10block_q8_1RKiEEEvS4_S4_PT_iii,"axG",@progbits,_ZL13mul_mat_vec_qIN3c108BFloat16ELi256ELi8E12block_iq2_xsLi1EXadL_ZL19vec_dot_iq2_xs_q8_1PKvPK10block_q8_1RKiEEEvS4_S4_PT_iii,comdat
	.globl	_ZL13mul_mat_vec_qIN3c108BFloat16ELi256ELi8E12block_iq2_xsLi1EXadL_ZL19vec_dot_iq2_xs_q8_1PKvPK10block_q8_1RKiEEEvS4_S4_PT_iii ; -- Begin function _ZL13mul_mat_vec_qIN3c108BFloat16ELi256ELi8E12block_iq2_xsLi1EXadL_ZL19vec_dot_iq2_xs_q8_1PKvPK10block_q8_1RKiEEEvS4_S4_PT_iii
	.p2align	8
	.type	_ZL13mul_mat_vec_qIN3c108BFloat16ELi256ELi8E12block_iq2_xsLi1EXadL_ZL19vec_dot_iq2_xs_q8_1PKvPK10block_q8_1RKiEEEvS4_S4_PT_iii,@function
_ZL13mul_mat_vec_qIN3c108BFloat16ELi256ELi8E12block_iq2_xsLi1EXadL_ZL19vec_dot_iq2_xs_q8_1PKvPK10block_q8_1RKiEEEvS4_S4_PT_iii: ; @_ZL13mul_mat_vec_qIN3c108BFloat16ELi256ELi8E12block_iq2_xsLi1EXadL_ZL19vec_dot_iq2_xs_q8_1PKvPK10block_q8_1RKiEEEvS4_S4_PT_iii
; %bb.0:
	s_clause 0x1
	s_load_dword s8, s[4:5], 0x34
	s_load_dwordx4 s[0:3], s[4:5], 0x18
	s_waitcnt lgkmcnt(0)
	s_lshr_b32 s3, s8, 16
	s_cmp_lt_u32 s7, s2
	v_mad_u64_u32 v[1:2], null, s6, s3, v[1:2]
	s_cselect_b32 s2, -1, 0
	v_cmp_gt_u32_e32 vcc_lo, s1, v1
	s_and_b32 s2, s2, vcc_lo
	s_and_saveexec_b32 s3, s2
	s_cbranch_execz .LBB109_7
; %bb.1:
	s_load_dwordx2 s[2:3], s[4:5], 0x10
	s_ashr_i32 s6, s0, 31
	v_lshrrev_b32_e32 v10, 3, v0
	s_lshr_b32 s6, s6, 24
	v_mov_b32_e32 v11, 0
	s_add_i32 s6, s0, s6
	s_ashr_i32 s12, s6, 8
	s_mov_b32 s6, exec_lo
	v_cmpx_gt_u32_e64 s12, v10
	s_cbranch_execz .LBB109_5
; %bb.2:
	s_load_dwordx4 s[8:11], s[4:5], 0x0
	s_addk_i32 s0, 0x1ff
	v_and_b32_e32 v12, 7, v0
	s_ashr_i32 s4, s0, 31
	v_lshlrev_b32_e32 v4, 3, v10
	s_lshr_b32 s4, s4, 23
	v_mul_lo_u32 v13, v1, s12
	s_add_i32 s0, s0, s4
	v_lshlrev_b32_e32 v5, 2, v12
	s_ashr_i32 s0, s0, 9
	v_mov_b32_e32 v14, 0
	s_mul_i32 s0, s7, s0
	v_mov_b32_e32 v11, 0
	v_lshl_add_u32 v15, s0, 4, v4
	v_lshlrev_b32_e32 v16, 1, v5
	s_mov_b32 s0, 0
	s_getpc_b64 s[4:5]
	s_add_u32 s4, s4, _ZL10iq2xs_grid@rel32@lo+4
	s_addc_u32 s5, s5, _ZL10iq2xs_grid@rel32@hi+12
	s_waitcnt lgkmcnt(0)
	v_mad_u64_u32 v[2:3], null, v12, 36, s[10:11]
.LBB109_3:                              ; =>This Inner Loop Header: Depth=1
	v_add_nc_u32_e32 v4, v13, v10
	s_getpc_b64 s[10:11]
	s_add_u32 s10, s10, _ZL12ksigns_iq2xs@rel32@lo+4
	s_addc_u32 s11, s11, _ZL12ksigns_iq2xs@rel32@hi+12
	v_add_nc_u32_e32 v10, 4, v10
	v_mad_i64_i32 v[6:7], null, 0x4a, v4, s[8:9]
	v_mad_i64_i32 v[4:5], null, v15, 36, v[2:3]
	v_add_nc_u32_e32 v15, 32, v15
	v_add_co_u32 v8, vcc_lo, v6, v16
	v_add_co_ci_u32_e64 v9, null, 0, v7, vcc_lo
	v_add_co_u32 v17, vcc_lo, v6, v12
	v_add_co_ci_u32_e64 v18, null, 0, v7, vcc_lo
	s_clause 0x1
	global_load_ubyte v17, v[17:18], off offset:66
	global_load_dwordx2 v[8:9], v[8:9], off offset:2
	s_waitcnt vmcnt(0)
	v_and_b32_e32 v18, 0x1ff, v8
	v_lshlrev_b32_e32 v22, 3, v18
	v_bfe_u32 v18, v8, 9, 7
	global_load_sbyte v24, v18, s[10:11]
	global_load_dwordx4 v[18:21], v[4:5], off offset:4
	global_load_dwordx2 v[22:23], v22, s[4:5]
	s_waitcnt vmcnt(2)
	v_and_b32_e32 v26, 1, v24
	v_and_b32_e32 v27, 2, v24
	s_waitcnt vmcnt(0)
	v_mul_i32_i24_sdwa v25, v22, sext(v18) dst_sel:DWORD dst_unused:UNUSED_PAD src0_sel:BYTE_0 src1_sel:BYTE_0
	v_cmp_eq_u16_e32 vcc_lo, 0, v26
	v_sub_nc_u32_e32 v26, 0, v25
	v_cndmask_b32_e32 v25, v26, v25, vcc_lo
	v_mul_i32_i24_sdwa v26, v22, sext(v18) dst_sel:DWORD dst_unused:UNUSED_PAD src0_sel:BYTE_1 src1_sel:BYTE_1
	v_cmp_eq_u16_e32 vcc_lo, 0, v27
	v_sub_nc_u32_e32 v27, 0, v26
	v_cndmask_b32_e32 v26, v27, v26, vcc_lo
	v_and_b32_e32 v27, 4, v24
	v_add_nc_u32_e32 v25, v26, v25
	v_mul_i32_i24_sdwa v26, v22, sext(v18) dst_sel:DWORD dst_unused:UNUSED_PAD src0_sel:BYTE_2 src1_sel:BYTE_2
	v_cmp_eq_u16_e32 vcc_lo, 0, v27
	v_mul_i32_i24_sdwa v18, v22, sext(v18) dst_sel:DWORD dst_unused:UNUSED_PAD src0_sel:BYTE_3 src1_sel:BYTE_3
	v_and_b32_e32 v22, 8, v24
	v_sub_nc_u32_e32 v27, 0, v26
	v_cndmask_b32_e32 v26, v27, v26, vcc_lo
	v_cmp_eq_u16_e32 vcc_lo, 0, v22
	v_sub_nc_u32_e32 v22, 0, v18
	v_cndmask_b32_e32 v18, v22, v18, vcc_lo
	v_mul_i32_i24_sdwa v22, v23, sext(v19) dst_sel:DWORD dst_unused:UNUSED_PAD src0_sel:BYTE_0 src1_sel:BYTE_0
	v_add3_u32 v18, v25, v26, v18
	v_and_b32_e32 v25, 16, v24
	v_and_b32_e32 v26, 32, v24
	v_cmp_eq_u16_e32 vcc_lo, 0, v25
	v_sub_nc_u32_e32 v25, 0, v22
	v_cndmask_b32_e32 v22, v25, v22, vcc_lo
	v_mul_i32_i24_sdwa v25, v23, sext(v19) dst_sel:DWORD dst_unused:UNUSED_PAD src0_sel:BYTE_1 src1_sel:BYTE_1
	v_cmp_eq_u16_e32 vcc_lo, 0, v26
	v_sub_nc_u32_e32 v26, 0, v25
	v_cndmask_b32_e32 v25, v26, v25, vcc_lo
	v_cmp_gt_i16_e32 vcc_lo, 0, v8
	v_add3_u32 v18, v18, v22, v25
	v_mul_i32_i24_sdwa v22, v23, sext(v19) dst_sel:DWORD dst_unused:UNUSED_PAD src0_sel:BYTE_2 src1_sel:BYTE_2
	v_mul_i32_i24_sdwa v19, v23, sext(v19) dst_sel:DWORD dst_unused:UNUSED_PAD src0_sel:BYTE_3 src1_sel:BYTE_3
	v_sub_nc_u32_e32 v25, 0, v22
	v_sub_nc_u32_e32 v23, 0, v19
	v_cndmask_b32_e32 v22, v22, v25, vcc_lo
	v_cmp_gt_i16_e32 vcc_lo, 0, v24
	v_cndmask_b32_e32 v19, v19, v23, vcc_lo
	v_add3_u32 v24, v18, v22, v19
	v_lshrrev_b32_e32 v18, 13, v8
	v_lshrrev_b32_e32 v19, 25, v8
	v_and_b32_e32 v18, 0xff8, v18
	global_load_sbyte v22, v19, s[10:11]
	global_load_dwordx2 v[18:19], v18, s[4:5]
	s_waitcnt vmcnt(1)
	v_and_b32_e32 v25, 1, v22
	s_waitcnt vmcnt(0)
	v_mul_i32_i24_sdwa v23, v18, sext(v20) dst_sel:DWORD dst_unused:UNUSED_PAD src0_sel:BYTE_0 src1_sel:BYTE_0
	v_and_b32_e32 v26, 2, v22
	v_and_b32_e32 v27, 4, v22
	v_cmp_eq_u16_e32 vcc_lo, 0, v25
	v_sub_nc_u32_e32 v25, 0, v23
	v_cndmask_b32_e32 v25, v25, v23, vcc_lo
	v_mul_i32_i24_sdwa v23, v18, sext(v20) dst_sel:DWORD dst_unused:UNUSED_PAD src0_sel:BYTE_1 src1_sel:BYTE_1
	v_cmp_eq_u16_e32 vcc_lo, 0, v26
	v_sub_nc_u32_e32 v26, 0, v23
	v_cndmask_b32_e32 v26, v26, v23, vcc_lo
	v_mul_i32_i24_sdwa v23, v18, sext(v20) dst_sel:DWORD dst_unused:UNUSED_PAD src0_sel:BYTE_2 src1_sel:BYTE_2
	v_cmp_eq_u16_e32 vcc_lo, 0, v27
	v_mul_i32_i24_sdwa v18, v18, sext(v20) dst_sel:DWORD dst_unused:UNUSED_PAD src0_sel:BYTE_3 src1_sel:BYTE_3
	v_and_b32_e32 v20, 8, v22
	v_sub_nc_u32_e32 v27, 0, v23
	v_cndmask_b32_e32 v27, v27, v23, vcc_lo
	v_cmp_eq_u16_e32 vcc_lo, 0, v20
	v_sub_nc_u32_e32 v20, 0, v18
	v_cndmask_b32_e32 v28, v20, v18, vcc_lo
	v_mul_i32_i24_sdwa v18, v19, sext(v21) dst_sel:DWORD dst_unused:UNUSED_PAD src0_sel:BYTE_0 src1_sel:BYTE_0
	v_and_b32_e32 v20, 16, v22
	v_cmp_eq_u16_e32 vcc_lo, 0, v20
	v_sub_nc_u32_e32 v20, 0, v18
	v_cndmask_b32_e32 v29, v20, v18, vcc_lo
	v_mul_i32_i24_sdwa v18, v19, sext(v21) dst_sel:DWORD dst_unused:UNUSED_PAD src0_sel:BYTE_1 src1_sel:BYTE_1
	v_and_b32_e32 v20, 32, v22
	v_cmp_eq_u16_e32 vcc_lo, 0, v20
	v_sub_nc_u32_e32 v20, 0, v18
	v_cndmask_b32_e32 v30, v20, v18, vcc_lo
	v_mul_i32_i24_sdwa v18, v19, sext(v21) dst_sel:DWORD dst_unused:UNUSED_PAD src0_sel:BYTE_2 src1_sel:BYTE_2
	v_cmp_lt_i16_sdwa vcc_lo, v8, v14 src0_sel:WORD_1 src1_sel:DWORD
	v_mul_i32_i24_sdwa v8, v19, sext(v21) dst_sel:DWORD dst_unused:UNUSED_PAD src0_sel:BYTE_3 src1_sel:BYTE_3
	v_sub_nc_u32_e32 v20, 0, v18
	v_cndmask_b32_e32 v31, v18, v20, vcc_lo
	v_sub_nc_u32_e32 v18, 0, v8
	v_cmp_gt_i16_e32 vcc_lo, 0, v22
	v_cndmask_b32_e32 v32, v8, v18, vcc_lo
	v_and_b32_e32 v8, 0x1ff, v9
	v_bfe_u32 v18, v9, 9, 7
	v_lshlrev_b32_e32 v8, 3, v8
	global_load_sbyte v33, v18, s[10:11]
	global_load_dwordx4 v[18:21], v[4:5], off offset:20
	global_load_dwordx2 v[22:23], v8, s[4:5]
	s_waitcnt vmcnt(2)
	v_and_b32_e32 v34, 1, v33
	v_and_b32_e32 v35, 2, v33
	s_waitcnt vmcnt(0)
	v_mul_i32_i24_sdwa v8, v22, sext(v18) dst_sel:DWORD dst_unused:UNUSED_PAD src0_sel:BYTE_0 src1_sel:BYTE_0
	v_cmp_eq_u16_e32 vcc_lo, 0, v34
	v_sub_nc_u32_e32 v34, 0, v8
	v_cndmask_b32_e32 v8, v34, v8, vcc_lo
	v_mul_i32_i24_sdwa v34, v22, sext(v18) dst_sel:DWORD dst_unused:UNUSED_PAD src0_sel:BYTE_1 src1_sel:BYTE_1
	v_cmp_eq_u16_e32 vcc_lo, 0, v35
	v_sub_nc_u32_e32 v35, 0, v34
	v_cndmask_b32_e32 v34, v35, v34, vcc_lo
	v_and_b32_e32 v35, 4, v33
	v_add_nc_u32_e32 v8, v34, v8
	v_mul_i32_i24_sdwa v34, v22, sext(v18) dst_sel:DWORD dst_unused:UNUSED_PAD src0_sel:BYTE_2 src1_sel:BYTE_2
	v_cmp_eq_u16_e32 vcc_lo, 0, v35
	v_mul_i32_i24_sdwa v18, v22, sext(v18) dst_sel:DWORD dst_unused:UNUSED_PAD src0_sel:BYTE_3 src1_sel:BYTE_3
	v_and_b32_e32 v22, 8, v33
	v_sub_nc_u32_e32 v35, 0, v34
	v_cndmask_b32_e32 v34, v35, v34, vcc_lo
	v_cmp_eq_u16_e32 vcc_lo, 0, v22
	v_sub_nc_u32_e32 v22, 0, v18
	v_cndmask_b32_e32 v18, v22, v18, vcc_lo
	v_and_b32_e32 v22, 16, v33
	v_add3_u32 v8, v8, v34, v18
	v_mul_i32_i24_sdwa v18, v23, sext(v19) dst_sel:DWORD dst_unused:UNUSED_PAD src0_sel:BYTE_0 src1_sel:BYTE_0
	v_cmp_eq_u16_e32 vcc_lo, 0, v22
	v_and_b32_e32 v34, 32, v33
	v_sub_nc_u32_e32 v22, 0, v18
	v_cndmask_b32_e32 v18, v22, v18, vcc_lo
	v_mul_i32_i24_sdwa v22, v23, sext(v19) dst_sel:DWORD dst_unused:UNUSED_PAD src0_sel:BYTE_1 src1_sel:BYTE_1
	v_cmp_eq_u16_e32 vcc_lo, 0, v34
	v_sub_nc_u32_e32 v34, 0, v22
	v_cndmask_b32_e32 v22, v34, v22, vcc_lo
	v_cmp_gt_i16_e32 vcc_lo, 0, v9
	v_add3_u32 v8, v8, v18, v22
	v_mul_i32_i24_sdwa v18, v23, sext(v19) dst_sel:DWORD dst_unused:UNUSED_PAD src0_sel:BYTE_2 src1_sel:BYTE_2
	v_mul_i32_i24_sdwa v19, v23, sext(v19) dst_sel:DWORD dst_unused:UNUSED_PAD src0_sel:BYTE_3 src1_sel:BYTE_3
	v_sub_nc_u32_e32 v22, 0, v18
	v_cndmask_b32_e32 v18, v18, v22, vcc_lo
	v_sub_nc_u32_e32 v22, 0, v19
	v_cmp_gt_i16_e32 vcc_lo, 0, v33
	v_cndmask_b32_e32 v19, v19, v22, vcc_lo
	v_add3_u32 v8, v8, v18, v19
	v_lshrrev_b32_e32 v18, 13, v9
	v_lshrrev_b32_e32 v19, 25, v9
	v_and_b32_e32 v18, 0xff8, v18
	global_load_sbyte v22, v19, s[10:11]
	global_load_dwordx2 v[18:19], v18, s[4:5]
	global_load_ushort v6, v[6:7], off
	global_load_ushort v4, v[4:5], off
	s_waitcnt vmcnt(3)
	v_and_b32_e32 v33, 1, v22
	s_waitcnt vmcnt(2)
	v_mul_i32_i24_sdwa v23, v18, sext(v20) dst_sel:DWORD dst_unused:UNUSED_PAD src0_sel:BYTE_0 src1_sel:BYTE_0
	v_and_b32_e32 v34, 2, v22
	s_waitcnt vmcnt(1)
	v_cvt_f32_f16_e32 v6, v6
	s_waitcnt vmcnt(0)
	v_cvt_f32_f16_e32 v4, v4
	v_cmp_eq_u16_e32 vcc_lo, 0, v33
	v_sub_nc_u32_e32 v33, 0, v23
	v_mul_f32_e32 v4, v6, v4
	v_cndmask_b32_e32 v23, v33, v23, vcc_lo
	v_mul_i32_i24_sdwa v33, v18, sext(v20) dst_sel:DWORD dst_unused:UNUSED_PAD src0_sel:BYTE_1 src1_sel:BYTE_1
	v_cmp_eq_u16_e32 vcc_lo, 0, v34
	v_mul_f32_e32 v4, 0x3e800000, v4
	v_sub_nc_u32_e32 v34, 0, v33
	v_cndmask_b32_e32 v33, v34, v33, vcc_lo
	v_add3_u32 v8, v8, v23, v33
	v_mul_i32_i24_sdwa v23, v18, sext(v20) dst_sel:DWORD dst_unused:UNUSED_PAD src0_sel:BYTE_2 src1_sel:BYTE_2
	v_and_b32_e32 v33, 4, v22
	v_mul_i32_i24_sdwa v18, v18, sext(v20) dst_sel:DWORD dst_unused:UNUSED_PAD src0_sel:BYTE_3 src1_sel:BYTE_3
	v_and_b32_e32 v20, 8, v22
	v_cmp_eq_u16_e32 vcc_lo, 0, v33
	v_sub_nc_u32_e32 v33, 0, v23
	v_cndmask_b32_e32 v23, v33, v23, vcc_lo
	v_cmp_eq_u16_e32 vcc_lo, 0, v20
	v_sub_nc_u32_e32 v20, 0, v18
	v_cndmask_b32_e32 v18, v20, v18, vcc_lo
	v_and_b32_e32 v20, 16, v22
	v_add3_u32 v8, v8, v23, v18
	v_mul_i32_i24_sdwa v18, v19, sext(v21) dst_sel:DWORD dst_unused:UNUSED_PAD src0_sel:BYTE_0 src1_sel:BYTE_0
	v_cmp_eq_u16_e32 vcc_lo, 0, v20
	v_and_b32_e32 v23, 32, v22
	v_sub_nc_u32_e32 v20, 0, v18
	v_cndmask_b32_e32 v18, v20, v18, vcc_lo
	v_mul_i32_i24_sdwa v20, v19, sext(v21) dst_sel:DWORD dst_unused:UNUSED_PAD src0_sel:BYTE_1 src1_sel:BYTE_1
	v_cmp_eq_u16_e32 vcc_lo, 0, v23
	v_sub_nc_u32_e32 v23, 0, v20
	v_cndmask_b32_e32 v20, v23, v20, vcc_lo
	v_cmp_lt_i16_sdwa vcc_lo, v9, v14 src0_sel:WORD_1 src1_sel:DWORD
	v_add3_u32 v8, v8, v18, v20
	v_mul_i32_i24_sdwa v18, v19, sext(v21) dst_sel:DWORD dst_unused:UNUSED_PAD src0_sel:BYTE_2 src1_sel:BYTE_2
	v_sub_nc_u32_e32 v20, 0, v18
	v_cndmask_b32_e32 v9, v18, v20, vcc_lo
	v_mul_i32_i24_sdwa v18, v19, sext(v21) dst_sel:DWORD dst_unused:UNUSED_PAD src0_sel:BYTE_3 src1_sel:BYTE_3
	v_cmp_gt_i16_e32 vcc_lo, 0, v22
	v_sub_nc_u32_e32 v19, 0, v18
	v_cndmask_b32_e32 v18, v18, v19, vcc_lo
	v_cmp_le_u32_e32 vcc_lo, s12, v10
	v_add3_u32 v8, v8, v9, v18
	v_add3_u32 v9, v24, v25, v26
	s_or_b32 s0, vcc_lo, s0
	v_cvt_f32_i32_e32 v8, v8
	v_add3_u32 v9, v9, v27, v28
	v_add3_u32 v9, v9, v29, v30
	;; [unrolled: 1-line block ×3, first 2 shown]
	v_lshrrev_b16 v9, 4, v17
	v_and_b32_e32 v17, 15, v17
	v_cvt_f32_i32_e32 v6, v18
	v_cvt_f32_ubyte0_e32 v7, v9
	v_cvt_f32_ubyte0_e32 v5, v17
	v_add_f32_e32 v7, 0.5, v7
	v_add_f32_e32 v5, 0.5, v5
	v_mul_f32_e32 v7, v7, v8
	v_fmac_f32_e32 v7, v5, v6
	v_fmac_f32_e32 v11, v4, v7
	s_andn2_b32 exec_lo, exec_lo, s0
	s_cbranch_execnz .LBB109_3
; %bb.4:
	s_or_b32 exec_lo, exec_lo, s0
.LBB109_5:
	s_or_b32 exec_lo, exec_lo, s6
	v_mbcnt_lo_u32_b32 v2, -1, 0
	v_xor_b32_e32 v3, 16, v2
	v_xor_b32_e32 v4, 8, v2
	v_xor_b32_e32 v5, 4, v2
	v_cmp_gt_i32_e32 vcc_lo, 32, v3
	v_cndmask_b32_e32 v3, v2, v3, vcc_lo
	v_cmp_gt_i32_e32 vcc_lo, 32, v4
	v_lshlrev_b32_e32 v3, 2, v3
	v_cndmask_b32_e32 v4, v2, v4, vcc_lo
	v_cmp_gt_i32_e32 vcc_lo, 32, v5
	ds_bpermute_b32 v3, v3, v11
	v_lshlrev_b32_e32 v4, 2, v4
	v_cndmask_b32_e32 v5, v2, v5, vcc_lo
	v_lshlrev_b32_e32 v5, 2, v5
	s_waitcnt lgkmcnt(0)
	v_add_f32_e32 v3, v11, v3
	ds_bpermute_b32 v4, v4, v3
	s_waitcnt lgkmcnt(0)
	v_add_f32_e32 v3, v3, v4
	ds_bpermute_b32 v4, v5, v3
	v_xor_b32_e32 v5, 2, v2
	v_cmp_gt_i32_e32 vcc_lo, 32, v5
	v_cndmask_b32_e32 v5, v2, v5, vcc_lo
	v_lshlrev_b32_e32 v5, 2, v5
	s_waitcnt lgkmcnt(0)
	v_add_f32_e32 v3, v3, v4
	ds_bpermute_b32 v4, v5, v3
	v_xor_b32_e32 v5, 1, v2
	v_cmp_gt_i32_e32 vcc_lo, 32, v5
	v_cndmask_b32_e32 v5, v2, v5, vcc_lo
	v_cmp_eq_u32_e32 vcc_lo, 0, v0
	s_waitcnt lgkmcnt(0)
	v_add_f32_e32 v2, v3, v4
	v_lshlrev_b32_e32 v3, 2, v5
	ds_bpermute_b32 v3, v3, v2
	s_and_b32 exec_lo, exec_lo, vcc_lo
	s_cbranch_execz .LBB109_7
; %bb.6:
	s_waitcnt lgkmcnt(0)
	v_add_f32_e32 v2, v2, v3
	v_mov_b32_e32 v4, 0x7fc0
	v_mad_u64_u32 v[0:1], null, s1, s7, v[1:2]
	v_mov_b32_e32 v1, 0
	v_bfe_u32 v3, v2, 16, 1
	v_cmp_o_f32_e32 vcc_lo, v2, v2
	v_add3_u32 v2, v2, v3, 0x7fff
	v_lshlrev_b64 v[0:1], 1, v[0:1]
	v_cndmask_b32_sdwa v2, v4, v2, vcc_lo dst_sel:DWORD dst_unused:UNUSED_PAD src0_sel:DWORD src1_sel:WORD_1
	v_add_co_u32 v0, vcc_lo, s2, v0
	v_add_co_ci_u32_e64 v1, null, s3, v1, vcc_lo
	global_store_short v[0:1], v2, off
.LBB109_7:
	s_endpgm
	.section	.rodata,"a",@progbits
	.p2align	6, 0x0
	.amdhsa_kernel _ZL13mul_mat_vec_qIN3c108BFloat16ELi256ELi8E12block_iq2_xsLi1EXadL_ZL19vec_dot_iq2_xs_q8_1PKvPK10block_q8_1RKiEEEvS4_S4_PT_iii
		.amdhsa_group_segment_fixed_size 0
		.amdhsa_private_segment_fixed_size 0
		.amdhsa_kernarg_size 296
		.amdhsa_user_sgpr_count 6
		.amdhsa_user_sgpr_private_segment_buffer 1
		.amdhsa_user_sgpr_dispatch_ptr 0
		.amdhsa_user_sgpr_queue_ptr 0
		.amdhsa_user_sgpr_kernarg_segment_ptr 1
		.amdhsa_user_sgpr_dispatch_id 0
		.amdhsa_user_sgpr_flat_scratch_init 0
		.amdhsa_user_sgpr_private_segment_size 0
		.amdhsa_wavefront_size32 1
		.amdhsa_uses_dynamic_stack 0
		.amdhsa_system_sgpr_private_segment_wavefront_offset 0
		.amdhsa_system_sgpr_workgroup_id_x 1
		.amdhsa_system_sgpr_workgroup_id_y 1
		.amdhsa_system_sgpr_workgroup_id_z 0
		.amdhsa_system_sgpr_workgroup_info 0
		.amdhsa_system_vgpr_workitem_id 1
		.amdhsa_next_free_vgpr 36
		.amdhsa_next_free_sgpr 13
		.amdhsa_reserve_vcc 1
		.amdhsa_reserve_flat_scratch 0
		.amdhsa_float_round_mode_32 0
		.amdhsa_float_round_mode_16_64 0
		.amdhsa_float_denorm_mode_32 3
		.amdhsa_float_denorm_mode_16_64 3
		.amdhsa_dx10_clamp 1
		.amdhsa_ieee_mode 1
		.amdhsa_fp16_overflow 0
		.amdhsa_workgroup_processor_mode 1
		.amdhsa_memory_ordered 1
		.amdhsa_forward_progress 1
		.amdhsa_shared_vgpr_count 0
		.amdhsa_exception_fp_ieee_invalid_op 0
		.amdhsa_exception_fp_denorm_src 0
		.amdhsa_exception_fp_ieee_div_zero 0
		.amdhsa_exception_fp_ieee_overflow 0
		.amdhsa_exception_fp_ieee_underflow 0
		.amdhsa_exception_fp_ieee_inexact 0
		.amdhsa_exception_int_div_zero 0
	.end_amdhsa_kernel
	.section	.text._ZL13mul_mat_vec_qIN3c108BFloat16ELi256ELi8E12block_iq2_xsLi1EXadL_ZL19vec_dot_iq2_xs_q8_1PKvPK10block_q8_1RKiEEEvS4_S4_PT_iii,"axG",@progbits,_ZL13mul_mat_vec_qIN3c108BFloat16ELi256ELi8E12block_iq2_xsLi1EXadL_ZL19vec_dot_iq2_xs_q8_1PKvPK10block_q8_1RKiEEEvS4_S4_PT_iii,comdat
.Lfunc_end109:
	.size	_ZL13mul_mat_vec_qIN3c108BFloat16ELi256ELi8E12block_iq2_xsLi1EXadL_ZL19vec_dot_iq2_xs_q8_1PKvPK10block_q8_1RKiEEEvS4_S4_PT_iii, .Lfunc_end109-_ZL13mul_mat_vec_qIN3c108BFloat16ELi256ELi8E12block_iq2_xsLi1EXadL_ZL19vec_dot_iq2_xs_q8_1PKvPK10block_q8_1RKiEEEvS4_S4_PT_iii
                                        ; -- End function
	.set _ZL13mul_mat_vec_qIN3c108BFloat16ELi256ELi8E12block_iq2_xsLi1EXadL_ZL19vec_dot_iq2_xs_q8_1PKvPK10block_q8_1RKiEEEvS4_S4_PT_iii.num_vgpr, 36
	.set _ZL13mul_mat_vec_qIN3c108BFloat16ELi256ELi8E12block_iq2_xsLi1EXadL_ZL19vec_dot_iq2_xs_q8_1PKvPK10block_q8_1RKiEEEvS4_S4_PT_iii.num_agpr, 0
	.set _ZL13mul_mat_vec_qIN3c108BFloat16ELi256ELi8E12block_iq2_xsLi1EXadL_ZL19vec_dot_iq2_xs_q8_1PKvPK10block_q8_1RKiEEEvS4_S4_PT_iii.numbered_sgpr, 13
	.set _ZL13mul_mat_vec_qIN3c108BFloat16ELi256ELi8E12block_iq2_xsLi1EXadL_ZL19vec_dot_iq2_xs_q8_1PKvPK10block_q8_1RKiEEEvS4_S4_PT_iii.num_named_barrier, 0
	.set _ZL13mul_mat_vec_qIN3c108BFloat16ELi256ELi8E12block_iq2_xsLi1EXadL_ZL19vec_dot_iq2_xs_q8_1PKvPK10block_q8_1RKiEEEvS4_S4_PT_iii.private_seg_size, 0
	.set _ZL13mul_mat_vec_qIN3c108BFloat16ELi256ELi8E12block_iq2_xsLi1EXadL_ZL19vec_dot_iq2_xs_q8_1PKvPK10block_q8_1RKiEEEvS4_S4_PT_iii.uses_vcc, 1
	.set _ZL13mul_mat_vec_qIN3c108BFloat16ELi256ELi8E12block_iq2_xsLi1EXadL_ZL19vec_dot_iq2_xs_q8_1PKvPK10block_q8_1RKiEEEvS4_S4_PT_iii.uses_flat_scratch, 0
	.set _ZL13mul_mat_vec_qIN3c108BFloat16ELi256ELi8E12block_iq2_xsLi1EXadL_ZL19vec_dot_iq2_xs_q8_1PKvPK10block_q8_1RKiEEEvS4_S4_PT_iii.has_dyn_sized_stack, 0
	.set _ZL13mul_mat_vec_qIN3c108BFloat16ELi256ELi8E12block_iq2_xsLi1EXadL_ZL19vec_dot_iq2_xs_q8_1PKvPK10block_q8_1RKiEEEvS4_S4_PT_iii.has_recursion, 0
	.set _ZL13mul_mat_vec_qIN3c108BFloat16ELi256ELi8E12block_iq2_xsLi1EXadL_ZL19vec_dot_iq2_xs_q8_1PKvPK10block_q8_1RKiEEEvS4_S4_PT_iii.has_indirect_call, 0
	.section	.AMDGPU.csdata,"",@progbits
; Kernel info:
; codeLenInByte = 1756
; TotalNumSgprs: 15
; NumVgprs: 36
; ScratchSize: 0
; MemoryBound: 0
; FloatMode: 240
; IeeeMode: 1
; LDSByteSize: 0 bytes/workgroup (compile time only)
; SGPRBlocks: 0
; VGPRBlocks: 4
; NumSGPRsForWavesPerEU: 15
; NumVGPRsForWavesPerEU: 36
; Occupancy: 16
; WaveLimiterHint : 0
; COMPUTE_PGM_RSRC2:SCRATCH_EN: 0
; COMPUTE_PGM_RSRC2:USER_SGPR: 6
; COMPUTE_PGM_RSRC2:TRAP_HANDLER: 0
; COMPUTE_PGM_RSRC2:TGID_X_EN: 1
; COMPUTE_PGM_RSRC2:TGID_Y_EN: 1
; COMPUTE_PGM_RSRC2:TGID_Z_EN: 0
; COMPUTE_PGM_RSRC2:TIDIG_COMP_CNT: 1
	.section	.text._ZL13mul_mat_vec_qIN3c108BFloat16ELi256ELi8E13block_iq3_xxsLi1EXadL_ZL20vec_dot_iq3_xxs_q8_1PKvPK10block_q8_1RKiEEEvS4_S4_PT_iii,"axG",@progbits,_ZL13mul_mat_vec_qIN3c108BFloat16ELi256ELi8E13block_iq3_xxsLi1EXadL_ZL20vec_dot_iq3_xxs_q8_1PKvPK10block_q8_1RKiEEEvS4_S4_PT_iii,comdat
	.globl	_ZL13mul_mat_vec_qIN3c108BFloat16ELi256ELi8E13block_iq3_xxsLi1EXadL_ZL20vec_dot_iq3_xxs_q8_1PKvPK10block_q8_1RKiEEEvS4_S4_PT_iii ; -- Begin function _ZL13mul_mat_vec_qIN3c108BFloat16ELi256ELi8E13block_iq3_xxsLi1EXadL_ZL20vec_dot_iq3_xxs_q8_1PKvPK10block_q8_1RKiEEEvS4_S4_PT_iii
	.p2align	8
	.type	_ZL13mul_mat_vec_qIN3c108BFloat16ELi256ELi8E13block_iq3_xxsLi1EXadL_ZL20vec_dot_iq3_xxs_q8_1PKvPK10block_q8_1RKiEEEvS4_S4_PT_iii,@function
_ZL13mul_mat_vec_qIN3c108BFloat16ELi256ELi8E13block_iq3_xxsLi1EXadL_ZL20vec_dot_iq3_xxs_q8_1PKvPK10block_q8_1RKiEEEvS4_S4_PT_iii: ; @_ZL13mul_mat_vec_qIN3c108BFloat16ELi256ELi8E13block_iq3_xxsLi1EXadL_ZL20vec_dot_iq3_xxs_q8_1PKvPK10block_q8_1RKiEEEvS4_S4_PT_iii
; %bb.0:
	s_clause 0x1
	s_load_dword s8, s[4:5], 0x34
	s_load_dwordx4 s[0:3], s[4:5], 0x18
	s_waitcnt lgkmcnt(0)
	s_lshr_b32 s3, s8, 16
	s_cmp_lt_u32 s7, s2
	v_mad_u64_u32 v[5:6], null, s6, s3, v[1:2]
	s_cselect_b32 s2, -1, 0
	v_cmp_gt_u32_e32 vcc_lo, s1, v5
	s_and_b32 s2, s2, vcc_lo
	s_and_saveexec_b32 s3, s2
	s_cbranch_execz .LBB110_7
; %bb.1:
	s_load_dwordx2 s[2:3], s[4:5], 0x10
	s_ashr_i32 s6, s0, 31
	v_lshrrev_b32_e32 v8, 3, v0
	s_lshr_b32 s6, s6, 24
	v_mov_b32_e32 v9, 0
	s_add_i32 s6, s0, s6
	s_ashr_i32 s12, s6, 8
	s_mov_b32 s6, exec_lo
	v_cmpx_gt_u32_e64 s12, v8
	s_cbranch_execz .LBB110_5
; %bb.2:
	s_load_dwordx4 s[8:11], s[4:5], 0x0
	s_addk_i32 s0, 0x1ff
	v_and_b32_e32 v1, 7, v0
	s_ashr_i32 s4, s0, 31
	v_lshlrev_b32_e32 v2, 3, v8
	s_lshr_b32 s4, s4, 23
	v_mul_lo_u32 v10, v5, s12
	s_add_i32 s0, s0, s4
	v_lshlrev_b32_e32 v3, 1, v1
	s_ashr_i32 s0, s0, 9
	v_lshlrev_b32_e32 v11, 3, v1
	s_mul_i32 s0, s7, s0
	v_mov_b32_e32 v9, 0
	v_lshl_add_u32 v12, s0, 4, v2
	v_lshlrev_b32_e32 v13, 1, v3
	v_mov_b32_e32 v14, 2
	s_mov_b32 s0, 0
	s_getpc_b64 s[4:5]
	s_add_u32 s4, s4, _ZL11iq3xxs_grid@rel32@lo+4
	s_addc_u32 s5, s5, _ZL11iq3xxs_grid@rel32@hi+12
	s_waitcnt lgkmcnt(0)
	v_mad_u64_u32 v[6:7], null, v1, 36, s[10:11]
.LBB110_3:                              ; =>This Inner Loop Header: Depth=1
	v_add_nc_u32_e32 v1, v10, v8
	v_mad_i64_i32 v[23:24], null, v12, 36, v[6:7]
	s_getpc_b64 s[10:11]
	s_add_u32 s10, s10, _ZL8ksigns64@rel32@lo+4
	s_addc_u32 s11, s11, _ZL8ksigns64@rel32@hi+12
	v_add_nc_u32_e32 v8, 4, v8
	v_mad_i64_i32 v[19:20], null, 0x62, v1, s[8:9]
	v_add_nc_u32_e32 v12, 32, v12
	v_add_co_u32 v1, vcc_lo, v19, v13
	v_add_co_ci_u32_e64 v2, null, 0, v20, vcc_lo
	v_add_co_u32 v3, vcc_lo, v19, v11
	v_add_co_ci_u32_e64 v4, null, 0, v20, vcc_lo
	s_clause 0x1
	global_load_dword v29, v[1:2], off offset:66
	global_load_dwordx2 v[21:22], v[3:4], off offset:2
	s_clause 0x1
	global_load_dwordx4 v[15:18], v[23:24], off
	global_load_dwordx4 v[1:4], v[23:24], off offset:16
	global_load_ushort v30, v[19:20], off
	v_cmp_le_u32_e32 vcc_lo, s12, v8
	s_or_b32 s0, vcc_lo, s0
	s_waitcnt vmcnt(4)
	v_and_b32_e32 v25, 0x7f, v29
	s_waitcnt vmcnt(3)
	v_lshlrev_b32_sdwa v19, v14, v21 dst_sel:DWORD dst_unused:UNUSED_PAD src0_sel:DWORD src1_sel:BYTE_0
	v_lshlrev_b32_sdwa v20, v14, v21 dst_sel:DWORD dst_unused:UNUSED_PAD src0_sel:DWORD src1_sel:BYTE_1
	v_lshrrev_b32_e32 v27, 4, v29
	v_lshlrev_b32_sdwa v26, v14, v21 dst_sel:DWORD dst_unused:UNUSED_PAD src0_sel:DWORD src1_sel:BYTE_2
	v_lshrrev_b32_e32 v32, 11, v29
	v_lshlrev_b32_sdwa v21, v14, v21 dst_sel:DWORD dst_unused:UNUSED_PAD src0_sel:DWORD src1_sel:BYTE_3
	v_lshlrev_b32_sdwa v28, v14, v22 dst_sel:DWORD dst_unused:UNUSED_PAD src0_sel:DWORD src1_sel:BYTE_0
	v_lshlrev_b32_sdwa v31, v14, v22 dst_sel:DWORD dst_unused:UNUSED_PAD src0_sel:DWORD src1_sel:BYTE_1
	v_lshlrev_b32_sdwa v33, v14, v22 dst_sel:DWORD dst_unused:UNUSED_PAD src0_sel:DWORD src1_sel:BYTE_2
	v_lshlrev_b32_sdwa v34, v14, v22 dst_sel:DWORD dst_unused:UNUSED_PAD src0_sel:DWORD src1_sel:BYTE_3
	v_lshrrev_b32_e32 v22, 18, v29
	v_lshlrev_b32_e32 v25, 3, v25
	s_clause 0x1
	global_load_dword v35, v19, s[4:5]
	global_load_dword v36, v20, s[4:5]
	v_and_b32_e32 v27, 0x3f8, v27
	s_clause 0x1
	global_load_dword v37, v26, s[4:5]
	global_load_dword v38, v21, s[4:5]
	v_and_b32_e32 v26, 0x3f8, v32
	;; [unrolled: 4-line block ×3, first 2 shown]
	global_load_dword v33, v33, s[4:5]
	s_clause 0x3
	global_load_dwordx2 v[19:20], v25, s[10:11]
	global_load_dwordx2 v[21:22], v27, s[10:11]
	;; [unrolled: 1-line block ×4, first 2 shown]
	global_load_dword v34, v34, s[4:5]
	global_load_dword v23, v[23:24], off offset:32
	v_mov_b32_e32 v24, 0
	v_lshrrev_b32_e32 v29, 28, v29
	s_waitcnt vmcnt(13)
	v_cvt_f32_f16_e32 v30, v30
	v_cvt_f32_ubyte0_e32 v29, v29
	v_add_f32_e32 v29, 0.5, v29
	s_waitcnt vmcnt(5)
	v_and_b32_e32 v39, 0xff000000, v19
	v_xor_b32_e32 v35, v19, v35
	v_and_b32_e32 v40, 0xff0000, v19
	v_and_b32_e32 v41, 0xff00, v19
	v_xor_b32_e32 v36, v20, v36
	v_and_b32_e32 v42, 0xff000000, v20
	v_and_b32_e32 v43, 0xff0000, v20
	;; [unrolled: 1-line block ×3, first 2 shown]
	v_sub_nc_u32_e32 v39, v35, v39
	v_sub_nc_u32_e32 v40, v35, v40
	;; [unrolled: 1-line block ×4, first 2 shown]
	s_waitcnt vmcnt(4)
	v_xor_b32_e32 v37, v21, v37
	v_and_b32_e32 v45, 0xff000000, v21
	v_and_b32_e32 v46, 0xff0000, v21
	;; [unrolled: 1-line block ×3, first 2 shown]
	v_xor_b32_e32 v38, v22, v38
	v_and_b32_e32 v48, 0xff000000, v22
	v_and_b32_e32 v49, 0xff0000, v22
	;; [unrolled: 1-line block ×3, first 2 shown]
	s_waitcnt vmcnt(3)
	v_xor_b32_e32 v32, v25, v32
	v_and_b32_e32 v51, 0xff000000, v25
	v_and_b32_e32 v52, 0xff0000, v25
	;; [unrolled: 1-line block ×3, first 2 shown]
	v_xor_b32_e32 v31, v26, v31
	v_and_b32_e32 v54, 0xff000000, v26
	v_and_b32_e32 v55, 0xff0000, v26
	;; [unrolled: 1-line block ×3, first 2 shown]
	s_waitcnt vmcnt(2)
	v_xor_b32_e32 v33, v27, v33
	v_and_b32_e32 v57, 0xff000000, v27
	v_and_b32_e32 v58, 0xff0000, v27
	;; [unrolled: 1-line block ×3, first 2 shown]
	s_waitcnt vmcnt(1)
	v_xor_b32_e32 v34, v28, v34
	v_and_b32_e32 v60, 0xff000000, v28
	v_and_b32_e32 v61, 0xff0000, v28
	v_sub_nc_u32_e32 v20, v36, v20
	v_and_b32_e32 v35, 0xff00, v28
	v_sub_nc_u32_e32 v42, v36, v42
	v_sub_nc_u32_e32 v43, v36, v43
	;; [unrolled: 1-line block ×3, first 2 shown]
	v_and_b32_e32 v39, 0xff000000, v39
	v_and_b32_e32 v41, 0xff00, v41
	v_perm_b32 v19, v40, v19, 0xc060c00
	v_sub_nc_u32_e32 v44, v37, v45
	v_sub_nc_u32_e32 v45, v37, v46
	;; [unrolled: 1-line block ×24, first 2 shown]
	v_and_b32_e32 v34, 0xff000000, v42
	v_and_b32_e32 v36, 0xff00, v36
	v_perm_b32 v20, v43, v20, 0xc060c00
	v_or3_b32 v19, v19, v39, v41
	v_and_b32_e32 v39, 0xff000000, v44
	v_and_b32_e32 v40, 0xff00, v46
	v_perm_b32 v21, v45, v21, 0xc060c00
	v_or3_b32 v20, v20, v34, v36
	v_dot4c_i32_i8 v24, v19, v16
	v_and_b32_e32 v16, 0xff000000, v37
	v_and_b32_e32 v19, 0xff00, v48
	v_perm_b32 v22, v47, v22, 0xc060c00
	v_or3_b32 v21, v21, v39, v40
	v_dot4c_i32_i8 v24, v20, v17
	v_and_b32_e32 v17, 0xff000000, v38
	v_and_b32_e32 v20, 0xff00, v50
	v_perm_b32 v25, v49, v25, 0xc060c00
	v_or3_b32 v16, v22, v16, v19
	v_dot4c_i32_i8 v24, v21, v18
	v_and_b32_e32 v18, 0xff000000, v32
	v_and_b32_e32 v19, 0xff00, v52
	v_perm_b32 v21, v51, v26, 0xc060c00
	v_or3_b32 v17, v25, v17, v20
	v_dot4c_i32_i8 v24, v16, v1
	v_and_b32_e32 v1, 0xff000000, v31
	v_and_b32_e32 v16, 0xff00, v54
	v_perm_b32 v20, v53, v27, 0xc060c00
	v_or3_b32 v18, v21, v18, v19
	v_dot4c_i32_i8 v24, v17, v2
	v_and_b32_e32 v2, 0xff000000, v33
	v_and_b32_e32 v17, 0xff00, v35
	v_perm_b32 v19, v55, v28, 0xc060c00
	v_or3_b32 v1, v20, v1, v16
	v_dot4c_i32_i8 v24, v18, v3
	v_cvt_f32_f16_e32 v3, v15
	v_mul_f32_e32 v15, v29, v30
	v_or3_b32 v2, v19, v2, v17
	v_dot4c_i32_i8 v24, v1, v4
	v_mul_f32_e32 v1, v15, v3
	s_waitcnt vmcnt(0)
	v_dot4c_i32_i8 v24, v2, v23
	v_mul_f32_e32 v1, 0.5, v1
	v_cvt_f32_i32_e32 v2, v24
	v_fmac_f32_e32 v9, v1, v2
	s_andn2_b32 exec_lo, exec_lo, s0
	s_cbranch_execnz .LBB110_3
; %bb.4:
	s_or_b32 exec_lo, exec_lo, s0
.LBB110_5:
	s_or_b32 exec_lo, exec_lo, s6
	v_mbcnt_lo_u32_b32 v1, -1, 0
	v_xor_b32_e32 v2, 16, v1
	v_xor_b32_e32 v3, 8, v1
	;; [unrolled: 1-line block ×3, first 2 shown]
	v_cmp_gt_i32_e32 vcc_lo, 32, v2
	v_cndmask_b32_e32 v2, v1, v2, vcc_lo
	v_cmp_gt_i32_e32 vcc_lo, 32, v3
	v_lshlrev_b32_e32 v2, 2, v2
	v_cndmask_b32_e32 v3, v1, v3, vcc_lo
	v_cmp_gt_i32_e32 vcc_lo, 32, v4
	ds_bpermute_b32 v2, v2, v9
	v_lshlrev_b32_e32 v3, 2, v3
	v_cndmask_b32_e32 v4, v1, v4, vcc_lo
	v_lshlrev_b32_e32 v4, 2, v4
	s_waitcnt lgkmcnt(0)
	v_add_f32_e32 v2, v9, v2
	ds_bpermute_b32 v3, v3, v2
	s_waitcnt lgkmcnt(0)
	v_add_f32_e32 v2, v2, v3
	ds_bpermute_b32 v3, v4, v2
	v_xor_b32_e32 v4, 2, v1
	v_cmp_gt_i32_e32 vcc_lo, 32, v4
	v_cndmask_b32_e32 v4, v1, v4, vcc_lo
	v_lshlrev_b32_e32 v4, 2, v4
	s_waitcnt lgkmcnt(0)
	v_add_f32_e32 v2, v2, v3
	ds_bpermute_b32 v3, v4, v2
	v_xor_b32_e32 v4, 1, v1
	v_cmp_gt_i32_e32 vcc_lo, 32, v4
	v_cndmask_b32_e32 v4, v1, v4, vcc_lo
	v_cmp_eq_u32_e32 vcc_lo, 0, v0
	s_waitcnt lgkmcnt(0)
	v_add_f32_e32 v1, v2, v3
	v_lshlrev_b32_e32 v2, 2, v4
	ds_bpermute_b32 v2, v2, v1
	s_and_b32 exec_lo, exec_lo, vcc_lo
	s_cbranch_execz .LBB110_7
; %bb.6:
	s_waitcnt lgkmcnt(0)
	v_add_f32_e32 v2, v1, v2
	v_mad_u64_u32 v[0:1], null, s1, s7, v[5:6]
	v_mov_b32_e32 v1, 0
	v_mov_b32_e32 v4, 0x7fc0
	v_bfe_u32 v3, v2, 16, 1
	v_cmp_o_f32_e32 vcc_lo, v2, v2
	v_lshlrev_b64 v[0:1], 1, v[0:1]
	v_add3_u32 v2, v2, v3, 0x7fff
	v_cndmask_b32_sdwa v2, v4, v2, vcc_lo dst_sel:DWORD dst_unused:UNUSED_PAD src0_sel:DWORD src1_sel:WORD_1
	v_add_co_u32 v0, vcc_lo, s2, v0
	v_add_co_ci_u32_e64 v1, null, s3, v1, vcc_lo
	global_store_short v[0:1], v2, off
.LBB110_7:
	s_endpgm
	.section	.rodata,"a",@progbits
	.p2align	6, 0x0
	.amdhsa_kernel _ZL13mul_mat_vec_qIN3c108BFloat16ELi256ELi8E13block_iq3_xxsLi1EXadL_ZL20vec_dot_iq3_xxs_q8_1PKvPK10block_q8_1RKiEEEvS4_S4_PT_iii
		.amdhsa_group_segment_fixed_size 0
		.amdhsa_private_segment_fixed_size 0
		.amdhsa_kernarg_size 296
		.amdhsa_user_sgpr_count 6
		.amdhsa_user_sgpr_private_segment_buffer 1
		.amdhsa_user_sgpr_dispatch_ptr 0
		.amdhsa_user_sgpr_queue_ptr 0
		.amdhsa_user_sgpr_kernarg_segment_ptr 1
		.amdhsa_user_sgpr_dispatch_id 0
		.amdhsa_user_sgpr_flat_scratch_init 0
		.amdhsa_user_sgpr_private_segment_size 0
		.amdhsa_wavefront_size32 1
		.amdhsa_uses_dynamic_stack 0
		.amdhsa_system_sgpr_private_segment_wavefront_offset 0
		.amdhsa_system_sgpr_workgroup_id_x 1
		.amdhsa_system_sgpr_workgroup_id_y 1
		.amdhsa_system_sgpr_workgroup_id_z 0
		.amdhsa_system_sgpr_workgroup_info 0
		.amdhsa_system_vgpr_workitem_id 1
		.amdhsa_next_free_vgpr 62
		.amdhsa_next_free_sgpr 13
		.amdhsa_reserve_vcc 1
		.amdhsa_reserve_flat_scratch 0
		.amdhsa_float_round_mode_32 0
		.amdhsa_float_round_mode_16_64 0
		.amdhsa_float_denorm_mode_32 3
		.amdhsa_float_denorm_mode_16_64 3
		.amdhsa_dx10_clamp 1
		.amdhsa_ieee_mode 1
		.amdhsa_fp16_overflow 0
		.amdhsa_workgroup_processor_mode 1
		.amdhsa_memory_ordered 1
		.amdhsa_forward_progress 1
		.amdhsa_shared_vgpr_count 0
		.amdhsa_exception_fp_ieee_invalid_op 0
		.amdhsa_exception_fp_denorm_src 0
		.amdhsa_exception_fp_ieee_div_zero 0
		.amdhsa_exception_fp_ieee_overflow 0
		.amdhsa_exception_fp_ieee_underflow 0
		.amdhsa_exception_fp_ieee_inexact 0
		.amdhsa_exception_int_div_zero 0
	.end_amdhsa_kernel
	.section	.text._ZL13mul_mat_vec_qIN3c108BFloat16ELi256ELi8E13block_iq3_xxsLi1EXadL_ZL20vec_dot_iq3_xxs_q8_1PKvPK10block_q8_1RKiEEEvS4_S4_PT_iii,"axG",@progbits,_ZL13mul_mat_vec_qIN3c108BFloat16ELi256ELi8E13block_iq3_xxsLi1EXadL_ZL20vec_dot_iq3_xxs_q8_1PKvPK10block_q8_1RKiEEEvS4_S4_PT_iii,comdat
.Lfunc_end110:
	.size	_ZL13mul_mat_vec_qIN3c108BFloat16ELi256ELi8E13block_iq3_xxsLi1EXadL_ZL20vec_dot_iq3_xxs_q8_1PKvPK10block_q8_1RKiEEEvS4_S4_PT_iii, .Lfunc_end110-_ZL13mul_mat_vec_qIN3c108BFloat16ELi256ELi8E13block_iq3_xxsLi1EXadL_ZL20vec_dot_iq3_xxs_q8_1PKvPK10block_q8_1RKiEEEvS4_S4_PT_iii
                                        ; -- End function
	.set _ZL13mul_mat_vec_qIN3c108BFloat16ELi256ELi8E13block_iq3_xxsLi1EXadL_ZL20vec_dot_iq3_xxs_q8_1PKvPK10block_q8_1RKiEEEvS4_S4_PT_iii.num_vgpr, 62
	.set _ZL13mul_mat_vec_qIN3c108BFloat16ELi256ELi8E13block_iq3_xxsLi1EXadL_ZL20vec_dot_iq3_xxs_q8_1PKvPK10block_q8_1RKiEEEvS4_S4_PT_iii.num_agpr, 0
	.set _ZL13mul_mat_vec_qIN3c108BFloat16ELi256ELi8E13block_iq3_xxsLi1EXadL_ZL20vec_dot_iq3_xxs_q8_1PKvPK10block_q8_1RKiEEEvS4_S4_PT_iii.numbered_sgpr, 13
	.set _ZL13mul_mat_vec_qIN3c108BFloat16ELi256ELi8E13block_iq3_xxsLi1EXadL_ZL20vec_dot_iq3_xxs_q8_1PKvPK10block_q8_1RKiEEEvS4_S4_PT_iii.num_named_barrier, 0
	.set _ZL13mul_mat_vec_qIN3c108BFloat16ELi256ELi8E13block_iq3_xxsLi1EXadL_ZL20vec_dot_iq3_xxs_q8_1PKvPK10block_q8_1RKiEEEvS4_S4_PT_iii.private_seg_size, 0
	.set _ZL13mul_mat_vec_qIN3c108BFloat16ELi256ELi8E13block_iq3_xxsLi1EXadL_ZL20vec_dot_iq3_xxs_q8_1PKvPK10block_q8_1RKiEEEvS4_S4_PT_iii.uses_vcc, 1
	.set _ZL13mul_mat_vec_qIN3c108BFloat16ELi256ELi8E13block_iq3_xxsLi1EXadL_ZL20vec_dot_iq3_xxs_q8_1PKvPK10block_q8_1RKiEEEvS4_S4_PT_iii.uses_flat_scratch, 0
	.set _ZL13mul_mat_vec_qIN3c108BFloat16ELi256ELi8E13block_iq3_xxsLi1EXadL_ZL20vec_dot_iq3_xxs_q8_1PKvPK10block_q8_1RKiEEEvS4_S4_PT_iii.has_dyn_sized_stack, 0
	.set _ZL13mul_mat_vec_qIN3c108BFloat16ELi256ELi8E13block_iq3_xxsLi1EXadL_ZL20vec_dot_iq3_xxs_q8_1PKvPK10block_q8_1RKiEEEvS4_S4_PT_iii.has_recursion, 0
	.set _ZL13mul_mat_vec_qIN3c108BFloat16ELi256ELi8E13block_iq3_xxsLi1EXadL_ZL20vec_dot_iq3_xxs_q8_1PKvPK10block_q8_1RKiEEEvS4_S4_PT_iii.has_indirect_call, 0
	.section	.AMDGPU.csdata,"",@progbits
; Kernel info:
; codeLenInByte = 1628
; TotalNumSgprs: 15
; NumVgprs: 62
; ScratchSize: 0
; MemoryBound: 0
; FloatMode: 240
; IeeeMode: 1
; LDSByteSize: 0 bytes/workgroup (compile time only)
; SGPRBlocks: 0
; VGPRBlocks: 7
; NumSGPRsForWavesPerEU: 15
; NumVGPRsForWavesPerEU: 62
; Occupancy: 16
; WaveLimiterHint : 0
; COMPUTE_PGM_RSRC2:SCRATCH_EN: 0
; COMPUTE_PGM_RSRC2:USER_SGPR: 6
; COMPUTE_PGM_RSRC2:TRAP_HANDLER: 0
; COMPUTE_PGM_RSRC2:TGID_X_EN: 1
; COMPUTE_PGM_RSRC2:TGID_Y_EN: 1
; COMPUTE_PGM_RSRC2:TGID_Z_EN: 0
; COMPUTE_PGM_RSRC2:TIDIG_COMP_CNT: 1
	.section	.text._ZL13mul_mat_vec_qIN3c108BFloat16ELi256ELi8E11block_iq1_sLi1EXadL_ZL18vec_dot_iq1_s_q8_1PKvPK10block_q8_1RKiEEEvS4_S4_PT_iii,"axG",@progbits,_ZL13mul_mat_vec_qIN3c108BFloat16ELi256ELi8E11block_iq1_sLi1EXadL_ZL18vec_dot_iq1_s_q8_1PKvPK10block_q8_1RKiEEEvS4_S4_PT_iii,comdat
	.globl	_ZL13mul_mat_vec_qIN3c108BFloat16ELi256ELi8E11block_iq1_sLi1EXadL_ZL18vec_dot_iq1_s_q8_1PKvPK10block_q8_1RKiEEEvS4_S4_PT_iii ; -- Begin function _ZL13mul_mat_vec_qIN3c108BFloat16ELi256ELi8E11block_iq1_sLi1EXadL_ZL18vec_dot_iq1_s_q8_1PKvPK10block_q8_1RKiEEEvS4_S4_PT_iii
	.p2align	8
	.type	_ZL13mul_mat_vec_qIN3c108BFloat16ELi256ELi8E11block_iq1_sLi1EXadL_ZL18vec_dot_iq1_s_q8_1PKvPK10block_q8_1RKiEEEvS4_S4_PT_iii,@function
_ZL13mul_mat_vec_qIN3c108BFloat16ELi256ELi8E11block_iq1_sLi1EXadL_ZL18vec_dot_iq1_s_q8_1PKvPK10block_q8_1RKiEEEvS4_S4_PT_iii: ; @_ZL13mul_mat_vec_qIN3c108BFloat16ELi256ELi8E11block_iq1_sLi1EXadL_ZL18vec_dot_iq1_s_q8_1PKvPK10block_q8_1RKiEEEvS4_S4_PT_iii
; %bb.0:
	s_clause 0x1
	s_load_dword s8, s[4:5], 0x34
	s_load_dwordx4 s[0:3], s[4:5], 0x18
	s_waitcnt lgkmcnt(0)
	s_lshr_b32 s3, s8, 16
	s_cmp_lt_u32 s7, s2
	v_mad_u64_u32 v[1:2], null, s6, s3, v[1:2]
	s_cselect_b32 s2, -1, 0
	v_cmp_gt_u32_e32 vcc_lo, s1, v1
	s_and_b32 s2, s2, vcc_lo
	s_and_saveexec_b32 s3, s2
	s_cbranch_execz .LBB111_7
; %bb.1:
	s_load_dwordx2 s[2:3], s[4:5], 0x10
	s_ashr_i32 s6, s0, 31
	v_lshrrev_b32_e32 v4, 3, v0
	s_lshr_b32 s6, s6, 24
	v_mov_b32_e32 v5, 0
	s_add_i32 s6, s0, s6
	s_ashr_i32 s12, s6, 8
	s_mov_b32 s6, exec_lo
	v_cmpx_gt_u32_e64 s12, v4
	s_cbranch_execz .LBB111_5
; %bb.2:
	s_load_dwordx4 s[8:11], s[4:5], 0x0
	s_addk_i32 s0, 0x1ff
	v_and_b32_e32 v9, 7, v0
	s_ashr_i32 s4, s0, 31
	v_lshlrev_b32_e32 v7, 3, v4
	s_lshr_b32 s4, s4, 23
	v_mul_lo_u32 v6, v1, s12
	s_add_i32 s0, s0, s4
	v_lshlrev_b32_e32 v8, 1, v9
	s_ashr_i32 s0, s0, 9
	v_mov_b32_e32 v5, 0
	s_mul_i32 s0, s7, s0
	s_mov_b32 s4, 0xb7000000
	v_lshl_add_u32 v7, s0, 4, v7
	v_lshlrev_b32_e32 v8, 1, v8
	s_mov_b32 s0, 0
	s_waitcnt lgkmcnt(0)
	v_mad_u64_u32 v[2:3], null, v9, 36, s[10:11]
	v_lshlrev_b32_e32 v9, 1, v9
.LBB111_3:                              ; =>This Inner Loop Header: Depth=1
	v_add_nc_u32_e32 v10, v6, v4
	v_mad_i64_i32 v[18:19], null, v7, 36, v[2:3]
	s_getpc_b64 s[10:11]
	s_add_u32 s10, s10, _ZL13iq1s_grid_gpu@rel32@lo+4
	s_addc_u32 s11, s11, _ZL13iq1s_grid_gpu@rel32@hi+12
	v_add_nc_u32_e32 v4, 4, v4
	v_mad_i64_i32 v[10:11], null, v10, 50, s[8:9]
	v_add_nc_u32_e32 v7, 32, v7
	v_add_co_u32 v12, vcc_lo, v10, v8
	v_add_co_ci_u32_e64 v13, null, 0, v11, vcc_lo
	v_add_co_u32 v14, vcc_lo, v10, v9
	v_add_co_ci_u32_e64 v15, null, 0, v11, vcc_lo
	s_clause 0x2
	global_load_dword v16, v[12:13], off offset:2
	global_load_ushort v20, v[14:15], off offset:34
	global_load_ushort v21, v[10:11], off
	v_cmp_le_u32_e32 vcc_lo, s12, v4
	s_or_b32 s0, vcc_lo, s0
	s_waitcnt vmcnt(2)
	v_and_b32_e32 v10, 0xff, v16
	s_waitcnt vmcnt(1)
	v_lshlrev_b32_e32 v11, 8, v20
	v_bfe_u32 v14, v16, 8, 8
	v_lshlrev_b32_e32 v15, 5, v20
	v_lshrrev_b32_e32 v24, 24, v16
	v_lshrrev_b32_e32 v25, 1, v20
	v_and_or_b32 v10, 0x700, v11, v10
	v_and_or_b32 v14, 0x700, v15, v14
	v_bfe_u32 v15, v16, 16, 8
	v_and_or_b32 v24, 0x700, v25, v24
	v_lshlrev_b32_e32 v17, 3, v10
	global_load_dwordx4 v[10:13], v[18:19], off
	v_lshlrev_b32_e32 v14, 3, v14
	v_lshlrev_b32_e32 v24, 3, v24
	s_clause 0x1
	global_load_dword v22, v17, s[10:11]
	global_load_dword v23, v14, s[10:11]
	v_lshlrev_b32_e32 v17, 2, v20
	v_and_or_b32 v15, 0x700, v17, v15
	v_lshlrev_b32_e32 v26, 3, v15
	global_load_dwordx4 v[14:17], v[18:19], off offset:16
	s_clause 0x1
	global_load_dword v25, v26, s[10:11]
	global_load_dword v24, v24, s[10:11]
	global_load_dword v18, v[18:19], off offset:32
	v_mov_b32_e32 v19, 0
	s_waitcnt vmcnt(5)
	v_lshrrev_b32_e32 v26, 4, v22
	v_and_b32_e32 v22, 0xf0f0f0f, v22
	v_and_b32_e32 v26, 0xf0f0f0f, v26
	v_dot4c_i32_i8 v19, v22, v11
	s_waitcnt vmcnt(4)
	v_and_b32_e32 v11, 0xf0f0f0f, v23
	v_lshrrev_b32_e32 v22, 4, v23
	v_dot4c_i32_i8 v19, v26, v12
	v_and_b32_e32 v12, 0xf0f0f0f, v22
	v_dot4c_i32_i8 v19, v11, v13
	s_waitcnt vmcnt(2)
	v_and_b32_e32 v11, 0xf0f0f0f, v25
	v_lshrrev_b32_e32 v13, 4, v25
	v_dot4c_i32_i8 v19, v12, v14
	s_waitcnt vmcnt(1)
	v_lshrrev_b32_e32 v14, 4, v24
	v_and_b32_e32 v12, 0xf0f0f0f, v13
	v_and_b32_e32 v13, 0xf0f0f0f, v24
	v_dot4c_i32_i8 v19, v11, v15
	v_and_b32_e32 v11, 0x8000, v20
	v_and_b32_e32 v14, 0xf0f0f0f, v14
	v_dot4c_i32_i8 v19, v12, v16
	v_lshrrev_b32_e32 v12, 11, v20
	v_cvt_f32_u32_e32 v11, v11
	v_dot4c_i32_i8 v19, v13, v17
	v_cvt_f32_f16_sdwa v13, v10 dst_sel:DWORD dst_unused:UNUSED_PAD src0_sel:WORD_1
	v_and_or_b32 v12, v12, 14, 1
	v_fmaak_f32 v11, s4, v11, 0xbf600000
	s_waitcnt vmcnt(0)
	v_dot4c_i32_i8 v19, v14, v18
	v_cvt_f32_f16_e32 v14, v21
	v_cvt_f32_ubyte0_e32 v12, v12
	v_mul_f32_e32 v11, v11, v13
	v_cvt_f32_i32_e32 v13, v19
	v_mul_f32_e32 v12, v12, v14
	v_fma_mix_f32 v10, v13, v10, v11 op_sel_hi:[0,1,0]
	v_fmac_f32_e32 v5, v12, v10
	s_andn2_b32 exec_lo, exec_lo, s0
	s_cbranch_execnz .LBB111_3
; %bb.4:
	s_or_b32 exec_lo, exec_lo, s0
.LBB111_5:
	s_or_b32 exec_lo, exec_lo, s6
	v_mbcnt_lo_u32_b32 v2, -1, 0
	v_xor_b32_e32 v3, 16, v2
	v_xor_b32_e32 v4, 8, v2
	v_cmp_gt_i32_e32 vcc_lo, 32, v3
	v_cndmask_b32_e32 v3, v2, v3, vcc_lo
	v_cmp_gt_i32_e32 vcc_lo, 32, v4
	v_lshlrev_b32_e32 v3, 2, v3
	v_cndmask_b32_e32 v4, v2, v4, vcc_lo
	ds_bpermute_b32 v3, v3, v5
	v_lshlrev_b32_e32 v4, 2, v4
	s_waitcnt lgkmcnt(0)
	v_add_f32_e32 v3, v5, v3
	v_xor_b32_e32 v5, 4, v2
	ds_bpermute_b32 v4, v4, v3
	v_cmp_gt_i32_e32 vcc_lo, 32, v5
	v_cndmask_b32_e32 v5, v2, v5, vcc_lo
	v_lshlrev_b32_e32 v5, 2, v5
	s_waitcnt lgkmcnt(0)
	v_add_f32_e32 v3, v3, v4
	ds_bpermute_b32 v4, v5, v3
	v_xor_b32_e32 v5, 2, v2
	v_cmp_gt_i32_e32 vcc_lo, 32, v5
	v_cndmask_b32_e32 v5, v2, v5, vcc_lo
	v_lshlrev_b32_e32 v5, 2, v5
	s_waitcnt lgkmcnt(0)
	v_add_f32_e32 v3, v3, v4
	ds_bpermute_b32 v4, v5, v3
	v_xor_b32_e32 v5, 1, v2
	v_cmp_gt_i32_e32 vcc_lo, 32, v5
	v_cndmask_b32_e32 v5, v2, v5, vcc_lo
	v_cmp_eq_u32_e32 vcc_lo, 0, v0
	s_waitcnt lgkmcnt(0)
	v_add_f32_e32 v2, v3, v4
	v_lshlrev_b32_e32 v3, 2, v5
	ds_bpermute_b32 v3, v3, v2
	s_and_b32 exec_lo, exec_lo, vcc_lo
	s_cbranch_execz .LBB111_7
; %bb.6:
	s_waitcnt lgkmcnt(0)
	v_add_f32_e32 v2, v2, v3
	v_mov_b32_e32 v4, 0x7fc0
	v_mad_u64_u32 v[0:1], null, s1, s7, v[1:2]
	v_mov_b32_e32 v1, 0
	v_bfe_u32 v3, v2, 16, 1
	v_cmp_o_f32_e32 vcc_lo, v2, v2
	v_add3_u32 v2, v2, v3, 0x7fff
	v_lshlrev_b64 v[0:1], 1, v[0:1]
	v_cndmask_b32_sdwa v2, v4, v2, vcc_lo dst_sel:DWORD dst_unused:UNUSED_PAD src0_sel:DWORD src1_sel:WORD_1
	v_add_co_u32 v0, vcc_lo, s2, v0
	v_add_co_ci_u32_e64 v1, null, s3, v1, vcc_lo
	global_store_short v[0:1], v2, off
.LBB111_7:
	s_endpgm
	.section	.rodata,"a",@progbits
	.p2align	6, 0x0
	.amdhsa_kernel _ZL13mul_mat_vec_qIN3c108BFloat16ELi256ELi8E11block_iq1_sLi1EXadL_ZL18vec_dot_iq1_s_q8_1PKvPK10block_q8_1RKiEEEvS4_S4_PT_iii
		.amdhsa_group_segment_fixed_size 0
		.amdhsa_private_segment_fixed_size 0
		.amdhsa_kernarg_size 296
		.amdhsa_user_sgpr_count 6
		.amdhsa_user_sgpr_private_segment_buffer 1
		.amdhsa_user_sgpr_dispatch_ptr 0
		.amdhsa_user_sgpr_queue_ptr 0
		.amdhsa_user_sgpr_kernarg_segment_ptr 1
		.amdhsa_user_sgpr_dispatch_id 0
		.amdhsa_user_sgpr_flat_scratch_init 0
		.amdhsa_user_sgpr_private_segment_size 0
		.amdhsa_wavefront_size32 1
		.amdhsa_uses_dynamic_stack 0
		.amdhsa_system_sgpr_private_segment_wavefront_offset 0
		.amdhsa_system_sgpr_workgroup_id_x 1
		.amdhsa_system_sgpr_workgroup_id_y 1
		.amdhsa_system_sgpr_workgroup_id_z 0
		.amdhsa_system_sgpr_workgroup_info 0
		.amdhsa_system_vgpr_workitem_id 1
		.amdhsa_next_free_vgpr 27
		.amdhsa_next_free_sgpr 13
		.amdhsa_reserve_vcc 1
		.amdhsa_reserve_flat_scratch 0
		.amdhsa_float_round_mode_32 0
		.amdhsa_float_round_mode_16_64 0
		.amdhsa_float_denorm_mode_32 3
		.amdhsa_float_denorm_mode_16_64 3
		.amdhsa_dx10_clamp 1
		.amdhsa_ieee_mode 1
		.amdhsa_fp16_overflow 0
		.amdhsa_workgroup_processor_mode 1
		.amdhsa_memory_ordered 1
		.amdhsa_forward_progress 1
		.amdhsa_shared_vgpr_count 0
		.amdhsa_exception_fp_ieee_invalid_op 0
		.amdhsa_exception_fp_denorm_src 0
		.amdhsa_exception_fp_ieee_div_zero 0
		.amdhsa_exception_fp_ieee_overflow 0
		.amdhsa_exception_fp_ieee_underflow 0
		.amdhsa_exception_fp_ieee_inexact 0
		.amdhsa_exception_int_div_zero 0
	.end_amdhsa_kernel
	.section	.text._ZL13mul_mat_vec_qIN3c108BFloat16ELi256ELi8E11block_iq1_sLi1EXadL_ZL18vec_dot_iq1_s_q8_1PKvPK10block_q8_1RKiEEEvS4_S4_PT_iii,"axG",@progbits,_ZL13mul_mat_vec_qIN3c108BFloat16ELi256ELi8E11block_iq1_sLi1EXadL_ZL18vec_dot_iq1_s_q8_1PKvPK10block_q8_1RKiEEEvS4_S4_PT_iii,comdat
.Lfunc_end111:
	.size	_ZL13mul_mat_vec_qIN3c108BFloat16ELi256ELi8E11block_iq1_sLi1EXadL_ZL18vec_dot_iq1_s_q8_1PKvPK10block_q8_1RKiEEEvS4_S4_PT_iii, .Lfunc_end111-_ZL13mul_mat_vec_qIN3c108BFloat16ELi256ELi8E11block_iq1_sLi1EXadL_ZL18vec_dot_iq1_s_q8_1PKvPK10block_q8_1RKiEEEvS4_S4_PT_iii
                                        ; -- End function
	.set _ZL13mul_mat_vec_qIN3c108BFloat16ELi256ELi8E11block_iq1_sLi1EXadL_ZL18vec_dot_iq1_s_q8_1PKvPK10block_q8_1RKiEEEvS4_S4_PT_iii.num_vgpr, 27
	.set _ZL13mul_mat_vec_qIN3c108BFloat16ELi256ELi8E11block_iq1_sLi1EXadL_ZL18vec_dot_iq1_s_q8_1PKvPK10block_q8_1RKiEEEvS4_S4_PT_iii.num_agpr, 0
	.set _ZL13mul_mat_vec_qIN3c108BFloat16ELi256ELi8E11block_iq1_sLi1EXadL_ZL18vec_dot_iq1_s_q8_1PKvPK10block_q8_1RKiEEEvS4_S4_PT_iii.numbered_sgpr, 13
	.set _ZL13mul_mat_vec_qIN3c108BFloat16ELi256ELi8E11block_iq1_sLi1EXadL_ZL18vec_dot_iq1_s_q8_1PKvPK10block_q8_1RKiEEEvS4_S4_PT_iii.num_named_barrier, 0
	.set _ZL13mul_mat_vec_qIN3c108BFloat16ELi256ELi8E11block_iq1_sLi1EXadL_ZL18vec_dot_iq1_s_q8_1PKvPK10block_q8_1RKiEEEvS4_S4_PT_iii.private_seg_size, 0
	.set _ZL13mul_mat_vec_qIN3c108BFloat16ELi256ELi8E11block_iq1_sLi1EXadL_ZL18vec_dot_iq1_s_q8_1PKvPK10block_q8_1RKiEEEvS4_S4_PT_iii.uses_vcc, 1
	.set _ZL13mul_mat_vec_qIN3c108BFloat16ELi256ELi8E11block_iq1_sLi1EXadL_ZL18vec_dot_iq1_s_q8_1PKvPK10block_q8_1RKiEEEvS4_S4_PT_iii.uses_flat_scratch, 0
	.set _ZL13mul_mat_vec_qIN3c108BFloat16ELi256ELi8E11block_iq1_sLi1EXadL_ZL18vec_dot_iq1_s_q8_1PKvPK10block_q8_1RKiEEEvS4_S4_PT_iii.has_dyn_sized_stack, 0
	.set _ZL13mul_mat_vec_qIN3c108BFloat16ELi256ELi8E11block_iq1_sLi1EXadL_ZL18vec_dot_iq1_s_q8_1PKvPK10block_q8_1RKiEEEvS4_S4_PT_iii.has_recursion, 0
	.set _ZL13mul_mat_vec_qIN3c108BFloat16ELi256ELi8E11block_iq1_sLi1EXadL_ZL18vec_dot_iq1_s_q8_1PKvPK10block_q8_1RKiEEEvS4_S4_PT_iii.has_indirect_call, 0
	.section	.AMDGPU.csdata,"",@progbits
; Kernel info:
; codeLenInByte = 992
; TotalNumSgprs: 15
; NumVgprs: 27
; ScratchSize: 0
; MemoryBound: 0
; FloatMode: 240
; IeeeMode: 1
; LDSByteSize: 0 bytes/workgroup (compile time only)
; SGPRBlocks: 0
; VGPRBlocks: 3
; NumSGPRsForWavesPerEU: 15
; NumVGPRsForWavesPerEU: 27
; Occupancy: 16
; WaveLimiterHint : 0
; COMPUTE_PGM_RSRC2:SCRATCH_EN: 0
; COMPUTE_PGM_RSRC2:USER_SGPR: 6
; COMPUTE_PGM_RSRC2:TRAP_HANDLER: 0
; COMPUTE_PGM_RSRC2:TGID_X_EN: 1
; COMPUTE_PGM_RSRC2:TGID_Y_EN: 1
; COMPUTE_PGM_RSRC2:TGID_Z_EN: 0
; COMPUTE_PGM_RSRC2:TIDIG_COMP_CNT: 1
	.section	.text._ZL13mul_mat_vec_qIN3c108BFloat16ELi32ELi4E12block_iq4_nlLi2EXadL_ZL19vec_dot_iq4_nl_q8_1PKvPK10block_q8_1RKiEEEvS4_S4_PT_iii,"axG",@progbits,_ZL13mul_mat_vec_qIN3c108BFloat16ELi32ELi4E12block_iq4_nlLi2EXadL_ZL19vec_dot_iq4_nl_q8_1PKvPK10block_q8_1RKiEEEvS4_S4_PT_iii,comdat
	.globl	_ZL13mul_mat_vec_qIN3c108BFloat16ELi32ELi4E12block_iq4_nlLi2EXadL_ZL19vec_dot_iq4_nl_q8_1PKvPK10block_q8_1RKiEEEvS4_S4_PT_iii ; -- Begin function _ZL13mul_mat_vec_qIN3c108BFloat16ELi32ELi4E12block_iq4_nlLi2EXadL_ZL19vec_dot_iq4_nl_q8_1PKvPK10block_q8_1RKiEEEvS4_S4_PT_iii
	.p2align	8
	.type	_ZL13mul_mat_vec_qIN3c108BFloat16ELi32ELi4E12block_iq4_nlLi2EXadL_ZL19vec_dot_iq4_nl_q8_1PKvPK10block_q8_1RKiEEEvS4_S4_PT_iii,@function
_ZL13mul_mat_vec_qIN3c108BFloat16ELi32ELi4E12block_iq4_nlLi2EXadL_ZL19vec_dot_iq4_nl_q8_1PKvPK10block_q8_1RKiEEEvS4_S4_PT_iii: ; @_ZL13mul_mat_vec_qIN3c108BFloat16ELi32ELi4E12block_iq4_nlLi2EXadL_ZL19vec_dot_iq4_nl_q8_1PKvPK10block_q8_1RKiEEEvS4_S4_PT_iii
; %bb.0:
	s_clause 0x1
	s_load_dword s8, s[4:5], 0x34
	s_load_dwordx4 s[0:3], s[4:5], 0x18
	s_waitcnt lgkmcnt(0)
	s_lshr_b32 s3, s8, 16
	s_cmp_lt_u32 s7, s2
	v_mad_u64_u32 v[1:2], null, s6, s3, v[1:2]
	s_cselect_b32 s2, -1, 0
	v_cmp_gt_u32_e32 vcc_lo, s1, v1
	s_and_b32 s2, s2, vcc_lo
	s_and_saveexec_b32 s3, s2
	s_cbranch_execz .LBB112_7
; %bb.1:
	s_load_dwordx2 s[2:3], s[4:5], 0x10
	s_ashr_i32 s6, s0, 31
	v_lshrrev_b32_e32 v2, 1, v0
	s_lshr_b32 s6, s6, 27
	v_mov_b32_e32 v3, 0
	s_add_i32 s6, s0, s6
	s_ashr_i32 s12, s6, 5
	s_mov_b32 s6, exec_lo
	v_cmpx_gt_u32_e64 s12, v2
	s_cbranch_execz .LBB112_5
; %bb.2:
	v_lshlrev_b32_e32 v3, 1, v0
	s_load_dwordx4 s[8:11], s[4:5], 0x0
	s_addk_i32 s0, 0x1ff
	v_mul_lo_u32 v4, v1, s12
	s_ashr_i32 s4, s0, 31
	v_and_b32_e32 v6, 2, v3
	s_lshr_b32 s4, s4, 23
	v_mov_b32_e32 v3, 0
	s_add_i32 s0, s0, s4
	s_ashr_i32 s0, s0, 9
	v_lshlrev_b32_e32 v5, 1, v6
	v_lshlrev_b32_e32 v6, 2, v6
	s_mul_i32 s0, s7, s0
	s_lshl_b32 s4, s0, 4
	v_lshlrev_b32_e32 v5, 1, v5
	s_mov_b32 s0, 0
	s_getpc_b64 s[14:15]
	s_add_u32 s14, s14, _ZL13kvalues_iq4nl@rel32@lo+4
	s_addc_u32 s15, s15, _ZL13kvalues_iq4nl@rel32@hi+12
.LBB112_3:                              ; =>This Inner Loop Header: Depth=1
	v_add_nc_u32_e32 v7, v4, v2
	v_add_nc_u32_e32 v11, s4, v2
	;; [unrolled: 1-line block ×3, first 2 shown]
	s_waitcnt lgkmcnt(0)
	v_mad_i64_i32 v[7:8], null, v7, 18, s[8:9]
	v_mad_i64_i32 v[11:12], null, v11, 36, s[10:11]
	v_add_co_u32 v9, vcc_lo, v7, v5
	v_add_co_ci_u32_e64 v10, null, 0, v8, vcc_lo
	v_add_co_u32 v13, vcc_lo, v11, v6
	v_add_co_ci_u32_e64 v14, null, 0, v12, vcc_lo
	global_load_dwordx2 v[9:10], v[9:10], off offset:2
	v_cmp_le_u32_e32 vcc_lo, s12, v2
	s_or_b32 s0, vcc_lo, s0
	s_waitcnt vmcnt(0)
	v_and_b32_e32 v16, 15, v9
	v_bfe_u32 v17, v9, 8, 4
	v_bfe_u32 v18, v9, 16, 4
	v_bfe_u32 v15, v9, 24, 4
	v_bfe_u32 v19, v9, 12, 4
	v_bfe_u32 v20, v9, 20, 4
	v_lshrrev_b32_e32 v21, 28, v9
	v_bfe_u32 v9, v9, 4, 4
	v_bfe_u32 v22, v10, 24, 4
	v_and_b32_e32 v23, 15, v10
	v_bfe_u32 v24, v10, 8, 4
	v_bfe_u32 v25, v10, 16, 4
	;; [unrolled: 1-line block ×4, first 2 shown]
	v_lshrrev_b32_e32 v28, 28, v10
	v_bfe_u32 v10, v10, 4, 4
	s_clause 0xf
	global_load_ubyte v16, v16, s[14:15]
	global_load_ubyte v17, v17, s[14:15]
	;; [unrolled: 1-line block ×16, first 2 shown]
	s_clause 0x1
	global_load_dwordx2 v[9:10], v[13:14], off offset:4
	global_load_dwordx2 v[13:14], v[13:14], off offset:20
	global_load_ushort v7, v[7:8], off
	global_load_dword v8, v[11:12], off
	v_mov_b32_e32 v11, 0
	v_mov_b32_e32 v12, 0
	s_waitcnt vmcnt(18)
	v_lshl_or_b32 v16, v17, 8, v16
	s_waitcnt vmcnt(17)
	v_lshlrev_b32_e32 v18, 16, v18
	s_waitcnt vmcnt(15)
	v_lshl_or_b32 v19, v19, 8, v29
	s_waitcnt vmcnt(14)
	v_lshlrev_b32_e32 v20, 16, v20
	s_waitcnt vmcnt(13)
	v_lshlrev_b32_e32 v17, 24, v21
	;; [unrolled: 2-line block ×3, first 2 shown]
	v_or3_b32 v15, v16, v18, v15
	s_waitcnt vmcnt(6)
	v_lshlrev_b32_e32 v21, 24, v22
	v_lshlrev_b32_e32 v22, 16, v25
	s_waitcnt vmcnt(5)
	v_lshl_or_b32 v23, v24, 8, v23
	v_lshlrev_b32_e32 v24, 24, v28
	v_lshlrev_b32_e32 v25, 16, v27
	s_waitcnt vmcnt(4)
	v_lshl_or_b32 v26, v26, 8, v30
	v_or3_b32 v16, v19, v20, v17
	v_or3_b32 v17, v23, v22, v21
	s_waitcnt vmcnt(3)
	v_dot4c_i32_i8 v11, v15, v9
	s_waitcnt vmcnt(1)
	v_cvt_f32_f16_e32 v7, v7
	v_or3_b32 v18, v26, v25, v24
	v_dot4c_i32_i8 v12, v16, v13
	s_waitcnt vmcnt(0)
	v_cvt_f32_f16_e32 v8, v8
	v_dot4c_i32_i8 v11, v17, v10
	v_dot4c_i32_i8 v12, v18, v14
	v_mul_f32_e32 v7, v7, v8
	v_add_nc_u32_e32 v9, v12, v11
	v_cvt_f32_i32_e32 v8, v9
	v_fmac_f32_e32 v3, v7, v8
	s_andn2_b32 exec_lo, exec_lo, s0
	s_cbranch_execnz .LBB112_3
; %bb.4:
	s_or_b32 exec_lo, exec_lo, s0
.LBB112_5:
	s_or_b32 exec_lo, exec_lo, s6
	v_mbcnt_lo_u32_b32 v2, -1, 0
	v_xor_b32_e32 v4, 16, v2
	v_xor_b32_e32 v5, 8, v2
	v_cmp_gt_i32_e32 vcc_lo, 32, v4
	v_cndmask_b32_e32 v4, v2, v4, vcc_lo
	v_cmp_gt_i32_e32 vcc_lo, 32, v5
	v_lshlrev_b32_e32 v4, 2, v4
	v_cndmask_b32_e32 v5, v2, v5, vcc_lo
	ds_bpermute_b32 v4, v4, v3
	v_lshlrev_b32_e32 v5, 2, v5
	s_waitcnt lgkmcnt(0)
	v_add_f32_e32 v3, v3, v4
	ds_bpermute_b32 v4, v5, v3
	v_xor_b32_e32 v5, 4, v2
	v_cmp_gt_i32_e32 vcc_lo, 32, v5
	v_cndmask_b32_e32 v5, v2, v5, vcc_lo
	v_lshlrev_b32_e32 v5, 2, v5
	s_waitcnt lgkmcnt(0)
	v_add_f32_e32 v3, v3, v4
	ds_bpermute_b32 v4, v5, v3
	v_xor_b32_e32 v5, 2, v2
	v_cmp_gt_i32_e32 vcc_lo, 32, v5
	v_cndmask_b32_e32 v5, v2, v5, vcc_lo
	;; [unrolled: 7-line block ×3, first 2 shown]
	v_cmp_eq_u32_e32 vcc_lo, 0, v0
	s_waitcnt lgkmcnt(0)
	v_add_f32_e32 v2, v3, v4
	v_lshlrev_b32_e32 v3, 2, v5
	ds_bpermute_b32 v3, v3, v2
	s_and_b32 exec_lo, exec_lo, vcc_lo
	s_cbranch_execz .LBB112_7
; %bb.6:
	s_waitcnt lgkmcnt(0)
	v_add_f32_e32 v2, v2, v3
	v_mov_b32_e32 v4, 0x7fc0
	v_mad_u64_u32 v[0:1], null, s1, s7, v[1:2]
	v_mov_b32_e32 v1, 0
	v_bfe_u32 v3, v2, 16, 1
	v_cmp_o_f32_e32 vcc_lo, v2, v2
	v_add3_u32 v2, v2, v3, 0x7fff
	v_lshlrev_b64 v[0:1], 1, v[0:1]
	v_cndmask_b32_sdwa v2, v4, v2, vcc_lo dst_sel:DWORD dst_unused:UNUSED_PAD src0_sel:DWORD src1_sel:WORD_1
	v_add_co_u32 v0, vcc_lo, s2, v0
	v_add_co_ci_u32_e64 v1, null, s3, v1, vcc_lo
	global_store_short v[0:1], v2, off
.LBB112_7:
	s_endpgm
	.section	.rodata,"a",@progbits
	.p2align	6, 0x0
	.amdhsa_kernel _ZL13mul_mat_vec_qIN3c108BFloat16ELi32ELi4E12block_iq4_nlLi2EXadL_ZL19vec_dot_iq4_nl_q8_1PKvPK10block_q8_1RKiEEEvS4_S4_PT_iii
		.amdhsa_group_segment_fixed_size 0
		.amdhsa_private_segment_fixed_size 0
		.amdhsa_kernarg_size 296
		.amdhsa_user_sgpr_count 6
		.amdhsa_user_sgpr_private_segment_buffer 1
		.amdhsa_user_sgpr_dispatch_ptr 0
		.amdhsa_user_sgpr_queue_ptr 0
		.amdhsa_user_sgpr_kernarg_segment_ptr 1
		.amdhsa_user_sgpr_dispatch_id 0
		.amdhsa_user_sgpr_flat_scratch_init 0
		.amdhsa_user_sgpr_private_segment_size 0
		.amdhsa_wavefront_size32 1
		.amdhsa_uses_dynamic_stack 0
		.amdhsa_system_sgpr_private_segment_wavefront_offset 0
		.amdhsa_system_sgpr_workgroup_id_x 1
		.amdhsa_system_sgpr_workgroup_id_y 1
		.amdhsa_system_sgpr_workgroup_id_z 0
		.amdhsa_system_sgpr_workgroup_info 0
		.amdhsa_system_vgpr_workitem_id 1
		.amdhsa_next_free_vgpr 31
		.amdhsa_next_free_sgpr 16
		.amdhsa_reserve_vcc 1
		.amdhsa_reserve_flat_scratch 0
		.amdhsa_float_round_mode_32 0
		.amdhsa_float_round_mode_16_64 0
		.amdhsa_float_denorm_mode_32 3
		.amdhsa_float_denorm_mode_16_64 3
		.amdhsa_dx10_clamp 1
		.amdhsa_ieee_mode 1
		.amdhsa_fp16_overflow 0
		.amdhsa_workgroup_processor_mode 1
		.amdhsa_memory_ordered 1
		.amdhsa_forward_progress 1
		.amdhsa_shared_vgpr_count 0
		.amdhsa_exception_fp_ieee_invalid_op 0
		.amdhsa_exception_fp_denorm_src 0
		.amdhsa_exception_fp_ieee_div_zero 0
		.amdhsa_exception_fp_ieee_overflow 0
		.amdhsa_exception_fp_ieee_underflow 0
		.amdhsa_exception_fp_ieee_inexact 0
		.amdhsa_exception_int_div_zero 0
	.end_amdhsa_kernel
	.section	.text._ZL13mul_mat_vec_qIN3c108BFloat16ELi32ELi4E12block_iq4_nlLi2EXadL_ZL19vec_dot_iq4_nl_q8_1PKvPK10block_q8_1RKiEEEvS4_S4_PT_iii,"axG",@progbits,_ZL13mul_mat_vec_qIN3c108BFloat16ELi32ELi4E12block_iq4_nlLi2EXadL_ZL19vec_dot_iq4_nl_q8_1PKvPK10block_q8_1RKiEEEvS4_S4_PT_iii,comdat
.Lfunc_end112:
	.size	_ZL13mul_mat_vec_qIN3c108BFloat16ELi32ELi4E12block_iq4_nlLi2EXadL_ZL19vec_dot_iq4_nl_q8_1PKvPK10block_q8_1RKiEEEvS4_S4_PT_iii, .Lfunc_end112-_ZL13mul_mat_vec_qIN3c108BFloat16ELi32ELi4E12block_iq4_nlLi2EXadL_ZL19vec_dot_iq4_nl_q8_1PKvPK10block_q8_1RKiEEEvS4_S4_PT_iii
                                        ; -- End function
	.set _ZL13mul_mat_vec_qIN3c108BFloat16ELi32ELi4E12block_iq4_nlLi2EXadL_ZL19vec_dot_iq4_nl_q8_1PKvPK10block_q8_1RKiEEEvS4_S4_PT_iii.num_vgpr, 31
	.set _ZL13mul_mat_vec_qIN3c108BFloat16ELi32ELi4E12block_iq4_nlLi2EXadL_ZL19vec_dot_iq4_nl_q8_1PKvPK10block_q8_1RKiEEEvS4_S4_PT_iii.num_agpr, 0
	.set _ZL13mul_mat_vec_qIN3c108BFloat16ELi32ELi4E12block_iq4_nlLi2EXadL_ZL19vec_dot_iq4_nl_q8_1PKvPK10block_q8_1RKiEEEvS4_S4_PT_iii.numbered_sgpr, 16
	.set _ZL13mul_mat_vec_qIN3c108BFloat16ELi32ELi4E12block_iq4_nlLi2EXadL_ZL19vec_dot_iq4_nl_q8_1PKvPK10block_q8_1RKiEEEvS4_S4_PT_iii.num_named_barrier, 0
	.set _ZL13mul_mat_vec_qIN3c108BFloat16ELi32ELi4E12block_iq4_nlLi2EXadL_ZL19vec_dot_iq4_nl_q8_1PKvPK10block_q8_1RKiEEEvS4_S4_PT_iii.private_seg_size, 0
	.set _ZL13mul_mat_vec_qIN3c108BFloat16ELi32ELi4E12block_iq4_nlLi2EXadL_ZL19vec_dot_iq4_nl_q8_1PKvPK10block_q8_1RKiEEEvS4_S4_PT_iii.uses_vcc, 1
	.set _ZL13mul_mat_vec_qIN3c108BFloat16ELi32ELi4E12block_iq4_nlLi2EXadL_ZL19vec_dot_iq4_nl_q8_1PKvPK10block_q8_1RKiEEEvS4_S4_PT_iii.uses_flat_scratch, 0
	.set _ZL13mul_mat_vec_qIN3c108BFloat16ELi32ELi4E12block_iq4_nlLi2EXadL_ZL19vec_dot_iq4_nl_q8_1PKvPK10block_q8_1RKiEEEvS4_S4_PT_iii.has_dyn_sized_stack, 0
	.set _ZL13mul_mat_vec_qIN3c108BFloat16ELi32ELi4E12block_iq4_nlLi2EXadL_ZL19vec_dot_iq4_nl_q8_1PKvPK10block_q8_1RKiEEEvS4_S4_PT_iii.has_recursion, 0
	.set _ZL13mul_mat_vec_qIN3c108BFloat16ELi32ELi4E12block_iq4_nlLi2EXadL_ZL19vec_dot_iq4_nl_q8_1PKvPK10block_q8_1RKiEEEvS4_S4_PT_iii.has_indirect_call, 0
	.section	.AMDGPU.csdata,"",@progbits
; Kernel info:
; codeLenInByte = 1040
; TotalNumSgprs: 18
; NumVgprs: 31
; ScratchSize: 0
; MemoryBound: 0
; FloatMode: 240
; IeeeMode: 1
; LDSByteSize: 0 bytes/workgroup (compile time only)
; SGPRBlocks: 0
; VGPRBlocks: 3
; NumSGPRsForWavesPerEU: 18
; NumVGPRsForWavesPerEU: 31
; Occupancy: 16
; WaveLimiterHint : 0
; COMPUTE_PGM_RSRC2:SCRATCH_EN: 0
; COMPUTE_PGM_RSRC2:USER_SGPR: 6
; COMPUTE_PGM_RSRC2:TRAP_HANDLER: 0
; COMPUTE_PGM_RSRC2:TGID_X_EN: 1
; COMPUTE_PGM_RSRC2:TGID_Y_EN: 1
; COMPUTE_PGM_RSRC2:TGID_Z_EN: 0
; COMPUTE_PGM_RSRC2:TIDIG_COMP_CNT: 1
	.section	.text._ZL13mul_mat_vec_qIN3c108BFloat16ELi256ELi8E11block_iq3_sLi1EXadL_ZL18vec_dot_iq3_s_q8_1PKvPK10block_q8_1RKiEEEvS4_S4_PT_iii,"axG",@progbits,_ZL13mul_mat_vec_qIN3c108BFloat16ELi256ELi8E11block_iq3_sLi1EXadL_ZL18vec_dot_iq3_s_q8_1PKvPK10block_q8_1RKiEEEvS4_S4_PT_iii,comdat
	.globl	_ZL13mul_mat_vec_qIN3c108BFloat16ELi256ELi8E11block_iq3_sLi1EXadL_ZL18vec_dot_iq3_s_q8_1PKvPK10block_q8_1RKiEEEvS4_S4_PT_iii ; -- Begin function _ZL13mul_mat_vec_qIN3c108BFloat16ELi256ELi8E11block_iq3_sLi1EXadL_ZL18vec_dot_iq3_s_q8_1PKvPK10block_q8_1RKiEEEvS4_S4_PT_iii
	.p2align	8
	.type	_ZL13mul_mat_vec_qIN3c108BFloat16ELi256ELi8E11block_iq3_sLi1EXadL_ZL18vec_dot_iq3_s_q8_1PKvPK10block_q8_1RKiEEEvS4_S4_PT_iii,@function
_ZL13mul_mat_vec_qIN3c108BFloat16ELi256ELi8E11block_iq3_sLi1EXadL_ZL18vec_dot_iq3_s_q8_1PKvPK10block_q8_1RKiEEEvS4_S4_PT_iii: ; @_ZL13mul_mat_vec_qIN3c108BFloat16ELi256ELi8E11block_iq3_sLi1EXadL_ZL18vec_dot_iq3_s_q8_1PKvPK10block_q8_1RKiEEEvS4_S4_PT_iii
; %bb.0:
	s_clause 0x1
	s_load_dword s8, s[4:5], 0x34
	s_load_dwordx4 s[0:3], s[4:5], 0x18
	s_waitcnt lgkmcnt(0)
	s_lshr_b32 s3, s8, 16
	s_cmp_lt_u32 s7, s2
	v_mad_u64_u32 v[1:2], null, s6, s3, v[1:2]
	s_cselect_b32 s2, -1, 0
	v_cmp_gt_u32_e32 vcc_lo, s1, v1
	s_and_b32 s2, s2, vcc_lo
	s_and_saveexec_b32 s3, s2
	s_cbranch_execz .LBB113_9
; %bb.1:
	s_load_dwordx2 s[2:3], s[4:5], 0x10
	s_ashr_i32 s6, s0, 31
	v_lshrrev_b32_e32 v19, 3, v0
	s_lshr_b32 s6, s6, 24
	v_mov_b32_e32 v18, 0
	s_add_i32 s6, s0, s6
	s_ashr_i32 s12, s6, 8
	s_mov_b32 s6, exec_lo
	v_cmpx_gt_u32_e64 s12, v19
	s_cbranch_execz .LBB113_7
; %bb.2:
	s_load_dwordx4 s[8:11], s[4:5], 0x0
	v_and_b32_e32 v21, 7, v0
	s_addk_i32 s0, 0x1ff
	v_mul_lo_u32 v20, v1, s12
	s_ashr_i32 s4, s0, 31
	v_lshlrev_b32_e32 v2, 2, v0
	v_lshlrev_b32_e32 v3, 2, v21
	;; [unrolled: 1-line block ×3, first 2 shown]
	s_lshr_b32 s4, s4, 23
	v_mov_b32_e32 v18, 0
	s_add_i32 s0, s0, s4
	v_and_b32_e32 v23, 4, v2
	s_ashr_i32 s0, s0, 9
	v_bfe_u32 v22, v0, 1, 2
	v_add_nc_u32_e32 v24, v19, v20
	v_mov_b32_e32 v25, 0xffff
	s_mul_i32 s0, s7, s0
	s_waitcnt lgkmcnt(0)
	v_add_co_u32 v4, s4, s8, v3
	v_add_co_ci_u32_e64 v5, null, s9, 0, s4
	v_add_co_u32 v6, s4, s8, v6
	v_add_co_ci_u32_e64 v7, null, s9, 0, s4
	v_add_co_u32 v4, vcc_lo, 0x4a, v4
	v_mad_u64_u32 v[2:3], null, v21, 36, s[10:11]
	v_add_co_ci_u32_e64 v5, null, 0, v5, vcc_lo
	v_add_co_u32 v6, vcc_lo, v6, 2
	v_add_co_ci_u32_e64 v7, null, 0, v7, vcc_lo
	s_lshl_b32 s4, s0, 4
	s_mov_b32 s0, 0
.LBB113_3:                              ; =>This Loop Header: Depth=1
                                        ;     Child Loop BB113_4 Depth 2
	v_add_nc_u32_e32 v8, v19, v20
	v_mad_i64_i32 v[12:13], null, 0x6e, v24, v[4:5]
	v_mad_i64_i32 v[14:15], null, 0x6e, v24, v[6:7]
	;; [unrolled: 1-line block ×3, first 2 shown]
	v_mov_b32_e32 v26, 0
	s_mov_b32 s5, 7
	v_add_co_u32 v10, vcc_lo, v8, v21
	v_add_co_ci_u32_e64 v11, null, 0, v9, vcc_lo
	global_load_ubyte v27, v[10:11], off offset:66
	v_lshl_add_u32 v10, v19, 3, s4
	v_mad_i64_i32 v[10:11], null, v10, 36, v[2:3]
	v_add_co_u32 v16, vcc_lo, v10, 4
	v_add_co_ci_u32_e64 v17, null, 0, v11, vcc_lo
.LBB113_4:                              ;   Parent Loop BB113_3 Depth=1
                                        ; =>  This Inner Loop Header: Depth=2
	global_load_ushort v28, v[14:15], off
	global_load_ubyte v30, v[12:13], off
	s_add_i32 s13, s5, 1
	s_waitcnt vmcnt(2)
	v_lshlrev_b32_e32 v29, s5, v27
	v_lshlrev_b32_e32 v31, s13, v27
	s_getpc_b64 s[10:11]
	s_add_u32 s10, s10, _ZL10iq3xs_grid@rel32@lo+4
	s_addc_u32 s11, s11, _ZL10iq3xs_grid@rel32@hi+12
	s_add_i32 s5, s5, -2
	s_cmp_lg_u32 s5, -1
	s_waitcnt vmcnt(1)
	v_and_b32_e32 v32, 0xff, v28
	v_and_b32_sdwa v28, v25, v28 dst_sel:DWORD dst_unused:UNUSED_PAD src0_sel:DWORD src1_sel:BYTE_1
	s_waitcnt vmcnt(0)
	v_and_b32_e32 v33, 15, v30
	v_lshrrev_b16 v30, 4, v30
	v_and_or_b32 v31, 0x100, v31, v32
	v_and_or_b32 v28, 0x100, v29, v28
	v_and_b32_e32 v33, 0xffff, v33
	v_and_b32_e32 v30, 0xffff, v30
	v_lshlrev_b32_e32 v29, 2, v31
	v_lshlrev_b32_e32 v28, 2, v28
	v_mul_lo_u32 v33, 0x1010101, v33
	v_mul_lo_u32 v30, 0x1010101, v30
	s_clause 0x1
	global_load_dword v31, v29, s[10:11]
	global_load_dword v32, v28, s[10:11]
	global_load_dwordx2 v[28:29], v[16:17], off
	v_add_co_u32 v16, vcc_lo, v16, 8
	v_add_co_ci_u32_e64 v17, null, 0, v17, vcc_lo
	v_not_b32_e32 v33, v33
	v_not_b32_e32 v30, v30
	v_and_b32_e32 v34, 0x8040201, v33
	v_and_b32_e32 v35, 0x40000, v33
	;; [unrolled: 1-line block ×5, first 2 shown]
	v_cmp_gt_u32_e32 vcc_lo, 0x1000000, v34
	v_and_b32_e32 v38, 0x40000, v30
	v_and_b32_e32 v39, 0x200, v30
	v_and_b32_e32 v30, 1, v30
	v_cndmask_b32_e64 v34, 0, -1, vcc_lo
	v_cmp_eq_u32_e32 vcc_lo, 0, v35
	v_lshlrev_b32_e32 v34, 24, v34
	v_cndmask_b32_e64 v35, 0, 0xff0000, vcc_lo
	v_cmp_eq_u32_e32 vcc_lo, 0, v36
	v_cndmask_b32_e64 v36, 0, 0xff00, vcc_lo
	v_cmp_eq_u32_e32 vcc_lo, 0, v33
	v_cndmask_b32_e64 v33, 0, 0xff, vcc_lo
	v_cmp_gt_u32_e32 vcc_lo, 0x1000000, v37
	v_or_b32_e32 v40, v36, v33
	v_cndmask_b32_e64 v37, 0, -1, vcc_lo
	v_cmp_eq_u32_e32 vcc_lo, 0, v38
	v_or3_b32 v40, v40, v35, v34
	v_lshlrev_b32_e32 v37, 24, v37
	v_cndmask_b32_e64 v38, 0, 0xff0000, vcc_lo
	v_cmp_eq_u32_e32 vcc_lo, 0, v39
	v_cndmask_b32_e64 v39, 0, 0xff00, vcc_lo
	v_cmp_eq_u32_e32 vcc_lo, 0, v30
	v_cndmask_b32_e64 v30, 0, 0xff, vcc_lo
	v_add_co_u32 v12, vcc_lo, v12, 1
	v_add_co_ci_u32_e64 v13, null, 0, v13, vcc_lo
	v_or_b32_e32 v41, v39, v30
	v_add_co_u32 v14, vcc_lo, v14, 2
	v_add_co_ci_u32_e64 v15, null, 0, v15, vcc_lo
	v_or3_b32 v41, v41, v38, v37
	s_waitcnt vmcnt(2)
	v_xor_b32_e32 v31, v40, v31
	s_waitcnt vmcnt(1)
	v_xor_b32_e32 v32, v41, v32
	v_sub_nc_u32_e32 v34, v31, v34
	v_sub_nc_u32_e32 v35, v31, v35
	;; [unrolled: 1-line block ×8, first 2 shown]
	v_and_b32_e32 v32, 0xff000000, v34
	v_and_b32_e32 v34, 0xff00, v36
	v_perm_b32 v31, v35, v31, 0xc060c00
	v_and_b32_e32 v33, 0xff000000, v33
	v_and_b32_e32 v35, 0xff00, v38
	v_perm_b32 v30, v37, v30, 0xc060c00
	v_or3_b32 v31, v31, v32, v34
	v_or3_b32 v30, v30, v33, v35
	s_waitcnt vmcnt(0)
	v_dot4c_i32_i8 v26, v31, v28
	v_dot4c_i32_i8 v26, v30, v29
	s_cbranch_scc1 .LBB113_4
; %bb.5:                                ;   in Loop: Header=BB113_3 Depth=1
	v_add_co_u32 v12, vcc_lo, v8, v22
	v_add_co_ci_u32_e64 v13, null, 0, v9, vcc_lo
	v_add_nc_u32_e32 v19, 4, v19
	v_add_nc_u32_e32 v24, 4, v24
	s_clause 0x1
	global_load_ubyte v12, v[12:13], off offset:106
	global_load_ushort v8, v[8:9], off
	global_load_dword v9, v[10:11], off
	v_cmp_le_u32_e32 vcc_lo, s12, v19
	s_or_b32 s0, vcc_lo, s0
	s_waitcnt vmcnt(2)
	v_bfe_u32 v10, v12, v23, 4
	s_waitcnt vmcnt(1)
	v_cvt_f32_f16_e32 v8, v8
	s_waitcnt vmcnt(0)
	v_cvt_f32_f16_e32 v9, v9
	v_cvt_f32_ubyte0_e32 v10, v10
	v_add_f32_e32 v10, 0.5, v10
	v_mul_f32_e32 v8, v10, v8
	v_mul_f32_e32 v8, v8, v9
	v_cvt_f32_i32_e32 v9, v26
	v_mul_f32_e32 v8, 0.5, v8
	v_fmac_f32_e32 v18, v8, v9
	s_andn2_b32 exec_lo, exec_lo, s0
	s_cbranch_execnz .LBB113_3
; %bb.6:
	s_or_b32 exec_lo, exec_lo, s0
.LBB113_7:
	s_or_b32 exec_lo, exec_lo, s6
	v_mbcnt_lo_u32_b32 v2, -1, 0
	v_xor_b32_e32 v3, 16, v2
	v_xor_b32_e32 v4, 8, v2
	;; [unrolled: 1-line block ×3, first 2 shown]
	v_cmp_gt_i32_e32 vcc_lo, 32, v3
	v_cndmask_b32_e32 v3, v2, v3, vcc_lo
	v_cmp_gt_i32_e32 vcc_lo, 32, v4
	v_lshlrev_b32_e32 v3, 2, v3
	v_cndmask_b32_e32 v4, v2, v4, vcc_lo
	v_cmp_gt_i32_e32 vcc_lo, 32, v5
	ds_bpermute_b32 v3, v3, v18
	v_lshlrev_b32_e32 v4, 2, v4
	v_cndmask_b32_e32 v5, v2, v5, vcc_lo
	v_lshlrev_b32_e32 v5, 2, v5
	s_waitcnt lgkmcnt(0)
	v_add_f32_e32 v3, v18, v3
	ds_bpermute_b32 v4, v4, v3
	s_waitcnt lgkmcnt(0)
	v_add_f32_e32 v3, v3, v4
	ds_bpermute_b32 v4, v5, v3
	v_xor_b32_e32 v5, 2, v2
	v_cmp_gt_i32_e32 vcc_lo, 32, v5
	v_cndmask_b32_e32 v5, v2, v5, vcc_lo
	v_lshlrev_b32_e32 v5, 2, v5
	s_waitcnt lgkmcnt(0)
	v_add_f32_e32 v3, v3, v4
	ds_bpermute_b32 v4, v5, v3
	v_xor_b32_e32 v5, 1, v2
	v_cmp_gt_i32_e32 vcc_lo, 32, v5
	v_cndmask_b32_e32 v5, v2, v5, vcc_lo
	v_cmp_eq_u32_e32 vcc_lo, 0, v0
	s_waitcnt lgkmcnt(0)
	v_add_f32_e32 v2, v3, v4
	v_lshlrev_b32_e32 v3, 2, v5
	ds_bpermute_b32 v3, v3, v2
	s_and_b32 exec_lo, exec_lo, vcc_lo
	s_cbranch_execz .LBB113_9
; %bb.8:
	s_waitcnt lgkmcnt(0)
	v_add_f32_e32 v2, v2, v3
	v_mov_b32_e32 v4, 0x7fc0
	v_mad_u64_u32 v[0:1], null, s1, s7, v[1:2]
	v_mov_b32_e32 v1, 0
	v_bfe_u32 v3, v2, 16, 1
	v_cmp_o_f32_e32 vcc_lo, v2, v2
	v_add3_u32 v2, v2, v3, 0x7fff
	v_lshlrev_b64 v[0:1], 1, v[0:1]
	v_cndmask_b32_sdwa v2, v4, v2, vcc_lo dst_sel:DWORD dst_unused:UNUSED_PAD src0_sel:DWORD src1_sel:WORD_1
	v_add_co_u32 v0, vcc_lo, s2, v0
	v_add_co_ci_u32_e64 v1, null, s3, v1, vcc_lo
	global_store_short v[0:1], v2, off
.LBB113_9:
	s_endpgm
	.section	.rodata,"a",@progbits
	.p2align	6, 0x0
	.amdhsa_kernel _ZL13mul_mat_vec_qIN3c108BFloat16ELi256ELi8E11block_iq3_sLi1EXadL_ZL18vec_dot_iq3_s_q8_1PKvPK10block_q8_1RKiEEEvS4_S4_PT_iii
		.amdhsa_group_segment_fixed_size 0
		.amdhsa_private_segment_fixed_size 0
		.amdhsa_kernarg_size 296
		.amdhsa_user_sgpr_count 6
		.amdhsa_user_sgpr_private_segment_buffer 1
		.amdhsa_user_sgpr_dispatch_ptr 0
		.amdhsa_user_sgpr_queue_ptr 0
		.amdhsa_user_sgpr_kernarg_segment_ptr 1
		.amdhsa_user_sgpr_dispatch_id 0
		.amdhsa_user_sgpr_flat_scratch_init 0
		.amdhsa_user_sgpr_private_segment_size 0
		.amdhsa_wavefront_size32 1
		.amdhsa_uses_dynamic_stack 0
		.amdhsa_system_sgpr_private_segment_wavefront_offset 0
		.amdhsa_system_sgpr_workgroup_id_x 1
		.amdhsa_system_sgpr_workgroup_id_y 1
		.amdhsa_system_sgpr_workgroup_id_z 0
		.amdhsa_system_sgpr_workgroup_info 0
		.amdhsa_system_vgpr_workitem_id 1
		.amdhsa_next_free_vgpr 42
		.amdhsa_next_free_sgpr 14
		.amdhsa_reserve_vcc 1
		.amdhsa_reserve_flat_scratch 0
		.amdhsa_float_round_mode_32 0
		.amdhsa_float_round_mode_16_64 0
		.amdhsa_float_denorm_mode_32 3
		.amdhsa_float_denorm_mode_16_64 3
		.amdhsa_dx10_clamp 1
		.amdhsa_ieee_mode 1
		.amdhsa_fp16_overflow 0
		.amdhsa_workgroup_processor_mode 1
		.amdhsa_memory_ordered 1
		.amdhsa_forward_progress 1
		.amdhsa_shared_vgpr_count 0
		.amdhsa_exception_fp_ieee_invalid_op 0
		.amdhsa_exception_fp_denorm_src 0
		.amdhsa_exception_fp_ieee_div_zero 0
		.amdhsa_exception_fp_ieee_overflow 0
		.amdhsa_exception_fp_ieee_underflow 0
		.amdhsa_exception_fp_ieee_inexact 0
		.amdhsa_exception_int_div_zero 0
	.end_amdhsa_kernel
	.section	.text._ZL13mul_mat_vec_qIN3c108BFloat16ELi256ELi8E11block_iq3_sLi1EXadL_ZL18vec_dot_iq3_s_q8_1PKvPK10block_q8_1RKiEEEvS4_S4_PT_iii,"axG",@progbits,_ZL13mul_mat_vec_qIN3c108BFloat16ELi256ELi8E11block_iq3_sLi1EXadL_ZL18vec_dot_iq3_s_q8_1PKvPK10block_q8_1RKiEEEvS4_S4_PT_iii,comdat
.Lfunc_end113:
	.size	_ZL13mul_mat_vec_qIN3c108BFloat16ELi256ELi8E11block_iq3_sLi1EXadL_ZL18vec_dot_iq3_s_q8_1PKvPK10block_q8_1RKiEEEvS4_S4_PT_iii, .Lfunc_end113-_ZL13mul_mat_vec_qIN3c108BFloat16ELi256ELi8E11block_iq3_sLi1EXadL_ZL18vec_dot_iq3_s_q8_1PKvPK10block_q8_1RKiEEEvS4_S4_PT_iii
                                        ; -- End function
	.set _ZL13mul_mat_vec_qIN3c108BFloat16ELi256ELi8E11block_iq3_sLi1EXadL_ZL18vec_dot_iq3_s_q8_1PKvPK10block_q8_1RKiEEEvS4_S4_PT_iii.num_vgpr, 42
	.set _ZL13mul_mat_vec_qIN3c108BFloat16ELi256ELi8E11block_iq3_sLi1EXadL_ZL18vec_dot_iq3_s_q8_1PKvPK10block_q8_1RKiEEEvS4_S4_PT_iii.num_agpr, 0
	.set _ZL13mul_mat_vec_qIN3c108BFloat16ELi256ELi8E11block_iq3_sLi1EXadL_ZL18vec_dot_iq3_s_q8_1PKvPK10block_q8_1RKiEEEvS4_S4_PT_iii.numbered_sgpr, 14
	.set _ZL13mul_mat_vec_qIN3c108BFloat16ELi256ELi8E11block_iq3_sLi1EXadL_ZL18vec_dot_iq3_s_q8_1PKvPK10block_q8_1RKiEEEvS4_S4_PT_iii.num_named_barrier, 0
	.set _ZL13mul_mat_vec_qIN3c108BFloat16ELi256ELi8E11block_iq3_sLi1EXadL_ZL18vec_dot_iq3_s_q8_1PKvPK10block_q8_1RKiEEEvS4_S4_PT_iii.private_seg_size, 0
	.set _ZL13mul_mat_vec_qIN3c108BFloat16ELi256ELi8E11block_iq3_sLi1EXadL_ZL18vec_dot_iq3_s_q8_1PKvPK10block_q8_1RKiEEEvS4_S4_PT_iii.uses_vcc, 1
	.set _ZL13mul_mat_vec_qIN3c108BFloat16ELi256ELi8E11block_iq3_sLi1EXadL_ZL18vec_dot_iq3_s_q8_1PKvPK10block_q8_1RKiEEEvS4_S4_PT_iii.uses_flat_scratch, 0
	.set _ZL13mul_mat_vec_qIN3c108BFloat16ELi256ELi8E11block_iq3_sLi1EXadL_ZL18vec_dot_iq3_s_q8_1PKvPK10block_q8_1RKiEEEvS4_S4_PT_iii.has_dyn_sized_stack, 0
	.set _ZL13mul_mat_vec_qIN3c108BFloat16ELi256ELi8E11block_iq3_sLi1EXadL_ZL18vec_dot_iq3_s_q8_1PKvPK10block_q8_1RKiEEEvS4_S4_PT_iii.has_recursion, 0
	.set _ZL13mul_mat_vec_qIN3c108BFloat16ELi256ELi8E11block_iq3_sLi1EXadL_ZL18vec_dot_iq3_s_q8_1PKvPK10block_q8_1RKiEEEvS4_S4_PT_iii.has_indirect_call, 0
	.section	.AMDGPU.csdata,"",@progbits
; Kernel info:
; codeLenInByte = 1388
; TotalNumSgprs: 16
; NumVgprs: 42
; ScratchSize: 0
; MemoryBound: 0
; FloatMode: 240
; IeeeMode: 1
; LDSByteSize: 0 bytes/workgroup (compile time only)
; SGPRBlocks: 0
; VGPRBlocks: 5
; NumSGPRsForWavesPerEU: 16
; NumVGPRsForWavesPerEU: 42
; Occupancy: 16
; WaveLimiterHint : 0
; COMPUTE_PGM_RSRC2:SCRATCH_EN: 0
; COMPUTE_PGM_RSRC2:USER_SGPR: 6
; COMPUTE_PGM_RSRC2:TRAP_HANDLER: 0
; COMPUTE_PGM_RSRC2:TGID_X_EN: 1
; COMPUTE_PGM_RSRC2:TGID_Y_EN: 1
; COMPUTE_PGM_RSRC2:TGID_Z_EN: 0
; COMPUTE_PGM_RSRC2:TIDIG_COMP_CNT: 1
	.section	.text._ZL13mul_mat_vec_qIN3c108BFloat16ELi256ELi8E11block_iq2_sLi1EXadL_ZL18vec_dot_iq2_s_q8_1PKvPK10block_q8_1RKiEEEvS4_S4_PT_iii,"axG",@progbits,_ZL13mul_mat_vec_qIN3c108BFloat16ELi256ELi8E11block_iq2_sLi1EXadL_ZL18vec_dot_iq2_s_q8_1PKvPK10block_q8_1RKiEEEvS4_S4_PT_iii,comdat
	.globl	_ZL13mul_mat_vec_qIN3c108BFloat16ELi256ELi8E11block_iq2_sLi1EXadL_ZL18vec_dot_iq2_s_q8_1PKvPK10block_q8_1RKiEEEvS4_S4_PT_iii ; -- Begin function _ZL13mul_mat_vec_qIN3c108BFloat16ELi256ELi8E11block_iq2_sLi1EXadL_ZL18vec_dot_iq2_s_q8_1PKvPK10block_q8_1RKiEEEvS4_S4_PT_iii
	.p2align	8
	.type	_ZL13mul_mat_vec_qIN3c108BFloat16ELi256ELi8E11block_iq2_sLi1EXadL_ZL18vec_dot_iq2_s_q8_1PKvPK10block_q8_1RKiEEEvS4_S4_PT_iii,@function
_ZL13mul_mat_vec_qIN3c108BFloat16ELi256ELi8E11block_iq2_sLi1EXadL_ZL18vec_dot_iq2_s_q8_1PKvPK10block_q8_1RKiEEEvS4_S4_PT_iii: ; @_ZL13mul_mat_vec_qIN3c108BFloat16ELi256ELi8E11block_iq2_sLi1EXadL_ZL18vec_dot_iq2_s_q8_1PKvPK10block_q8_1RKiEEEvS4_S4_PT_iii
; %bb.0:
	s_clause 0x1
	s_load_dword s8, s[4:5], 0x34
	s_load_dwordx4 s[0:3], s[4:5], 0x18
	s_waitcnt lgkmcnt(0)
	s_lshr_b32 s3, s8, 16
	s_cmp_lt_u32 s7, s2
	v_mad_u64_u32 v[5:6], null, s6, s3, v[1:2]
	s_cselect_b32 s2, -1, 0
	v_cmp_gt_u32_e32 vcc_lo, s1, v5
	s_and_b32 s2, s2, vcc_lo
	s_and_saveexec_b32 s3, s2
	s_cbranch_execz .LBB114_7
; %bb.1:
	s_load_dwordx2 s[2:3], s[4:5], 0x10
	s_ashr_i32 s6, s0, 31
	v_lshrrev_b32_e32 v12, 3, v0
	s_lshr_b32 s6, s6, 24
	v_mov_b32_e32 v13, 0
	s_add_i32 s6, s0, s6
	s_ashr_i32 s12, s6, 8
	s_mov_b32 s6, exec_lo
	v_cmpx_gt_u32_e64 s12, v12
	s_cbranch_execz .LBB114_5
; %bb.2:
	s_load_dwordx4 s[8:11], s[4:5], 0x0
	s_addk_i32 s0, 0x1ff
	v_and_b32_e32 v14, 7, v0
	s_ashr_i32 s4, s0, 31
	v_lshlrev_b32_e32 v1, 3, v12
	s_lshr_b32 s4, s4, 23
	v_mul_lo_u32 v15, v5, s12
	s_add_i32 s0, s0, s4
	v_mov_b32_e32 v13, 0
	s_ashr_i32 s0, s0, 9
	v_lshlrev_b32_e32 v16, 2, v14
	s_mul_i32 s0, s7, s0
	s_getpc_b64 s[4:5]
	s_add_u32 s4, s4, _ZL9iq2s_grid@rel32@lo+4
	s_addc_u32 s5, s5, _ZL9iq2s_grid@rel32@hi+12
	v_lshl_add_u32 v17, s0, 4, v1
	s_waitcnt lgkmcnt(0)
	v_mad_u64_u32 v[6:7], null, v14, 36, s[10:11]
	s_mov_b32 s10, 0
.LBB114_3:                              ; =>This Inner Loop Header: Depth=1
	v_add_nc_u32_e32 v1, v15, v12
	v_mad_i64_i32 v[10:11], null, v17, 36, v[6:7]
	v_add_nc_u32_e32 v12, 4, v12
	v_add_nc_u32_e32 v17, 32, v17
	v_mad_i64_i32 v[8:9], null, 0x52, v1, s[8:9]
	s_clause 0x1
	global_load_dwordx4 v[1:4], v[10:11], off
	global_load_dword v18, v[10:11], off offset:32
	v_add_co_u32 v19, vcc_lo, v8, v16
	v_add_co_ci_u32_e64 v20, null, 0, v9, vcc_lo
	v_add_co_u32 v21, vcc_lo, v8, v14
	v_add_co_ci_u32_e64 v22, null, 0, v9, vcc_lo
	s_clause 0x3
	global_load_dword v23, v[19:20], off offset:2
	global_load_ubyte v24, v[21:22], off offset:66
	global_load_dword v20, v[19:20], off offset:34
	global_load_ubyte v19, v[21:22], off offset:74
	s_waitcnt vmcnt(5)
	v_cvt_f32_f16_e32 v1, v1
	s_waitcnt vmcnt(3)
	v_and_b32_e32 v22, 0xff, v23
	s_waitcnt vmcnt(2)
	v_lshlrev_b32_e32 v25, 8, v24
	s_waitcnt vmcnt(1)
	v_and_b32_e32 v28, 15, v20
	v_lshrrev_b16 v29, 4, v20
	v_bfe_u32 v30, v23, 8, 8
	v_lshlrev_b32_e32 v31, 6, v24
	v_lshrrev_b32_e32 v21, 24, v23
	v_lshrrev_b32_e32 v26, 8, v20
	;; [unrolled: 1-line block ×3, first 2 shown]
	v_bfe_u32 v32, v20, 8, 4
	v_bfe_u32 v23, v23, 16, 8
	v_lshlrev_b32_e32 v33, 4, v24
	v_bfe_u32 v34, v20, 16, 4
	v_bfe_u32 v35, v20, 20, 4
	;; [unrolled: 1-line block ×3, first 2 shown]
	v_lshlrev_b32_e32 v24, 2, v24
	v_and_or_b32 v22, 0x300, v25, v22
	v_mul_lo_u32 v25, 0x1010101, v28
	v_and_b32_e32 v28, 15, v29
	v_and_or_b32 v29, 0x300, v31, v30
	v_lshrrev_b16 v26, 4, v26
	v_and_or_b32 v23, 0x300, v33, v23
	v_mul_lo_u32 v20, 0x1010101, v20
	v_and_or_b32 v21, 0x300, v24, v21
	v_lshrrev_b16 v24, 4, v27
	v_lshlrev_b32_e32 v22, 3, v22
	v_lshlrev_b32_e32 v27, 3, v29
	v_and_b32_e32 v29, 15, v26
	v_lshlrev_b32_e32 v26, 3, v23
	v_lshlrev_b32_e32 v33, 3, v21
	v_mul_lo_u32 v30, 0x1010101, v32
	v_mul_lo_u32 v31, 0x1010101, v34
	;; [unrolled: 1-line block ×3, first 2 shown]
	v_and_b32_e32 v34, 0xffff, v24
	v_not_b32_e32 v35, v25
	v_not_b32_e32 v36, v20
	s_clause 0x3
	global_load_dwordx2 v[20:21], v22, s[4:5]
	global_load_dwordx2 v[22:23], v27, s[4:5]
	;; [unrolled: 1-line block ×4, first 2 shown]
	v_and_b32_e32 v28, 0xffff, v28
	v_mul_lo_u32 v33, 0x1010101, v34
	v_and_b32_e32 v34, 0x8040201, v35
	v_and_b32_e32 v37, 0x40000, v35
	;; [unrolled: 1-line block ×3, first 2 shown]
	v_not_b32_e32 v30, v30
	v_and_b32_e32 v35, 1, v35
	v_cmp_gt_u32_e32 vcc_lo, 0x1000000, v34
	v_not_b32_e32 v31, v31
	v_not_b32_e32 v32, v32
	v_and_b32_e32 v39, 0x8040201, v30
	v_and_b32_e32 v40, 0x40000, v30
	v_cndmask_b32_e64 v34, 0, -1, vcc_lo
	v_cmp_eq_u32_e32 vcc_lo, 0, v37
	v_and_b32_e32 v41, 0x200, v30
	v_and_b32_e32 v30, 1, v30
	v_and_b32_e32 v42, 0x8040201, v31
	v_and_b32_e32 v43, 0x40000, v31
	v_cndmask_b32_e64 v37, 0, 0xff0000, vcc_lo
	v_cmp_eq_u32_e32 vcc_lo, 0, v38
	v_and_b32_e32 v44, 0x200, v31
	v_and_b32_e32 v31, 1, v31
	v_and_b32_e32 v45, 0x8040201, v32
	v_and_b32_e32 v46, 0x40000, v32
	v_cndmask_b32_e64 v38, 0, 0xff00, vcc_lo
	;; [unrolled: 6-line block ×3, first 2 shown]
	v_cmp_gt_u32_e32 vcc_lo, 0x1000000, v39
	v_mul_lo_u32 v28, 0x1010101, v28
	v_and_b32_e32 v50, 0x200, v36
	v_and_b32_e32 v36, 1, v36
	;; [unrolled: 1-line block ×3, first 2 shown]
	v_cndmask_b32_e64 v39, 0, -1, vcc_lo
	v_cmp_eq_u32_e32 vcc_lo, 0, v40
	v_lshlrev_b32_e32 v34, 24, v34
	v_or_b32_e32 v51, v38, v35
	v_not_b32_e32 v28, v28
	v_mul_lo_u32 v29, 0x1010101, v29
	v_cndmask_b32_e64 v40, 0, 0xff0000, vcc_lo
	v_cmp_eq_u32_e32 vcc_lo, 0, v41
	v_not_b32_e32 v33, v33
	v_and_b32_e32 v52, 0x8040201, v28
	v_and_b32_e32 v53, 0x40000, v28
	v_and_b32_e32 v54, 0x200, v28
	v_cndmask_b32_e64 v41, 0, 0xff00, vcc_lo
	v_cmp_eq_u32_e32 vcc_lo, 0, v30
	v_not_b32_e32 v29, v29
	v_and_b32_e32 v28, 1, v28
	v_lshlrev_b32_e32 v39, 24, v39
	v_or3_b32 v51, v51, v37, v34
	v_cndmask_b32_e64 v30, 0, 0xff, vcc_lo
	v_cmp_gt_u32_e32 vcc_lo, 0x1000000, v42
	v_and_b32_e32 v60, 0x8040201, v29
	v_and_b32_e32 v61, 0x200, v29
	;; [unrolled: 1-line block ×4, first 2 shown]
	v_cndmask_b32_e64 v42, 0, -1, vcc_lo
	v_cmp_eq_u32_e32 vcc_lo, 0, v43
	v_cmp_gt_u32_e64 s0, 0x1000000, v60
	v_or_b32_e32 v55, v41, v30
	v_and_b32_e32 v58, 0x40000, v33
	v_lshlrev_b32_e32 v42, 24, v42
	v_cndmask_b32_e64 v43, 0, 0xff0000, vcc_lo
	v_cmp_eq_u32_e32 vcc_lo, 0, v44
	v_cndmask_b32_e64 v60, 0, -1, s0
	v_cmp_eq_u32_e64 s0, 0, v61
	v_or3_b32 v55, v55, v40, v39
	v_cndmask_b32_e64 v44, 0, 0xff00, vcc_lo
	v_cmp_eq_u32_e32 vcc_lo, 0, v31
	v_cndmask_b32_e64 v61, 0, 0xff00, s0
	v_cmp_eq_u32_e64 s0, 0, v29
	v_lshlrev_b32_e32 v60, 24, v60
	v_cndmask_b32_e64 v31, 0, 0xff, vcc_lo
	v_cmp_gt_u32_e32 vcc_lo, 0x1000000, v45
	v_cndmask_b32_e64 v29, 0, 0xff, s0
	v_or_b32_e32 v56, v44, v31
	v_cndmask_b32_e64 v45, 0, -1, vcc_lo
	v_cmp_eq_u32_e32 vcc_lo, 0, v46
	v_lshlrev_b32_e32 v45, 24, v45
	v_cndmask_b32_e64 v46, 0, 0xff0000, vcc_lo
	v_cmp_eq_u32_e32 vcc_lo, 0, v47
	v_cndmask_b32_e64 v47, 0, 0xff00, vcc_lo
	v_cmp_eq_u32_e32 vcc_lo, 0, v32
	v_cndmask_b32_e64 v32, 0, 0xff, vcc_lo
	v_cmp_gt_u32_e32 vcc_lo, 0x1000000, v48
	v_or_b32_e32 v57, v47, v32
	v_cndmask_b32_e64 v48, 0, -1, vcc_lo
	v_cmp_eq_u32_e32 vcc_lo, 0, v49
	v_lshlrev_b32_e32 v48, 24, v48
	v_cndmask_b32_e64 v49, 0, 0xff0000, vcc_lo
	v_cmp_eq_u32_e32 vcc_lo, 0, v50
	v_cndmask_b32_e64 v50, 0, 0xff00, vcc_lo
	v_cmp_eq_u32_e32 vcc_lo, 0, v36
	v_cndmask_b32_e64 v36, 0, 0xff, vcc_lo
	v_cmp_gt_u32_e32 vcc_lo, 0x1000000, v52
	v_cndmask_b32_e64 v52, 0, -1, vcc_lo
	v_cmp_eq_u32_e32 vcc_lo, 0, v53
	v_lshlrev_b32_e32 v52, 24, v52
	v_cndmask_b32_e64 v53, 0, 0xff0000, vcc_lo
	v_cmp_eq_u32_e32 vcc_lo, 0, v54
	v_cndmask_b32_e64 v54, 0, 0xff00, vcc_lo
	v_cmp_eq_u32_e32 vcc_lo, 0, v28
	;; [unrolled: 2-line block ×3, first 2 shown]
	v_or_b32_e32 v59, v54, v28
	v_cndmask_b32_e64 v62, 0, 0xff0000, vcc_lo
	v_cmp_eq_u32_e32 vcc_lo, 0, v58
	v_or3_b32 v59, v59, v53, v52
	s_waitcnt vmcnt(3)
	v_xor_b32_e32 v51, v51, v20
	v_xor_b32_e32 v59, v59, v21
	v_or_b32_e32 v20, v61, v29
	v_and_b32_e32 v21, 0x8040201, v33
	s_waitcnt vmcnt(2)
	v_xor_b32_e32 v55, v55, v22
	v_and_b32_e32 v22, 0x200, v33
	v_sub_nc_u32_e32 v35, v51, v35
	v_or3_b32 v20, v20, v62, v60
	v_cmp_gt_u32_e64 s0, 0x1000000, v21
	v_sub_nc_u32_e32 v40, v55, v40
	v_sub_nc_u32_e32 v30, v55, v30
	;; [unrolled: 1-line block ×3, first 2 shown]
	v_xor_b32_e32 v63, v20, v23
	v_and_b32_e32 v23, 1, v33
	v_cndmask_b32_e64 v21, 0, -1, s0
	v_cmp_eq_u32_e64 s0, 0, v22
	v_or3_b32 v33, v56, v43, v42
	v_or3_b32 v56, v57, v46, v45
	v_or_b32_e32 v20, v50, v36
	v_perm_b32 v30, v40, v30, 0xc060c00
	v_cndmask_b32_e64 v57, 0, 0xff00, s0
	v_cmp_eq_u32_e64 s0, 0, v23
	s_waitcnt vmcnt(1)
	v_xor_b32_e32 v24, v33, v24
	v_xor_b32_e32 v25, v56, v25
	v_cndmask_b32_e64 v33, 0, 0xff0000, vcc_lo
	v_lshlrev_b32_e32 v56, 24, v21
	v_cndmask_b32_e64 v58, 0, 0xff, s0
	v_or3_b32 v20, v20, v49, v48
	v_sub_nc_u32_e32 v42, v24, v42
	v_sub_nc_u32_e32 v43, v24, v43
	v_sub_nc_u32_e32 v44, v24, v44
	v_or_b32_e32 v21, v57, v58
	s_waitcnt vmcnt(0)
	v_xor_b32_e32 v26, v20, v26
	v_sub_nc_u32_e32 v24, v24, v31
	v_sub_nc_u32_e32 v31, v25, v45
	;; [unrolled: 1-line block ×3, first 2 shown]
	v_or3_b32 v21, v21, v33, v56
	v_sub_nc_u32_e32 v46, v25, v47
	v_sub_nc_u32_e32 v25, v25, v32
	v_and_b32_e32 v40, 0xff000000, v42
	v_and_b32_e32 v42, 0xff00, v44
	v_xor_b32_e32 v27, v21, v27
	global_load_dwordx4 v[20:23], v[10:11], off offset:16
	global_load_ushort v8, v[8:9], off
	v_sub_nc_u32_e32 v10, v51, v34
	v_sub_nc_u32_e32 v11, v51, v37
	;; [unrolled: 1-line block ×3, first 2 shown]
	v_perm_b32 v24, v43, v24, 0xc060c00
	v_mov_b32_e32 v9, 0
	v_sub_nc_u32_e32 v38, v59, v52
	v_sub_nc_u32_e32 v51, v59, v53
	v_sub_nc_u32_e32 v52, v59, v54
	v_sub_nc_u32_e32 v32, v26, v48
	v_sub_nc_u32_e32 v47, v26, v49
	v_sub_nc_u32_e32 v48, v26, v50
	v_sub_nc_u32_e32 v26, v26, v36
	v_sub_nc_u32_e32 v36, v27, v56
	v_sub_nc_u32_e32 v33, v27, v33
	v_sub_nc_u32_e32 v49, v27, v57
	v_sub_nc_u32_e32 v27, v27, v58
	v_and_b32_e32 v10, 0xff000000, v10
	v_perm_b32 v11, v11, v35, 0xc060c00
	v_and_b32_e32 v31, 0xff000000, v31
	v_and_b32_e32 v43, 0xff00, v46
	v_perm_b32 v25, v45, v25, 0xc060c00
	v_and_b32_e32 v34, 0xff00, v34
	v_or3_b32 v24, v24, v40, v42
	v_mov_b32_e32 v37, 0
	v_sub_nc_u32_e32 v39, v55, v39
	v_sub_nc_u32_e32 v41, v55, v41
	v_and_b32_e32 v35, 0xff000000, v38
	v_perm_b32 v28, v51, v28, 0xc060c00
	v_and_b32_e32 v32, 0xff000000, v32
	v_and_b32_e32 v44, 0xff00, v48
	v_perm_b32 v26, v47, v26, 0xc060c00
	v_perm_b32 v27, v33, v27, 0xc060c00
	v_and_b32_e32 v33, 0xff00, v52
	v_or3_b32 v25, v25, v31, v43
	v_or3_b32 v10, v11, v10, v34
	v_sub_nc_u32_e32 v54, v63, v60
	v_sub_nc_u32_e32 v55, v63, v62
	;; [unrolled: 1-line block ×4, first 2 shown]
	v_and_b32_e32 v38, 0xff000000, v39
	v_and_b32_e32 v36, 0xff000000, v36
	;; [unrolled: 1-line block ×4, first 2 shown]
	v_dot4c_i32_i8 v37, v10, v2
	v_lshrrev_b16 v53, 4, v19
	v_and_b32_e32 v39, 0xff000000, v54
	v_perm_b32 v29, v55, v29, 0xc060c00
	v_and_b32_e32 v2, 0xff00, v59
	v_or3_b32 v10, v27, v36, v45
	v_or3_b32 v11, v30, v38, v11
	v_cmp_le_u32_e32 vcc_lo, s12, v12
	v_or3_b32 v2, v29, v39, v2
	s_or_b32 s10, vcc_lo, s10
	s_waitcnt vmcnt(1)
	v_dot4c_i32_i8 v9, v24, v21
	v_or3_b32 v21, v26, v32, v44
	v_or3_b32 v24, v28, v35, v33
	v_dot4c_i32_i8 v9, v25, v22
	v_dot4c_i32_i8 v37, v24, v3
	v_and_b32_e32 v3, 15, v19
	v_cvt_f32_ubyte0_e32 v19, v53
	v_dot4c_i32_i8 v9, v21, v23
	v_dot4c_i32_i8 v37, v11, v4
	s_waitcnt vmcnt(0)
	v_cvt_f32_f16_e32 v4, v8
	v_cvt_f32_ubyte0_e32 v3, v3
	v_dot4c_i32_i8 v9, v10, v18
	v_add_f32_e32 v8, 0.5, v19
	v_dot4c_i32_i8 v37, v2, v20
	v_mul_f32_e32 v1, v4, v1
	v_add_f32_e32 v3, 0.5, v3
	v_cvt_f32_i32_e32 v2, v9
	v_cvt_f32_i32_e32 v4, v37
	v_mul_f32_e32 v1, 0x3e800000, v1
	v_mul_f32_e32 v2, v8, v2
	v_fmac_f32_e32 v2, v3, v4
	v_fmac_f32_e32 v13, v1, v2
	s_andn2_b32 exec_lo, exec_lo, s10
	s_cbranch_execnz .LBB114_3
; %bb.4:
	s_or_b32 exec_lo, exec_lo, s10
.LBB114_5:
	s_or_b32 exec_lo, exec_lo, s6
	v_mbcnt_lo_u32_b32 v1, -1, 0
	v_xor_b32_e32 v2, 16, v1
	v_xor_b32_e32 v3, 8, v1
	;; [unrolled: 1-line block ×3, first 2 shown]
	v_cmp_gt_i32_e32 vcc_lo, 32, v2
	v_cndmask_b32_e32 v2, v1, v2, vcc_lo
	v_cmp_gt_i32_e32 vcc_lo, 32, v3
	v_lshlrev_b32_e32 v2, 2, v2
	v_cndmask_b32_e32 v3, v1, v3, vcc_lo
	v_cmp_gt_i32_e32 vcc_lo, 32, v4
	ds_bpermute_b32 v2, v2, v13
	v_lshlrev_b32_e32 v3, 2, v3
	v_cndmask_b32_e32 v4, v1, v4, vcc_lo
	v_lshlrev_b32_e32 v4, 2, v4
	s_waitcnt lgkmcnt(0)
	v_add_f32_e32 v2, v13, v2
	ds_bpermute_b32 v3, v3, v2
	s_waitcnt lgkmcnt(0)
	v_add_f32_e32 v2, v2, v3
	ds_bpermute_b32 v3, v4, v2
	v_xor_b32_e32 v4, 2, v1
	v_cmp_gt_i32_e32 vcc_lo, 32, v4
	v_cndmask_b32_e32 v4, v1, v4, vcc_lo
	v_lshlrev_b32_e32 v4, 2, v4
	s_waitcnt lgkmcnt(0)
	v_add_f32_e32 v2, v2, v3
	ds_bpermute_b32 v3, v4, v2
	v_xor_b32_e32 v4, 1, v1
	v_cmp_gt_i32_e32 vcc_lo, 32, v4
	v_cndmask_b32_e32 v4, v1, v4, vcc_lo
	v_cmp_eq_u32_e32 vcc_lo, 0, v0
	s_waitcnt lgkmcnt(0)
	v_add_f32_e32 v1, v2, v3
	v_lshlrev_b32_e32 v2, 2, v4
	ds_bpermute_b32 v2, v2, v1
	s_and_b32 exec_lo, exec_lo, vcc_lo
	s_cbranch_execz .LBB114_7
; %bb.6:
	s_waitcnt lgkmcnt(0)
	v_add_f32_e32 v2, v1, v2
	v_mad_u64_u32 v[0:1], null, s1, s7, v[5:6]
	v_mov_b32_e32 v1, 0
	v_mov_b32_e32 v4, 0x7fc0
	v_bfe_u32 v3, v2, 16, 1
	v_cmp_o_f32_e32 vcc_lo, v2, v2
	v_lshlrev_b64 v[0:1], 1, v[0:1]
	v_add3_u32 v2, v2, v3, 0x7fff
	v_cndmask_b32_sdwa v2, v4, v2, vcc_lo dst_sel:DWORD dst_unused:UNUSED_PAD src0_sel:DWORD src1_sel:WORD_1
	v_add_co_u32 v0, vcc_lo, s2, v0
	v_add_co_ci_u32_e64 v1, null, s3, v1, vcc_lo
	global_store_short v[0:1], v2, off
.LBB114_7:
	s_endpgm
	.section	.rodata,"a",@progbits
	.p2align	6, 0x0
	.amdhsa_kernel _ZL13mul_mat_vec_qIN3c108BFloat16ELi256ELi8E11block_iq2_sLi1EXadL_ZL18vec_dot_iq2_s_q8_1PKvPK10block_q8_1RKiEEEvS4_S4_PT_iii
		.amdhsa_group_segment_fixed_size 0
		.amdhsa_private_segment_fixed_size 0
		.amdhsa_kernarg_size 296
		.amdhsa_user_sgpr_count 6
		.amdhsa_user_sgpr_private_segment_buffer 1
		.amdhsa_user_sgpr_dispatch_ptr 0
		.amdhsa_user_sgpr_queue_ptr 0
		.amdhsa_user_sgpr_kernarg_segment_ptr 1
		.amdhsa_user_sgpr_dispatch_id 0
		.amdhsa_user_sgpr_flat_scratch_init 0
		.amdhsa_user_sgpr_private_segment_size 0
		.amdhsa_wavefront_size32 1
		.amdhsa_uses_dynamic_stack 0
		.amdhsa_system_sgpr_private_segment_wavefront_offset 0
		.amdhsa_system_sgpr_workgroup_id_x 1
		.amdhsa_system_sgpr_workgroup_id_y 1
		.amdhsa_system_sgpr_workgroup_id_z 0
		.amdhsa_system_sgpr_workgroup_info 0
		.amdhsa_system_vgpr_workitem_id 1
		.amdhsa_next_free_vgpr 64
		.amdhsa_next_free_sgpr 13
		.amdhsa_reserve_vcc 1
		.amdhsa_reserve_flat_scratch 0
		.amdhsa_float_round_mode_32 0
		.amdhsa_float_round_mode_16_64 0
		.amdhsa_float_denorm_mode_32 3
		.amdhsa_float_denorm_mode_16_64 3
		.amdhsa_dx10_clamp 1
		.amdhsa_ieee_mode 1
		.amdhsa_fp16_overflow 0
		.amdhsa_workgroup_processor_mode 1
		.amdhsa_memory_ordered 1
		.amdhsa_forward_progress 1
		.amdhsa_shared_vgpr_count 0
		.amdhsa_exception_fp_ieee_invalid_op 0
		.amdhsa_exception_fp_denorm_src 0
		.amdhsa_exception_fp_ieee_div_zero 0
		.amdhsa_exception_fp_ieee_overflow 0
		.amdhsa_exception_fp_ieee_underflow 0
		.amdhsa_exception_fp_ieee_inexact 0
		.amdhsa_exception_int_div_zero 0
	.end_amdhsa_kernel
	.section	.text._ZL13mul_mat_vec_qIN3c108BFloat16ELi256ELi8E11block_iq2_sLi1EXadL_ZL18vec_dot_iq2_s_q8_1PKvPK10block_q8_1RKiEEEvS4_S4_PT_iii,"axG",@progbits,_ZL13mul_mat_vec_qIN3c108BFloat16ELi256ELi8E11block_iq2_sLi1EXadL_ZL18vec_dot_iq2_s_q8_1PKvPK10block_q8_1RKiEEEvS4_S4_PT_iii,comdat
.Lfunc_end114:
	.size	_ZL13mul_mat_vec_qIN3c108BFloat16ELi256ELi8E11block_iq2_sLi1EXadL_ZL18vec_dot_iq2_s_q8_1PKvPK10block_q8_1RKiEEEvS4_S4_PT_iii, .Lfunc_end114-_ZL13mul_mat_vec_qIN3c108BFloat16ELi256ELi8E11block_iq2_sLi1EXadL_ZL18vec_dot_iq2_s_q8_1PKvPK10block_q8_1RKiEEEvS4_S4_PT_iii
                                        ; -- End function
	.set _ZL13mul_mat_vec_qIN3c108BFloat16ELi256ELi8E11block_iq2_sLi1EXadL_ZL18vec_dot_iq2_s_q8_1PKvPK10block_q8_1RKiEEEvS4_S4_PT_iii.num_vgpr, 64
	.set _ZL13mul_mat_vec_qIN3c108BFloat16ELi256ELi8E11block_iq2_sLi1EXadL_ZL18vec_dot_iq2_s_q8_1PKvPK10block_q8_1RKiEEEvS4_S4_PT_iii.num_agpr, 0
	.set _ZL13mul_mat_vec_qIN3c108BFloat16ELi256ELi8E11block_iq2_sLi1EXadL_ZL18vec_dot_iq2_s_q8_1PKvPK10block_q8_1RKiEEEvS4_S4_PT_iii.numbered_sgpr, 13
	.set _ZL13mul_mat_vec_qIN3c108BFloat16ELi256ELi8E11block_iq2_sLi1EXadL_ZL18vec_dot_iq2_s_q8_1PKvPK10block_q8_1RKiEEEvS4_S4_PT_iii.num_named_barrier, 0
	.set _ZL13mul_mat_vec_qIN3c108BFloat16ELi256ELi8E11block_iq2_sLi1EXadL_ZL18vec_dot_iq2_s_q8_1PKvPK10block_q8_1RKiEEEvS4_S4_PT_iii.private_seg_size, 0
	.set _ZL13mul_mat_vec_qIN3c108BFloat16ELi256ELi8E11block_iq2_sLi1EXadL_ZL18vec_dot_iq2_s_q8_1PKvPK10block_q8_1RKiEEEvS4_S4_PT_iii.uses_vcc, 1
	.set _ZL13mul_mat_vec_qIN3c108BFloat16ELi256ELi8E11block_iq2_sLi1EXadL_ZL18vec_dot_iq2_s_q8_1PKvPK10block_q8_1RKiEEEvS4_S4_PT_iii.uses_flat_scratch, 0
	.set _ZL13mul_mat_vec_qIN3c108BFloat16ELi256ELi8E11block_iq2_sLi1EXadL_ZL18vec_dot_iq2_s_q8_1PKvPK10block_q8_1RKiEEEvS4_S4_PT_iii.has_dyn_sized_stack, 0
	.set _ZL13mul_mat_vec_qIN3c108BFloat16ELi256ELi8E11block_iq2_sLi1EXadL_ZL18vec_dot_iq2_s_q8_1PKvPK10block_q8_1RKiEEEvS4_S4_PT_iii.has_recursion, 0
	.set _ZL13mul_mat_vec_qIN3c108BFloat16ELi256ELi8E11block_iq2_sLi1EXadL_ZL18vec_dot_iq2_s_q8_1PKvPK10block_q8_1RKiEEEvS4_S4_PT_iii.has_indirect_call, 0
	.section	.AMDGPU.csdata,"",@progbits
; Kernel info:
; codeLenInByte = 2492
; TotalNumSgprs: 15
; NumVgprs: 64
; ScratchSize: 0
; MemoryBound: 0
; FloatMode: 240
; IeeeMode: 1
; LDSByteSize: 0 bytes/workgroup (compile time only)
; SGPRBlocks: 0
; VGPRBlocks: 7
; NumSGPRsForWavesPerEU: 15
; NumVGPRsForWavesPerEU: 64
; Occupancy: 16
; WaveLimiterHint : 0
; COMPUTE_PGM_RSRC2:SCRATCH_EN: 0
; COMPUTE_PGM_RSRC2:USER_SGPR: 6
; COMPUTE_PGM_RSRC2:TRAP_HANDLER: 0
; COMPUTE_PGM_RSRC2:TGID_X_EN: 1
; COMPUTE_PGM_RSRC2:TGID_Y_EN: 1
; COMPUTE_PGM_RSRC2:TGID_Z_EN: 0
; COMPUTE_PGM_RSRC2:TIDIG_COMP_CNT: 1
	.section	.text._ZL13mul_mat_vec_qIN3c108BFloat16ELi256ELi8E12block_iq4_xsLi1EXadL_ZL19vec_dot_iq4_xs_q8_1PKvPK10block_q8_1RKiEEEvS4_S4_PT_iii,"axG",@progbits,_ZL13mul_mat_vec_qIN3c108BFloat16ELi256ELi8E12block_iq4_xsLi1EXadL_ZL19vec_dot_iq4_xs_q8_1PKvPK10block_q8_1RKiEEEvS4_S4_PT_iii,comdat
	.globl	_ZL13mul_mat_vec_qIN3c108BFloat16ELi256ELi8E12block_iq4_xsLi1EXadL_ZL19vec_dot_iq4_xs_q8_1PKvPK10block_q8_1RKiEEEvS4_S4_PT_iii ; -- Begin function _ZL13mul_mat_vec_qIN3c108BFloat16ELi256ELi8E12block_iq4_xsLi1EXadL_ZL19vec_dot_iq4_xs_q8_1PKvPK10block_q8_1RKiEEEvS4_S4_PT_iii
	.p2align	8
	.type	_ZL13mul_mat_vec_qIN3c108BFloat16ELi256ELi8E12block_iq4_xsLi1EXadL_ZL19vec_dot_iq4_xs_q8_1PKvPK10block_q8_1RKiEEEvS4_S4_PT_iii,@function
_ZL13mul_mat_vec_qIN3c108BFloat16ELi256ELi8E12block_iq4_xsLi1EXadL_ZL19vec_dot_iq4_xs_q8_1PKvPK10block_q8_1RKiEEEvS4_S4_PT_iii: ; @_ZL13mul_mat_vec_qIN3c108BFloat16ELi256ELi8E12block_iq4_xsLi1EXadL_ZL19vec_dot_iq4_xs_q8_1PKvPK10block_q8_1RKiEEEvS4_S4_PT_iii
; %bb.0:
	s_clause 0x1
	s_load_dword s8, s[4:5], 0x34
	s_load_dwordx4 s[0:3], s[4:5], 0x18
	s_waitcnt lgkmcnt(0)
	s_lshr_b32 s3, s8, 16
	s_cmp_lt_u32 s7, s2
	v_mad_u64_u32 v[1:2], null, s6, s3, v[1:2]
	s_cselect_b32 s2, -1, 0
	v_cmp_gt_u32_e32 vcc_lo, s1, v1
	s_and_b32 s2, s2, vcc_lo
	s_and_saveexec_b32 s3, s2
	s_cbranch_execz .LBB115_7
; %bb.1:
	s_load_dwordx2 s[2:3], s[4:5], 0x10
	s_ashr_i32 s6, s0, 31
	v_lshrrev_b32_e32 v5, 3, v0
	s_lshr_b32 s6, s6, 24
	v_mov_b32_e32 v4, 0
	s_add_i32 s6, s0, s6
	s_ashr_i32 s12, s6, 8
	s_mov_b32 s6, exec_lo
	v_cmpx_gt_u32_e64 s12, v5
	s_cbranch_execz .LBB115_5
; %bb.2:
	s_load_dwordx4 s[8:11], s[4:5], 0x0
	s_addk_i32 s0, 0x1ff
	v_and_b32_e32 v9, 7, v0
	s_ashr_i32 s4, s0, 31
	v_lshlrev_b32_e32 v8, 2, v0
	s_lshr_b32 s4, s4, 23
	v_lshlrev_b32_e32 v10, 3, v5
	s_add_i32 s0, s0, s4
	v_lshlrev_b32_e32 v11, 2, v9
	s_ashr_i32 s0, s0, 9
	v_mul_lo_u32 v6, v1, s12
	s_mul_i32 s0, s7, s0
	v_mov_b32_e32 v4, 0
	v_bfe_u32 v7, v0, 1, 2
	v_and_b32_e32 v8, 4, v8
	v_lshl_add_u32 v10, s0, 4, v10
	v_lshlrev_b32_e32 v11, 2, v11
	s_mov_b32 s0, 0
	s_getpc_b64 s[4:5]
	s_add_u32 s4, s4, _ZL13kvalues_iq4nl@rel32@lo+4
	s_addc_u32 s5, s5, _ZL13kvalues_iq4nl@rel32@hi+12
	s_waitcnt lgkmcnt(0)
	v_mad_u64_u32 v[2:3], null, v9, 36, s[10:11]
	v_lshlrev_b32_e32 v9, 1, v9
.LBB115_3:                              ; =>This Inner Loop Header: Depth=1
	v_add_nc_u32_e32 v12, v6, v5
	v_mad_i64_i32 v[26:27], null, v10, 36, v[2:3]
	v_mov_b32_e32 v56, 0
	v_add_nc_u32_e32 v5, 4, v5
	v_mad_i64_i32 v[24:25], null, 0x88, v12, s[8:9]
	v_add_nc_u32_e32 v10, 32, v10
	v_add_co_u32 v12, vcc_lo, v24, v11
	v_add_co_ci_u32_e64 v13, null, 0, v25, vcc_lo
	v_add_co_u32 v16, vcc_lo, v24, v7
	v_add_co_ci_u32_e64 v17, null, 0, v25, vcc_lo
	s_clause 0x1
	global_load_dwordx4 v[12:15], v[12:13], off offset:8
	global_load_ubyte v28, v[16:17], off offset:4
	s_clause 0x1
	global_load_dwordx4 v[16:19], v[26:27], off
	global_load_dwordx4 v[20:23], v[26:27], off offset:16
	global_load_dword v24, v[24:25], off
	v_cmp_le_u32_e32 vcc_lo, s12, v5
	s_or_b32 s0, vcc_lo, s0
	s_waitcnt vmcnt(4)
	v_and_b32_e32 v29, 15, v12
	v_bfe_u32 v30, v12, 8, 4
	v_bfe_u32 v31, v12, 16, 4
	;; [unrolled: 1-line block ×5, first 2 shown]
	v_lshrrev_b32_e32 v33, 28, v12
	v_bfe_u32 v12, v12, 12, 4
	v_bfe_u32 v35, v13, 24, 4
	v_and_b32_e32 v36, 15, v13
	v_bfe_u32 v37, v13, 8, 4
	v_bfe_u32 v38, v13, 16, 4
	v_bfe_u32 v39, v13, 20, 4
	v_lshrrev_b32_e32 v40, 28, v13
	v_bfe_u32 v41, v13, 4, 4
	v_bfe_u32 v13, v13, 12, 4
	v_bfe_u32 v42, v14, 24, 4
	v_and_b32_e32 v43, 15, v14
	v_bfe_u32 v44, v14, 8, 4
	v_bfe_u32 v45, v14, 16, 4
	v_bfe_u32 v46, v14, 20, 4
	v_lshrrev_b32_e32 v47, 28, v14
	v_bfe_u32 v48, v14, 4, 4
	;; [unrolled: 8-line block ×3, first 2 shown]
	v_bfe_u32 v15, v15, 12, 4
	s_clause 0x1f
	global_load_ubyte v29, v29, s[4:5]
	global_load_ubyte v30, v30, s[4:5]
	;; [unrolled: 1-line block ×32, first 2 shown]
	global_load_dword v26, v[26:27], off offset:32
	v_mov_b32_e32 v27, 0
	s_waitcnt vmcnt(33)
	v_lshrrev_b32_sdwa v57, v9, v24 dst_sel:DWORD dst_unused:UNUSED_PAD src0_sel:DWORD src1_sel:WORD_1
	v_bfe_u32 v28, v28, v8, 4
	v_lshlrev_b32_e32 v57, 4, v57
	v_and_or_b32 v28, v57, 48, v28
	s_waitcnt vmcnt(31)
	v_lshl_or_b32 v29, v30, 8, v29
	s_waitcnt vmcnt(30)
	v_lshlrev_b32_e32 v31, 16, v31
	s_waitcnt vmcnt(28)
	v_lshl_or_b32 v12, v12, 8, v34
	s_waitcnt vmcnt(27)
	v_lshlrev_b32_e32 v32, 16, v32
	s_waitcnt vmcnt(26)
	v_lshlrev_b32_e32 v30, 24, v33
	s_waitcnt vmcnt(25)
	v_lshlrev_b32_e32 v25, 24, v25
	s_waitcnt vmcnt(22)
	v_lshlrev_b32_e32 v34, 16, v38
	v_or3_b32 v12, v12, v32, v30
	s_waitcnt vmcnt(20)
	v_lshl_or_b32 v13, v13, 8, v41
	v_or3_b32 v25, v29, v31, v25
	s_waitcnt vmcnt(17)
	v_lshlrev_b32_e32 v33, 24, v35
	v_lshl_or_b32 v35, v37, 8, v36
	v_lshlrev_b32_e32 v36, 24, v40
	v_lshlrev_b32_e32 v37, 16, v39
	s_waitcnt vmcnt(14)
	v_lshlrev_b32_e32 v39, 16, v45
	v_lshl_or_b32 v40, v44, 8, v43
	s_waitcnt vmcnt(12)
	v_lshl_or_b32 v14, v14, 8, v48
	s_waitcnt vmcnt(10)
	v_lshlrev_b32_e32 v41, 24, v47
	s_waitcnt vmcnt(9)
	v_lshlrev_b32_e32 v38, 24, v42
	v_lshlrev_b32_e32 v42, 16, v46
	v_or3_b32 v30, v35, v34, v33
	v_or3_b32 v13, v13, v37, v36
	v_dot4c_i32_i8 v27, v25, v17
	v_dot4c_i32_i8 v56, v12, v21
	s_waitcnt vmcnt(3)
	v_lshlrev_b32_e32 v43, 24, v49
	v_lshlrev_b32_e32 v44, 16, v52
	s_waitcnt vmcnt(2)
	v_lshl_or_b32 v45, v51, 8, v50
	v_lshlrev_b32_e32 v46, 24, v54
	v_lshlrev_b32_e32 v29, 16, v53
	s_waitcnt vmcnt(1)
	v_lshl_or_b32 v12, v15, 8, v55
	v_or3_b32 v15, v40, v39, v38
	v_or3_b32 v14, v14, v42, v41
	v_dot4c_i32_i8 v27, v30, v18
	v_dot4c_i32_i8 v56, v13, v22
	v_subrev_nc_u32_e32 v13, 32, v28
	v_or3_b32 v17, v45, v44, v43
	v_or3_b32 v12, v12, v29, v46
	v_dot4c_i32_i8 v27, v15, v19
	v_dot4c_i32_i8 v56, v14, v23
	v_cvt_f32_f16_e32 v14, v24
	v_cvt_f32_i32_e32 v13, v13
	v_dot4c_i32_i8 v27, v17, v20
	s_waitcnt vmcnt(0)
	v_dot4c_i32_i8 v56, v12, v26
	v_cvt_f32_f16_e32 v12, v16
	v_mul_f32_e32 v13, v14, v13
	v_add_nc_u32_e32 v14, v56, v27
	v_mul_f32_e32 v12, v13, v12
	v_cvt_f32_i32_e32 v13, v14
	v_fmac_f32_e32 v4, v12, v13
	s_andn2_b32 exec_lo, exec_lo, s0
	s_cbranch_execnz .LBB115_3
; %bb.4:
	s_or_b32 exec_lo, exec_lo, s0
.LBB115_5:
	s_or_b32 exec_lo, exec_lo, s6
	v_mbcnt_lo_u32_b32 v2, -1, 0
	v_xor_b32_e32 v3, 16, v2
	v_xor_b32_e32 v5, 8, v2
	v_cmp_gt_i32_e32 vcc_lo, 32, v3
	v_cndmask_b32_e32 v3, v2, v3, vcc_lo
	v_cmp_gt_i32_e32 vcc_lo, 32, v5
	v_lshlrev_b32_e32 v3, 2, v3
	v_cndmask_b32_e32 v5, v2, v5, vcc_lo
	ds_bpermute_b32 v3, v3, v4
	v_lshlrev_b32_e32 v5, 2, v5
	s_waitcnt lgkmcnt(0)
	v_add_f32_e32 v3, v4, v3
	ds_bpermute_b32 v4, v5, v3
	v_xor_b32_e32 v5, 4, v2
	v_cmp_gt_i32_e32 vcc_lo, 32, v5
	v_cndmask_b32_e32 v5, v2, v5, vcc_lo
	v_lshlrev_b32_e32 v5, 2, v5
	s_waitcnt lgkmcnt(0)
	v_add_f32_e32 v3, v3, v4
	ds_bpermute_b32 v4, v5, v3
	v_xor_b32_e32 v5, 2, v2
	v_cmp_gt_i32_e32 vcc_lo, 32, v5
	v_cndmask_b32_e32 v5, v2, v5, vcc_lo
	;; [unrolled: 7-line block ×3, first 2 shown]
	v_cmp_eq_u32_e32 vcc_lo, 0, v0
	s_waitcnt lgkmcnt(0)
	v_add_f32_e32 v2, v3, v4
	v_lshlrev_b32_e32 v3, 2, v5
	ds_bpermute_b32 v3, v3, v2
	s_and_b32 exec_lo, exec_lo, vcc_lo
	s_cbranch_execz .LBB115_7
; %bb.6:
	s_waitcnt lgkmcnt(0)
	v_add_f32_e32 v2, v2, v3
	v_mov_b32_e32 v4, 0x7fc0
	v_mad_u64_u32 v[0:1], null, s1, s7, v[1:2]
	v_mov_b32_e32 v1, 0
	v_bfe_u32 v3, v2, 16, 1
	v_cmp_o_f32_e32 vcc_lo, v2, v2
	v_add3_u32 v2, v2, v3, 0x7fff
	v_lshlrev_b64 v[0:1], 1, v[0:1]
	v_cndmask_b32_sdwa v2, v4, v2, vcc_lo dst_sel:DWORD dst_unused:UNUSED_PAD src0_sel:DWORD src1_sel:WORD_1
	v_add_co_u32 v0, vcc_lo, s2, v0
	v_add_co_ci_u32_e64 v1, null, s3, v1, vcc_lo
	global_store_short v[0:1], v2, off
.LBB115_7:
	s_endpgm
	.section	.rodata,"a",@progbits
	.p2align	6, 0x0
	.amdhsa_kernel _ZL13mul_mat_vec_qIN3c108BFloat16ELi256ELi8E12block_iq4_xsLi1EXadL_ZL19vec_dot_iq4_xs_q8_1PKvPK10block_q8_1RKiEEEvS4_S4_PT_iii
		.amdhsa_group_segment_fixed_size 0
		.amdhsa_private_segment_fixed_size 0
		.amdhsa_kernarg_size 296
		.amdhsa_user_sgpr_count 6
		.amdhsa_user_sgpr_private_segment_buffer 1
		.amdhsa_user_sgpr_dispatch_ptr 0
		.amdhsa_user_sgpr_queue_ptr 0
		.amdhsa_user_sgpr_kernarg_segment_ptr 1
		.amdhsa_user_sgpr_dispatch_id 0
		.amdhsa_user_sgpr_flat_scratch_init 0
		.amdhsa_user_sgpr_private_segment_size 0
		.amdhsa_wavefront_size32 1
		.amdhsa_uses_dynamic_stack 0
		.amdhsa_system_sgpr_private_segment_wavefront_offset 0
		.amdhsa_system_sgpr_workgroup_id_x 1
		.amdhsa_system_sgpr_workgroup_id_y 1
		.amdhsa_system_sgpr_workgroup_id_z 0
		.amdhsa_system_sgpr_workgroup_info 0
		.amdhsa_system_vgpr_workitem_id 1
		.amdhsa_next_free_vgpr 58
		.amdhsa_next_free_sgpr 13
		.amdhsa_reserve_vcc 1
		.amdhsa_reserve_flat_scratch 0
		.amdhsa_float_round_mode_32 0
		.amdhsa_float_round_mode_16_64 0
		.amdhsa_float_denorm_mode_32 3
		.amdhsa_float_denorm_mode_16_64 3
		.amdhsa_dx10_clamp 1
		.amdhsa_ieee_mode 1
		.amdhsa_fp16_overflow 0
		.amdhsa_workgroup_processor_mode 1
		.amdhsa_memory_ordered 1
		.amdhsa_forward_progress 1
		.amdhsa_shared_vgpr_count 0
		.amdhsa_exception_fp_ieee_invalid_op 0
		.amdhsa_exception_fp_denorm_src 0
		.amdhsa_exception_fp_ieee_div_zero 0
		.amdhsa_exception_fp_ieee_overflow 0
		.amdhsa_exception_fp_ieee_underflow 0
		.amdhsa_exception_fp_ieee_inexact 0
		.amdhsa_exception_int_div_zero 0
	.end_amdhsa_kernel
	.section	.text._ZL13mul_mat_vec_qIN3c108BFloat16ELi256ELi8E12block_iq4_xsLi1EXadL_ZL19vec_dot_iq4_xs_q8_1PKvPK10block_q8_1RKiEEEvS4_S4_PT_iii,"axG",@progbits,_ZL13mul_mat_vec_qIN3c108BFloat16ELi256ELi8E12block_iq4_xsLi1EXadL_ZL19vec_dot_iq4_xs_q8_1PKvPK10block_q8_1RKiEEEvS4_S4_PT_iii,comdat
.Lfunc_end115:
	.size	_ZL13mul_mat_vec_qIN3c108BFloat16ELi256ELi8E12block_iq4_xsLi1EXadL_ZL19vec_dot_iq4_xs_q8_1PKvPK10block_q8_1RKiEEEvS4_S4_PT_iii, .Lfunc_end115-_ZL13mul_mat_vec_qIN3c108BFloat16ELi256ELi8E12block_iq4_xsLi1EXadL_ZL19vec_dot_iq4_xs_q8_1PKvPK10block_q8_1RKiEEEvS4_S4_PT_iii
                                        ; -- End function
	.set _ZL13mul_mat_vec_qIN3c108BFloat16ELi256ELi8E12block_iq4_xsLi1EXadL_ZL19vec_dot_iq4_xs_q8_1PKvPK10block_q8_1RKiEEEvS4_S4_PT_iii.num_vgpr, 58
	.set _ZL13mul_mat_vec_qIN3c108BFloat16ELi256ELi8E12block_iq4_xsLi1EXadL_ZL19vec_dot_iq4_xs_q8_1PKvPK10block_q8_1RKiEEEvS4_S4_PT_iii.num_agpr, 0
	.set _ZL13mul_mat_vec_qIN3c108BFloat16ELi256ELi8E12block_iq4_xsLi1EXadL_ZL19vec_dot_iq4_xs_q8_1PKvPK10block_q8_1RKiEEEvS4_S4_PT_iii.numbered_sgpr, 13
	.set _ZL13mul_mat_vec_qIN3c108BFloat16ELi256ELi8E12block_iq4_xsLi1EXadL_ZL19vec_dot_iq4_xs_q8_1PKvPK10block_q8_1RKiEEEvS4_S4_PT_iii.num_named_barrier, 0
	.set _ZL13mul_mat_vec_qIN3c108BFloat16ELi256ELi8E12block_iq4_xsLi1EXadL_ZL19vec_dot_iq4_xs_q8_1PKvPK10block_q8_1RKiEEEvS4_S4_PT_iii.private_seg_size, 0
	.set _ZL13mul_mat_vec_qIN3c108BFloat16ELi256ELi8E12block_iq4_xsLi1EXadL_ZL19vec_dot_iq4_xs_q8_1PKvPK10block_q8_1RKiEEEvS4_S4_PT_iii.uses_vcc, 1
	.set _ZL13mul_mat_vec_qIN3c108BFloat16ELi256ELi8E12block_iq4_xsLi1EXadL_ZL19vec_dot_iq4_xs_q8_1PKvPK10block_q8_1RKiEEEvS4_S4_PT_iii.uses_flat_scratch, 0
	.set _ZL13mul_mat_vec_qIN3c108BFloat16ELi256ELi8E12block_iq4_xsLi1EXadL_ZL19vec_dot_iq4_xs_q8_1PKvPK10block_q8_1RKiEEEvS4_S4_PT_iii.has_dyn_sized_stack, 0
	.set _ZL13mul_mat_vec_qIN3c108BFloat16ELi256ELi8E12block_iq4_xsLi1EXadL_ZL19vec_dot_iq4_xs_q8_1PKvPK10block_q8_1RKiEEEvS4_S4_PT_iii.has_recursion, 0
	.set _ZL13mul_mat_vec_qIN3c108BFloat16ELi256ELi8E12block_iq4_xsLi1EXadL_ZL19vec_dot_iq4_xs_q8_1PKvPK10block_q8_1RKiEEEvS4_S4_PT_iii.has_indirect_call, 0
	.section	.AMDGPU.csdata,"",@progbits
; Kernel info:
; codeLenInByte = 1500
; TotalNumSgprs: 15
; NumVgprs: 58
; ScratchSize: 0
; MemoryBound: 0
; FloatMode: 240
; IeeeMode: 1
; LDSByteSize: 0 bytes/workgroup (compile time only)
; SGPRBlocks: 0
; VGPRBlocks: 7
; NumSGPRsForWavesPerEU: 15
; NumVGPRsForWavesPerEU: 58
; Occupancy: 16
; WaveLimiterHint : 0
; COMPUTE_PGM_RSRC2:SCRATCH_EN: 0
; COMPUTE_PGM_RSRC2:USER_SGPR: 6
; COMPUTE_PGM_RSRC2:TRAP_HANDLER: 0
; COMPUTE_PGM_RSRC2:TGID_X_EN: 1
; COMPUTE_PGM_RSRC2:TGID_Y_EN: 1
; COMPUTE_PGM_RSRC2:TGID_Z_EN: 0
; COMPUTE_PGM_RSRC2:TIDIG_COMP_CNT: 1
	.section	.text._ZL13mul_mat_vec_qIN3c108BFloat16ELi256ELi8E11block_iq1_mLi1EXadL_ZL18vec_dot_iq1_m_q8_1PKvPK10block_q8_1RKiEEEvS4_S4_PT_iii,"axG",@progbits,_ZL13mul_mat_vec_qIN3c108BFloat16ELi256ELi8E11block_iq1_mLi1EXadL_ZL18vec_dot_iq1_m_q8_1PKvPK10block_q8_1RKiEEEvS4_S4_PT_iii,comdat
	.globl	_ZL13mul_mat_vec_qIN3c108BFloat16ELi256ELi8E11block_iq1_mLi1EXadL_ZL18vec_dot_iq1_m_q8_1PKvPK10block_q8_1RKiEEEvS4_S4_PT_iii ; -- Begin function _ZL13mul_mat_vec_qIN3c108BFloat16ELi256ELi8E11block_iq1_mLi1EXadL_ZL18vec_dot_iq1_m_q8_1PKvPK10block_q8_1RKiEEEvS4_S4_PT_iii
	.p2align	8
	.type	_ZL13mul_mat_vec_qIN3c108BFloat16ELi256ELi8E11block_iq1_mLi1EXadL_ZL18vec_dot_iq1_m_q8_1PKvPK10block_q8_1RKiEEEvS4_S4_PT_iii,@function
_ZL13mul_mat_vec_qIN3c108BFloat16ELi256ELi8E11block_iq1_mLi1EXadL_ZL18vec_dot_iq1_m_q8_1PKvPK10block_q8_1RKiEEEvS4_S4_PT_iii: ; @_ZL13mul_mat_vec_qIN3c108BFloat16ELi256ELi8E11block_iq1_mLi1EXadL_ZL18vec_dot_iq1_m_q8_1PKvPK10block_q8_1RKiEEEvS4_S4_PT_iii
; %bb.0:
	s_clause 0x1
	s_load_dword s8, s[4:5], 0x34
	s_load_dwordx4 s[0:3], s[4:5], 0x18
	s_waitcnt lgkmcnt(0)
	s_lshr_b32 s3, s8, 16
	s_cmp_lt_u32 s7, s2
	v_mad_u64_u32 v[1:2], null, s6, s3, v[1:2]
	s_cselect_b32 s2, -1, 0
	v_cmp_gt_u32_e32 vcc_lo, s1, v1
	s_and_b32 s2, s2, vcc_lo
	s_and_saveexec_b32 s3, s2
	s_cbranch_execz .LBB116_7
; %bb.1:
	s_load_dwordx2 s[2:3], s[4:5], 0x10
	s_ashr_i32 s6, s0, 31
	v_lshrrev_b32_e32 v5, 3, v0
	s_lshr_b32 s6, s6, 24
	v_mov_b32_e32 v4, 0
	s_add_i32 s6, s0, s6
	s_ashr_i32 s12, s6, 8
	s_mov_b32 s6, exec_lo
	v_cmpx_gt_u32_e64 s12, v5
	s_cbranch_execz .LBB116_5
; %bb.2:
	s_load_dwordx4 s[8:11], s[4:5], 0x0
	s_addk_i32 s0, 0x1ff
	v_and_b32_e32 v3, 1, v0
	s_ashr_i32 s4, s0, 31
	v_and_b32_e32 v2, 7, v0
	s_lshr_b32 s4, s4, 23
	v_bfe_u32 v11, v0, 1, 2
	s_add_i32 s0, s0, s4
	v_lshlrev_b32_e32 v10, 3, v5
	v_cmp_eq_u32_e32 vcc_lo, 1, v3
	s_ashr_i32 s0, s0, 9
	v_mul_lo_u32 v6, v1, s12
	v_lshlrev_b32_e32 v7, 1, v2
	v_lshlrev_b32_e32 v9, 2, v2
	s_mul_i32 s0, s7, s0
	v_mov_b32_e32 v4, 0
	v_cndmask_b32_e64 v8, 0, 6, vcc_lo
	v_lshl_add_u32 v10, s0, 4, v10
	v_lshlrev_b32_e32 v11, 1, v11
	v_mov_b32_e32 v12, 0xf0
	s_waitcnt lgkmcnt(0)
	v_mad_u64_u32 v[2:3], null, v2, 36, s[10:11]
	v_mov_b32_e32 v13, 0xffff
	v_mov_b32_e32 v14, 8
	s_mov_b32 s0, 0
	s_mov_b32 s4, 0xbd000000
.LBB116_3:                              ; =>This Inner Loop Header: Depth=1
	v_add_nc_u32_e32 v15, v6, v5
	v_mad_i64_i32 v[25:26], null, v10, 36, v[2:3]
	s_getpc_b64 s[10:11]
	s_add_u32 s10, s10, _ZL13iq1s_grid_gpu@rel32@lo+4
	s_addc_u32 s11, s11, _ZL13iq1s_grid_gpu@rel32@hi+12
	v_mov_b32_e32 v38, 0
	v_mad_i64_i32 v[23:24], null, v15, 56, s[8:9]
	v_mov_b32_e32 v37, 0
	v_add_nc_u32_e32 v5, 4, v5
	v_add_nc_u32_e32 v10, 32, v10
	v_add_co_u32 v15, vcc_lo, v23, v7
	v_add_co_ci_u32_e64 v16, null, 0, v24, vcc_lo
	v_add_co_u32 v17, vcc_lo, v23, v11
	v_add_co_ci_u32_e64 v18, null, 0, v24, vcc_lo
	;; [unrolled: 2-line block ×3, first 2 shown]
	s_clause 0x2
	global_load_ushort v27, v[17:18], off offset:48
	global_load_ushort v28, v[15:16], off offset:32
	global_load_dword v29, v[19:20], off
	s_clause 0x1
	global_load_dwordx4 v[15:18], v[25:26], off
	global_load_dwordx4 v[19:22], v[25:26], off offset:16
	global_load_dwordx2 v[23:24], v[23:24], off offset:48
	v_cmp_le_u32_e32 vcc_lo, s12, v5
	s_or_b32 s0, vcc_lo, s0
	s_waitcnt vmcnt(5)
	v_lshrrev_b32_e32 v27, v8, v27
	s_waitcnt vmcnt(4)
	v_and_b32_sdwa v31, v13, v28 dst_sel:DWORD dst_unused:UNUSED_PAD src0_sel:DWORD src1_sel:BYTE_1
	s_waitcnt vmcnt(3)
	v_and_b32_e32 v30, 0xff, v29
	v_lshlrev_b32_e32 v33, 8, v28
	v_bfe_u32 v35, v29, 16, 8
	v_bfe_u32 v32, v29, 8, 8
	v_lshrrev_b32_e32 v36, 4, v31
	v_lshlrev_b32_e32 v31, 8, v31
	v_lshlrev_b32_e32 v34, 4, v28
	v_and_or_b32 v30, 0x700, v33, v30
	v_bfe_u32 v39, v28, 4, 4
	v_alignbit_b32 v29, v36, v29, 24
	v_and_or_b32 v31, 0x700, v31, v35
	v_and_or_b32 v32, 0x700, v34, v32
	v_lshlrev_b32_e32 v30, 3, v30
	v_mov_b32_e32 v34, 0
	v_and_b32_e32 v29, 0x7ff, v29
	v_lshlrev_b32_e32 v31, 3, v31
	v_lshlrev_b32_e32 v32, 3, v32
	s_clause 0x1
	global_load_dword v30, v30, s[10:11]
	global_load_dword v32, v32, s[10:11]
	v_lshlrev_b32_e32 v29, 3, v29
	s_clause 0x1
	global_load_dword v31, v31, s[10:11]
	global_load_dword v29, v29, s[10:11]
	global_load_dword v25, v[25:26], off offset:32
	v_mov_b32_e32 v26, 0
	s_waitcnt vmcnt(6)
	v_dot4c_i32_i8 v34, 0x1010101, v20
	v_and_b32_sdwa v40, v28, v14 dst_sel:DWORD dst_unused:UNUSED_PAD src0_sel:BYTE_1 src1_sel:DWORD
	v_and_b32_e32 v28, 8, v28
	v_and_b32_e32 v36, 8, v36
	v_dot4c_i32_i8 v26, 0x1010101, v16
	v_dot4c_i32_i8 v34, 0x1010101, v21
	v_cvt_f32_ubyte0_e32 v40, v40
	v_cvt_f32_ubyte0_e32 v28, v28
	v_mov_b32_e32 v35, 0
	v_dot4c_i32_i8 v26, 0x1010101, v17
	v_cvt_f32_i32_e32 v34, v34
	v_fmaak_f32 v40, s4, v40, 0xbf600000
	v_fmaak_f32 v28, s4, v28, 0xbf600000
	v_mov_b32_e32 v33, 0
	v_cvt_f32_i32_e32 v26, v26
	v_dot4c_i32_i8 v35, 0x1010101, v22
	s_waitcnt vmcnt(5)
	v_pk_lshrrev_b16 v23, 0x8000c, v23
	v_pk_lshrrev_b16 v24, 4, v24
	v_dot4c_i32_i8 v33, 0x1010101, v18
	v_fma_f32 v26, v28, v26, 0
	v_fma_f32 v28, v40, v34, 0
	v_cvt_f32_ubyte0_e32 v34, v36
	v_and_b32_sdwa v41, v23, v12 dst_sel:DWORD dst_unused:UNUSED_PAD src0_sel:WORD_1 src1_sel:DWORD
	v_lshlrev_b32_e32 v42, 1, v27
	v_lshrrev_b32_e32 v27, 2, v27
	v_and_b32_e32 v39, 8, v39
	v_dot4c_i32_i8 v33, 0x1010101, v19
	v_and_b32_e32 v24, 0xf0000f00, v24
	v_or_b32_e32 v23, v41, v23
	v_and_b32_e32 v27, 14, v27
	v_cvt_f32_ubyte0_e32 v39, v39
	v_cvt_f32_i32_e32 v33, v33
	v_and_b32_e32 v41, 14, v42
	v_or_b32_e32 v23, v23, v24
	v_cvt_f32_f16_e32 v15, v15
	s_waitcnt vmcnt(4)
	v_lshrrev_b32_e32 v40, 4, v30
	v_and_b32_e32 v30, 0xf0f0f0f, v30
	s_waitcnt vmcnt(2)
	v_lshrrev_b32_e32 v36, 4, v31
	v_and_b32_e32 v31, 0xf0f0f0f, v31
	v_dot4c_i32_i8 v37, v30, v16
	s_waitcnt vmcnt(1)
	v_and_b32_e32 v16, 0xf0f0f0f, v29
	v_lshrrev_b32_e32 v29, 4, v29
	v_and_b32_e32 v36, 0xf0f0f0f, v36
	v_dot4c_i32_i8 v38, v31, v20
	v_and_b32_e32 v20, 0xf0f0f0f, v40
	s_waitcnt vmcnt(0)
	v_dot4c_i32_i8 v35, 0x1010101, v25
	v_lshrrev_b32_e32 v30, 4, v32
	v_dot4c_i32_i8 v38, v36, v21
	v_and_b32_e32 v21, 0xf0f0f0f, v32
	v_dot4c_i32_i8 v37, v20, v17
	v_and_b32_e32 v17, 0xf0f0f0f, v29
	v_cvt_f32_i32_e32 v35, v35
	v_dot4c_i32_i8 v38, v16, v22
	v_fmaak_f32 v20, s4, v34, 0xbf600000
	v_and_b32_e32 v22, 0xf0f0f0f, v30
	v_dot4c_i32_i8 v37, v21, v18
	v_fmaak_f32 v16, s4, v39, 0xbf600000
	v_dot4c_i32_i8 v38, v17, v25
	v_or_b32_e32 v17, 1, v27
	v_fmac_f32_e32 v28, v20, v35
	v_dot4c_i32_i8 v37, v22, v19
	v_or_b32_e32 v18, 1, v41
	v_cvt_f32_i32_e32 v19, v38
	v_or_b32_sdwa v20, v23, v24 dst_sel:DWORD dst_unused:UNUSED_PAD src0_sel:DWORD src1_sel:WORD_1
	v_fmac_f32_e32 v26, v16, v33
	v_cvt_f32_ubyte0_e32 v16, v17
	v_cvt_f32_i32_e32 v17, v37
	v_add_f32_e32 v19, v28, v19
	v_cvt_f32_ubyte0_e32 v18, v18
	v_cvt_f32_f16_e32 v20, v20
	v_add_f32_e32 v17, v26, v17
	v_mul_f32_e32 v16, v19, v16
	v_mul_f32_e32 v15, v15, v20
	v_fmac_f32_e32 v16, v17, v18
	v_fmac_f32_e32 v4, v15, v16
	s_andn2_b32 exec_lo, exec_lo, s0
	s_cbranch_execnz .LBB116_3
; %bb.4:
	s_or_b32 exec_lo, exec_lo, s0
.LBB116_5:
	s_or_b32 exec_lo, exec_lo, s6
	v_mbcnt_lo_u32_b32 v2, -1, 0
	v_xor_b32_e32 v3, 16, v2
	v_xor_b32_e32 v5, 8, v2
	v_cmp_gt_i32_e32 vcc_lo, 32, v3
	v_cndmask_b32_e32 v3, v2, v3, vcc_lo
	v_cmp_gt_i32_e32 vcc_lo, 32, v5
	v_lshlrev_b32_e32 v3, 2, v3
	v_cndmask_b32_e32 v5, v2, v5, vcc_lo
	ds_bpermute_b32 v3, v3, v4
	v_lshlrev_b32_e32 v5, 2, v5
	s_waitcnt lgkmcnt(0)
	v_add_f32_e32 v3, v4, v3
	ds_bpermute_b32 v4, v5, v3
	v_xor_b32_e32 v5, 4, v2
	v_cmp_gt_i32_e32 vcc_lo, 32, v5
	v_cndmask_b32_e32 v5, v2, v5, vcc_lo
	v_lshlrev_b32_e32 v5, 2, v5
	s_waitcnt lgkmcnt(0)
	v_add_f32_e32 v3, v3, v4
	ds_bpermute_b32 v4, v5, v3
	v_xor_b32_e32 v5, 2, v2
	v_cmp_gt_i32_e32 vcc_lo, 32, v5
	v_cndmask_b32_e32 v5, v2, v5, vcc_lo
	;; [unrolled: 7-line block ×3, first 2 shown]
	v_cmp_eq_u32_e32 vcc_lo, 0, v0
	s_waitcnt lgkmcnt(0)
	v_add_f32_e32 v2, v3, v4
	v_lshlrev_b32_e32 v3, 2, v5
	ds_bpermute_b32 v3, v3, v2
	s_and_b32 exec_lo, exec_lo, vcc_lo
	s_cbranch_execz .LBB116_7
; %bb.6:
	s_waitcnt lgkmcnt(0)
	v_add_f32_e32 v2, v2, v3
	v_mov_b32_e32 v4, 0x7fc0
	v_mad_u64_u32 v[0:1], null, s1, s7, v[1:2]
	v_mov_b32_e32 v1, 0
	v_bfe_u32 v3, v2, 16, 1
	v_cmp_o_f32_e32 vcc_lo, v2, v2
	v_add3_u32 v2, v2, v3, 0x7fff
	v_lshlrev_b64 v[0:1], 1, v[0:1]
	v_cndmask_b32_sdwa v2, v4, v2, vcc_lo dst_sel:DWORD dst_unused:UNUSED_PAD src0_sel:DWORD src1_sel:WORD_1
	v_add_co_u32 v0, vcc_lo, s2, v0
	v_add_co_ci_u32_e64 v1, null, s3, v1, vcc_lo
	global_store_short v[0:1], v2, off
.LBB116_7:
	s_endpgm
	.section	.rodata,"a",@progbits
	.p2align	6, 0x0
	.amdhsa_kernel _ZL13mul_mat_vec_qIN3c108BFloat16ELi256ELi8E11block_iq1_mLi1EXadL_ZL18vec_dot_iq1_m_q8_1PKvPK10block_q8_1RKiEEEvS4_S4_PT_iii
		.amdhsa_group_segment_fixed_size 0
		.amdhsa_private_segment_fixed_size 0
		.amdhsa_kernarg_size 296
		.amdhsa_user_sgpr_count 6
		.amdhsa_user_sgpr_private_segment_buffer 1
		.amdhsa_user_sgpr_dispatch_ptr 0
		.amdhsa_user_sgpr_queue_ptr 0
		.amdhsa_user_sgpr_kernarg_segment_ptr 1
		.amdhsa_user_sgpr_dispatch_id 0
		.amdhsa_user_sgpr_flat_scratch_init 0
		.amdhsa_user_sgpr_private_segment_size 0
		.amdhsa_wavefront_size32 1
		.amdhsa_uses_dynamic_stack 0
		.amdhsa_system_sgpr_private_segment_wavefront_offset 0
		.amdhsa_system_sgpr_workgroup_id_x 1
		.amdhsa_system_sgpr_workgroup_id_y 1
		.amdhsa_system_sgpr_workgroup_id_z 0
		.amdhsa_system_sgpr_workgroup_info 0
		.amdhsa_system_vgpr_workitem_id 1
		.amdhsa_next_free_vgpr 43
		.amdhsa_next_free_sgpr 13
		.amdhsa_reserve_vcc 1
		.amdhsa_reserve_flat_scratch 0
		.amdhsa_float_round_mode_32 0
		.amdhsa_float_round_mode_16_64 0
		.amdhsa_float_denorm_mode_32 3
		.amdhsa_float_denorm_mode_16_64 3
		.amdhsa_dx10_clamp 1
		.amdhsa_ieee_mode 1
		.amdhsa_fp16_overflow 0
		.amdhsa_workgroup_processor_mode 1
		.amdhsa_memory_ordered 1
		.amdhsa_forward_progress 1
		.amdhsa_shared_vgpr_count 0
		.amdhsa_exception_fp_ieee_invalid_op 0
		.amdhsa_exception_fp_denorm_src 0
		.amdhsa_exception_fp_ieee_div_zero 0
		.amdhsa_exception_fp_ieee_overflow 0
		.amdhsa_exception_fp_ieee_underflow 0
		.amdhsa_exception_fp_ieee_inexact 0
		.amdhsa_exception_int_div_zero 0
	.end_amdhsa_kernel
	.section	.text._ZL13mul_mat_vec_qIN3c108BFloat16ELi256ELi8E11block_iq1_mLi1EXadL_ZL18vec_dot_iq1_m_q8_1PKvPK10block_q8_1RKiEEEvS4_S4_PT_iii,"axG",@progbits,_ZL13mul_mat_vec_qIN3c108BFloat16ELi256ELi8E11block_iq1_mLi1EXadL_ZL18vec_dot_iq1_m_q8_1PKvPK10block_q8_1RKiEEEvS4_S4_PT_iii,comdat
.Lfunc_end116:
	.size	_ZL13mul_mat_vec_qIN3c108BFloat16ELi256ELi8E11block_iq1_mLi1EXadL_ZL18vec_dot_iq1_m_q8_1PKvPK10block_q8_1RKiEEEvS4_S4_PT_iii, .Lfunc_end116-_ZL13mul_mat_vec_qIN3c108BFloat16ELi256ELi8E11block_iq1_mLi1EXadL_ZL18vec_dot_iq1_m_q8_1PKvPK10block_q8_1RKiEEEvS4_S4_PT_iii
                                        ; -- End function
	.set _ZL13mul_mat_vec_qIN3c108BFloat16ELi256ELi8E11block_iq1_mLi1EXadL_ZL18vec_dot_iq1_m_q8_1PKvPK10block_q8_1RKiEEEvS4_S4_PT_iii.num_vgpr, 43
	.set _ZL13mul_mat_vec_qIN3c108BFloat16ELi256ELi8E11block_iq1_mLi1EXadL_ZL18vec_dot_iq1_m_q8_1PKvPK10block_q8_1RKiEEEvS4_S4_PT_iii.num_agpr, 0
	.set _ZL13mul_mat_vec_qIN3c108BFloat16ELi256ELi8E11block_iq1_mLi1EXadL_ZL18vec_dot_iq1_m_q8_1PKvPK10block_q8_1RKiEEEvS4_S4_PT_iii.numbered_sgpr, 13
	.set _ZL13mul_mat_vec_qIN3c108BFloat16ELi256ELi8E11block_iq1_mLi1EXadL_ZL18vec_dot_iq1_m_q8_1PKvPK10block_q8_1RKiEEEvS4_S4_PT_iii.num_named_barrier, 0
	.set _ZL13mul_mat_vec_qIN3c108BFloat16ELi256ELi8E11block_iq1_mLi1EXadL_ZL18vec_dot_iq1_m_q8_1PKvPK10block_q8_1RKiEEEvS4_S4_PT_iii.private_seg_size, 0
	.set _ZL13mul_mat_vec_qIN3c108BFloat16ELi256ELi8E11block_iq1_mLi1EXadL_ZL18vec_dot_iq1_m_q8_1PKvPK10block_q8_1RKiEEEvS4_S4_PT_iii.uses_vcc, 1
	.set _ZL13mul_mat_vec_qIN3c108BFloat16ELi256ELi8E11block_iq1_mLi1EXadL_ZL18vec_dot_iq1_m_q8_1PKvPK10block_q8_1RKiEEEvS4_S4_PT_iii.uses_flat_scratch, 0
	.set _ZL13mul_mat_vec_qIN3c108BFloat16ELi256ELi8E11block_iq1_mLi1EXadL_ZL18vec_dot_iq1_m_q8_1PKvPK10block_q8_1RKiEEEvS4_S4_PT_iii.has_dyn_sized_stack, 0
	.set _ZL13mul_mat_vec_qIN3c108BFloat16ELi256ELi8E11block_iq1_mLi1EXadL_ZL18vec_dot_iq1_m_q8_1PKvPK10block_q8_1RKiEEEvS4_S4_PT_iii.has_recursion, 0
	.set _ZL13mul_mat_vec_qIN3c108BFloat16ELi256ELi8E11block_iq1_mLi1EXadL_ZL18vec_dot_iq1_m_q8_1PKvPK10block_q8_1RKiEEEvS4_S4_PT_iii.has_indirect_call, 0
	.section	.AMDGPU.csdata,"",@progbits
; Kernel info:
; codeLenInByte = 1336
; TotalNumSgprs: 15
; NumVgprs: 43
; ScratchSize: 0
; MemoryBound: 0
; FloatMode: 240
; IeeeMode: 1
; LDSByteSize: 0 bytes/workgroup (compile time only)
; SGPRBlocks: 0
; VGPRBlocks: 5
; NumSGPRsForWavesPerEU: 15
; NumVGPRsForWavesPerEU: 43
; Occupancy: 16
; WaveLimiterHint : 0
; COMPUTE_PGM_RSRC2:SCRATCH_EN: 0
; COMPUTE_PGM_RSRC2:USER_SGPR: 6
; COMPUTE_PGM_RSRC2:TRAP_HANDLER: 0
; COMPUTE_PGM_RSRC2:TGID_X_EN: 1
; COMPUTE_PGM_RSRC2:TGID_Y_EN: 1
; COMPUTE_PGM_RSRC2:TGID_Z_EN: 0
; COMPUTE_PGM_RSRC2:TIDIG_COMP_CNT: 1
	.section	.text._ZL12mul_mat_q4_0IfLb0EEvPKvS1_PT_iiiii,"axG",@progbits,_ZL12mul_mat_q4_0IfLb0EEvPKvS1_PT_iiiii,comdat
	.globl	_ZL12mul_mat_q4_0IfLb0EEvPKvS1_PT_iiiii ; -- Begin function _ZL12mul_mat_q4_0IfLb0EEvPKvS1_PT_iiiii
	.p2align	8
	.type	_ZL12mul_mat_q4_0IfLb0EEvPKvS1_PT_iiiii,@function
_ZL12mul_mat_q4_0IfLb0EEvPKvS1_PT_iiiii: ; @_ZL12mul_mat_q4_0IfLb0EEvPKvS1_PT_iiiii
; %bb.0:
	s_clause 0x1
	s_load_dword s14, s[4:5], 0x18
	s_load_dwordx4 s[8:11], s[4:5], 0x20
	s_lshl_b32 s7, s7, 6
	v_add_nc_u32_e32 v28, s7, v1
	s_waitcnt lgkmcnt(0)
	s_cmp_gt_i32 s14, 31
	s_cbranch_scc1 .LBB117_2
; %bb.1:
	v_add_nc_u32_e32 v2, s7, v1
	s_mov_b32 s0, 0
	s_branch .LBB117_3
.LBB117_2:
	s_mov_b32 s0, -1
                                        ; implicit-def: $vgpr2
.LBB117_3:
	s_load_dwordx2 s[12:13], s[4:5], 0x10
	v_mov_b32_e32 v15, 0
	v_mov_b32_e32 v19, 0
	;; [unrolled: 1-line block ×32, first 2 shown]
	s_andn2_b32 vcc_lo, exec_lo, s0
	s_lshl_b32 s6, s6, 7
	s_cbranch_vccnz .LBB117_14
; %bb.4:
	s_load_dwordx4 s[0:3], s[4:5], 0x0
	s_ashr_i32 s4, s14, 31
	s_ashr_i32 s5, s9, 31
	s_lshr_b32 s4, s4, 27
	s_lshr_b32 s5, s5, 27
	s_add_i32 s11, s14, s4
	s_add_i32 s5, s9, s5
	s_ashr_i32 s4, s11, 5
	s_ashr_i32 s14, s5, 5
	s_mul_i32 s9, s4, s6
	v_add_nc_u32_e32 v12, 40, v28
	s_mul_i32 s5, s9, 18
	s_mul_hi_i32 s9, s9, 18
	v_add_nc_u32_e32 v14, 48, v28
	v_cvt_f64_u32_e32 v[2:3], v28
	v_add_nc_u32_e32 v16, 56, v28
	v_cvt_f64_u32_e32 v[12:13], v12
	v_mul_lo_u32 v44, s4, v1
	v_cvt_f64_u32_e32 v[14:15], v14
	v_add_nc_u32_e32 v4, 8, v28
	s_waitcnt lgkmcnt(0)
	s_add_u32 s5, s0, s5
	s_addc_u32 s9, s1, s9
	s_add_i32 s1, s8, -1
	v_add_nc_u32_e32 v6, 16, v28
	v_cvt_f64_i32_e32 v[18:19], s1
	v_add_nc_u32_e32 v8, 24, v28
	v_add_nc_u32_e32 v10, 32, v28
	v_cvt_f64_u32_e32 v[16:17], v16
	s_lshl_b32 s0, s4, 3
	v_cvt_f64_u32_e32 v[4:5], v4
	v_add_nc_u32_e32 v46, s0, v44
	v_cvt_f64_u32_e32 v[6:7], v6
	v_cvt_f64_u32_e32 v[8:9], v8
	;; [unrolled: 1-line block ×3, first 2 shown]
	v_lshrrev_b32_e32 v36, 2, v0
	v_add_nc_u32_e32 v48, s0, v46
	v_lshrrev_b32_e32 v41, 3, v0
	v_lshlrev_b32_e32 v20, 2, v0
	v_and_b32_e32 v40, 7, v0
	v_lshl_add_u32 v23, v1, 3, v36
	v_add_nc_u32_e32 v52, s0, v48
	v_lshl_add_u32 v21, v1, 2, v41
	s_andn2_b32 s11, s11, 31
	v_and_b32_e32 v50, 12, v20
	v_and_b32_e32 v23, 63, v23
	v_add_nc_u32_e32 v53, s0, v52
	v_min_f64 v[2:3], v[2:3], v[18:19]
	v_min_f64 v[12:13], v[12:13], v[18:19]
	;; [unrolled: 1-line block ×4, first 2 shown]
	v_add_nc_u32_e32 v55, s0, v53
	v_min_f64 v[4:5], v[4:5], v[18:19]
	v_mul_lo_u32 v67, s4, v21
	v_min_f64 v[6:7], v[6:7], v[18:19]
	v_min_f64 v[8:9], v[8:9], v[18:19]
	;; [unrolled: 1-line block ×3, first 2 shown]
	v_add_nc_u32_e32 v58, s0, v55
	v_and_b32_e32 v24, 0x7fc, v21
	v_lshlrev_b32_e32 v25, 5, v21
	v_add_nc_u32_e32 v26, 32, v21
	v_add_nc_u32_e32 v27, 64, v21
	;; [unrolled: 1-line block ×4, first 2 shown]
	v_mad_u32_u24 v51, 0x84, v1, v20
	v_lshlrev_b32_e32 v22, 2, v40
	v_and_b32_e32 v29, 0xffc, v26
	v_add_nc_u32_e32 v68, s0, v63
	v_and_b32_e32 v31, 0xffc, v27
	v_cvt_i32_f64_e32 v3, v[2:3]
	v_cvt_i32_f64_e32 v12, v[12:13]
	;; [unrolled: 1-line block ×3, first 2 shown]
	v_add_nc_u32_e32 v69, s0, v68
	v_cvt_i32_f64_e32 v14, v[16:17]
	v_cvt_i32_f64_e32 v4, v[4:5]
	v_and_b32_e32 v2, 3, v0
	v_cvt_i32_f64_e32 v5, v[6:7]
	v_add_nc_u32_e32 v70, s0, v69
	v_cvt_i32_f64_e32 v6, v[8:9]
	v_cvt_i32_f64_e32 v8, v[10:11]
	v_or_b32_e32 v9, s7, v23
	v_lshlrev_b32_e32 v10, 2, v2
	v_add_nc_u32_e32 v71, s0, v70
	v_and_b32_e32 v11, 31, v0
	v_add_nc_u32_e32 v73, s11, v67
	v_min_i32_e32 v9, s1, v9
	v_lshl_or_b32 v16, v23, 4, v10
	v_add_nc_u32_e32 v72, s0, v71
	v_lshl_or_b32 v17, v11, 2, 0x4200
	v_and_b32_e32 v32, 0xffc, v21
	v_lshlrev_b32_e32 v7, 5, v21
	v_mad_u64_u32 v[10:11], null, v9, s14, v[2:3]
	v_mul_lo_u32 v85, s14, v12
	v_mul_lo_u32 v86, s14, v13
	v_add_nc_u32_e32 v11, 0x60, v0
	v_add_nc_u32_e32 v12, 64, v0
	;; [unrolled: 1-line block ×4, first 2 shown]
	v_and_b32_e32 v15, 28, v20
	v_lshlrev_b32_e32 v20, 7, v1
	v_add_nc_u32_e32 v79, 0x7280, v16
	v_mul_lo_u32 v87, s14, v14
	v_lshlrev_b32_e32 v14, 5, v0
	v_and_b32_e32 v11, 0x1fc, v11
	v_and_b32_e32 v12, 0x1fc, v12
	;; [unrolled: 1-line block ×4, first 2 shown]
	v_add_nc_u32_e32 v76, s0, v74
	v_add3_u32 v24, v24, v22, 0x6200
	v_lshlrev_b32_e32 v26, 5, v26
	v_lshlrev_b32_e32 v18, 5, v27
	v_add_nc_u32_e32 v75, s11, v73
	v_add3_u32 v19, v29, v22, 0x6200
	v_add3_u32 v27, v31, v22, 0x6200
	;; [unrolled: 1-line block ×3, first 2 shown]
	v_mul_lo_u32 v80, s14, v3
	v_mul_lo_u32 v81, s14, v4
	v_add_nc_u32_e32 v2, 0x400, v20
	v_mul_lo_u32 v82, s14, v5
	v_add_nc_u32_e32 v3, 0x800, v20
	v_mul_lo_u32 v83, s14, v6
	v_add_nc_u32_e32 v4, 0xc00, v20
	v_mul_lo_u32 v84, s14, v8
	v_add_nc_u32_e32 v5, 0x1000, v20
	v_add_nc_u32_e32 v6, 0x1400, v20
	v_add_nc_u32_e32 v8, 0x1800, v20
	;; [unrolled: 1-line block ×3, first 2 shown]
	v_lshrrev_b32_e32 v89, 3, v13
	v_add_nc_u32_e32 v13, v14, v11
	v_add_nc_u32_e32 v23, v14, v12
	;; [unrolled: 1-line block ×5, first 2 shown]
	v_add_co_u32 v11, s0, s2, v15
	v_mov_b32_e32 v30, 0
	v_add_nc_u32_e32 v59, 0x2940, v51
	v_add_nc_u32_e32 v60, 0x2d60, v51
	;; [unrolled: 1-line block ×7, first 2 shown]
	v_mul_u32_u24_e32 v88, 0x84, v0
	v_add_co_ci_u32_e64 v12, null, s3, 0, s0
	v_add_nc_u32_e32 v90, 0x6e00, v13
	v_add_nc_u32_e32 v91, 0x6a00, v23
	;; [unrolled: 1-line block ×4, first 2 shown]
	v_lshl_add_u32 v94, v1, 4, 0x7280
	v_add_nc_u32_e32 v95, 0x4200, v20
	v_mad_u32_u24 v96, 0x84, v0, 64
	v_add_nc_u32_e32 v97, 0x6e10, v13
	v_add_nc_u32_e32 v98, 0x6a10, v23
	;; [unrolled: 1-line block ×16, first 2 shown]
	v_mov_b32_e32 v54, 0
	v_mov_b32_e32 v43, 0
	;; [unrolled: 1-line block ×31, first 2 shown]
	s_add_i32 s11, s4, 3
	s_mov_b32 s14, 0
	s_branch .LBB117_6
.LBB117_5:                              ;   in Loop: Header=BB117_6 Depth=1
	s_add_i32 s14, s14, 8
	s_add_i32 s11, s11, -8
	s_cmp_ge_i32 s14, s4
	s_cbranch_scc1 .LBB117_13
.LBB117_6:                              ; =>This Loop Header: Depth=1
                                        ;     Child Loop BB117_8 Depth 2
                                        ;     Child Loop BB117_11 Depth 2
	s_mul_i32 s0, s14, 18
	s_mul_hi_u32 s1, s14, 18
	s_add_u32 s0, s5, s0
	s_addc_u32 s1, s9, s1
	s_cmp_gt_u32 s11, 3
	v_mad_u64_u32 v[2:3], null, v36, 18, s[0:1]
	v_mad_u64_u32 v[4:5], null, v44, 18, v[2:3]
	v_add_co_u32 v4, vcc_lo, v4, v50
	v_add_co_ci_u32_e64 v5, null, 0, v5, vcc_lo
	global_load_dword v4, v[4:5], off offset:2
	s_waitcnt vmcnt(0)
	ds_write_b32 v51, v4
	v_mad_u64_u32 v[4:5], null, v46, 18, v[2:3]
	v_add_co_u32 v4, vcc_lo, v4, v50
	v_add_co_ci_u32_e64 v5, null, 0, v5, vcc_lo
	global_load_dword v4, v[4:5], off offset:2
	v_add_nc_u32_e32 v5, 0x420, v51
	s_waitcnt vmcnt(0)
	ds_write_b32 v5, v4
	v_mad_u64_u32 v[4:5], null, v48, 18, v[2:3]
	v_add_co_u32 v4, vcc_lo, v4, v50
	v_add_co_ci_u32_e64 v5, null, 0, v5, vcc_lo
	global_load_dword v4, v[4:5], off offset:2
	v_add_nc_u32_e32 v5, 0x840, v51
	;; [unrolled: 7-line block ×9, first 2 shown]
	s_waitcnt vmcnt(0)
	ds_write_b32 v5, v4
	v_mad_u64_u32 v[4:5], null, v70, 18, v[2:3]
	v_add_co_u32 v4, vcc_lo, v4, v50
	v_add_co_ci_u32_e64 v5, null, 0, v5, vcc_lo
	global_load_dword v4, v[4:5], off offset:2
	s_waitcnt vmcnt(0)
	ds_write_b32 v59, v4
	v_mad_u64_u32 v[4:5], null, v71, 18, v[2:3]
	v_add_co_u32 v4, vcc_lo, v4, v50
	v_add_co_ci_u32_e64 v5, null, 0, v5, vcc_lo
	global_load_dword v4, v[4:5], off offset:2
	;; [unrolled: 6-line block ×4, first 2 shown]
	s_waitcnt vmcnt(0)
	ds_write_b32 v62, v4
	v_mad_u64_u32 v[4:5], null, v76, 18, v[2:3]
	v_mad_u64_u32 v[2:3], null, v78, 18, v[2:3]
	v_add_co_u32 v4, vcc_lo, v4, v50
	v_add_co_ci_u32_e64 v5, null, 0, v5, vcc_lo
	v_add_co_u32 v2, vcc_lo, v2, v50
	v_add_co_ci_u32_e64 v3, null, 0, v3, vcc_lo
	s_clause 0x1
	global_load_dword v4, v[4:5], off offset:2
	global_load_dword v2, v[2:3], off offset:2
	s_waitcnt vmcnt(1)
	ds_write_b32 v64, v4
	s_waitcnt vmcnt(0)
	ds_write_b32 v65, v2
	v_mad_u64_u32 v[2:3], null, v40, 18, s[0:1]
	v_mad_u64_u32 v[4:5], null, v67, 18, v[2:3]
	global_load_ushort v4, v[4:5], off
	s_waitcnt vmcnt(0)
	v_cvt_f32_f16_e32 v4, v4
	ds_write_b32 v101, v4
	v_mad_u64_u32 v[4:5], null, v73, 18, v[2:3]
	global_load_ushort v4, v[4:5], off
	s_waitcnt vmcnt(0)
	v_cvt_f32_f16_e32 v4, v4
	ds_write_b32 v102, v4
	v_mad_u64_u32 v[4:5], null, v75, 18, v[2:3]
	v_mad_u64_u32 v[2:3], null, v77, 18, v[2:3]
	s_clause 0x1
	global_load_ushort v4, v[4:5], off
	global_load_ushort v2, v[2:3], off
	s_waitcnt vmcnt(1)
	v_cvt_f32_f16_e32 v4, v4
	s_waitcnt vmcnt(0)
	v_cvt_f32_f16_e32 v2, v2
	ds_write_b32 v103, v4
	ds_write_b32 v104, v2
	s_cbranch_scc0 .LBB117_5
; %bb.7:                                ;   in Loop: Header=BB117_6 Depth=1
	v_add_nc_u32_e32 v116, s14, v41
	v_add_nc_u32_e32 v113, s14, v10
	s_mov_b32 s0, -4
	v_add_nc_u32_e32 v2, v116, v80
	v_add_nc_u32_e32 v4, v116, v81
	v_add_nc_u32_e32 v6, v116, v82
	v_add_nc_u32_e32 v8, v116, v83
	v_add_nc_u32_e32 v13, v116, v84
	v_mad_u64_u32 v[114:115], null, v113, 36, s[2:3]
	v_mad_i64_i32 v[2:3], null, v2, 36, v[11:12]
	v_add_nc_u32_e32 v117, v116, v85
	v_mad_i64_i32 v[4:5], null, v4, 36, v[11:12]
	v_add_nc_u32_e32 v118, v116, v86
	;; [unrolled: 2-line block ×3, first 2 shown]
	v_mad_i64_i32 v[8:9], null, v8, 36, v[11:12]
	v_mad_i64_i32 v[13:14], null, v13, 36, v[11:12]
	;; [unrolled: 1-line block ×5, first 2 shown]
	s_clause 0x8
	global_load_dword v122, v[114:115], off
	global_load_dword v2, v[2:3], off offset:4
	global_load_dword v3, v[4:5], off offset:4
	;; [unrolled: 1-line block ×8, first 2 shown]
	v_mov_b32_e32 v114, v95
	v_mov_b32_e32 v115, v94
	;; [unrolled: 1-line block ×7, first 2 shown]
	s_waitcnt vmcnt(8)
	ds_write_b32 v79, v122
	s_waitcnt vmcnt(7)
	ds_write_b32 v105, v2
	;; [unrolled: 2-line block ×9, first 2 shown]
	s_waitcnt lgkmcnt(0)
	s_barrier
	buffer_gl0_inv
.LBB117_8:                              ;   Parent Loop BB117_6 Depth=1
                                        ; =>  This Inner Loop Header: Depth=2
	ds_read_b128 v[2:5], v114
	ds_read_b128 v[6:9], v114 offset:16
	ds_read2_b32 v[13:14], v115 offset1:32
	v_mov_b32_e32 v123, 0
	v_add_nc_u32_e32 v126, 0x2108, v120
	v_mov_b32_e32 v148, 0
	v_add_nc_u32_e32 v149, 0x3180, v120
	v_mov_b32_e32 v156, 0
	s_add_i32 s0, s0, 4
	s_cmp_lt_u32 s0, 12
	s_waitcnt lgkmcnt(0)
	v_cvt_f32_f16_sdwa v121, v13 dst_sel:DWORD dst_unused:UNUSED_PAD src0_sel:WORD_1
	v_mul_f32_e32 v155, 0x41000000, v121
	ds_read_b32 v139, v116
	ds_read2_b32 v[121:122], v120 offset1:1
	v_add_nc_u32_e32 v116, 4, v116
	s_waitcnt lgkmcnt(0)
	v_and_b32_e32 v140, 0xf0f0f0f, v121
	v_lshrrev_b32_e32 v121, 4, v121
	v_and_b32_e32 v142, 0xf0f0f0f, v122
	v_dot4c_i32_i8 v123, v140, v2
	v_and_b32_e32 v141, 0xf0f0f0f, v121
	v_lshrrev_b32_e32 v121, 4, v122
	v_dot4c_i32_i8 v123, v141, v6
	v_and_b32_e32 v143, 0xf0f0f0f, v121
	ds_read2_b32 v[121:122], v120 offset0:2 offset1:3
	v_dot4c_i32_i8 v123, v142, v3
	v_dot4c_i32_i8 v123, v143, v7
	s_waitcnt lgkmcnt(0)
	v_and_b32_e32 v144, 0xf0f0f0f, v121
	v_lshrrev_b32_e32 v121, 4, v121
	v_and_b32_e32 v146, 0xf0f0f0f, v122
	v_dot4c_i32_i8 v123, v144, v4
	v_and_b32_e32 v145, 0xf0f0f0f, v121
	v_lshrrev_b32_e32 v121, 4, v122
	v_dot4c_i32_i8 v123, v145, v8
	v_and_b32_e32 v147, 0xf0f0f0f, v121
	v_dot4c_i32_i8 v123, v146, v5
	v_dot4c_i32_i8 v123, v147, v9
	v_cvt_f32_i32_e32 v121, v123
	v_mov_b32_e32 v123, 0
	v_fma_mix_f32 v121, v13, v121, -v155 op_sel_hi:[1,0,0]
	v_fmac_f32_e32 v30, v139, v121
	v_add_nc_u32_e32 v121, 0x1080, v120
	ds_read_b32 v130, v117
	ds_read2_b32 v[121:122], v121 offset1:1
	v_add_nc_u32_e32 v117, 4, v117
	s_waitcnt lgkmcnt(0)
	v_and_b32_e32 v131, 0xf0f0f0f, v121
	v_lshrrev_b32_e32 v121, 4, v121
	v_and_b32_e32 v133, 0xf0f0f0f, v122
	v_dot4c_i32_i8 v123, v131, v2
	v_and_b32_e32 v132, 0xf0f0f0f, v121
	v_lshrrev_b32_e32 v121, 4, v122
	v_dot4c_i32_i8 v123, v132, v6
	v_and_b32_e32 v134, 0xf0f0f0f, v121
	v_add_nc_u32_e32 v121, 0x1088, v120
	v_dot4c_i32_i8 v123, v133, v3
	ds_read2_b32 v[121:122], v121 offset1:1
	v_dot4c_i32_i8 v123, v134, v7
	s_waitcnt lgkmcnt(0)
	v_and_b32_e32 v135, 0xf0f0f0f, v121
	v_lshrrev_b32_e32 v121, 4, v121
	v_and_b32_e32 v137, 0xf0f0f0f, v122
	v_dot4c_i32_i8 v123, v135, v4
	v_and_b32_e32 v136, 0xf0f0f0f, v121
	v_lshrrev_b32_e32 v121, 4, v122
	v_add_nc_u32_e32 v122, 0x2100, v120
	v_dot4c_i32_i8 v123, v136, v8
	v_and_b32_e32 v138, 0xf0f0f0f, v121
	v_dot4c_i32_i8 v123, v137, v5
	v_dot4c_i32_i8 v123, v138, v9
	v_cvt_f32_i32_e32 v121, v123
	v_fma_mix_f32 v121, v13, v121, -v155 op_sel_hi:[1,0,0]
	v_fmac_f32_e32 v66, v130, v121
	ds_read_b32 v121, v118
	ds_read2_b32 v[124:125], v122 offset1:1
	ds_read2_b32 v[128:129], v126 offset1:1
	v_add_nc_u32_e32 v118, 4, v118
	s_waitcnt lgkmcnt(1)
	v_and_b32_e32 v122, 0xf0f0f0f, v124
	v_lshrrev_b32_e32 v123, 4, v124
	v_and_b32_e32 v124, 0xf0f0f0f, v125
	v_lshrrev_b32_e32 v125, 4, v125
	s_waitcnt lgkmcnt(0)
	v_and_b32_e32 v126, 0xf0f0f0f, v128
	v_dot4c_i32_i8 v148, v122, v2
	v_and_b32_e32 v123, 0xf0f0f0f, v123
	v_lshrrev_b32_e32 v127, 4, v128
	v_and_b32_e32 v125, 0xf0f0f0f, v125
	v_and_b32_e32 v128, 0xf0f0f0f, v129
	v_lshrrev_b32_e32 v129, 4, v129
	v_dot4c_i32_i8 v148, v123, v6
	v_and_b32_e32 v127, 0xf0f0f0f, v127
	v_and_b32_e32 v129, 0xf0f0f0f, v129
	v_dot4c_i32_i8 v148, v124, v3
	v_dot4c_i32_i8 v148, v125, v7
	;; [unrolled: 1-line block ×6, first 2 shown]
	v_cvt_f32_i32_e32 v148, v148
	v_fma_mix_f32 v148, v13, v148, -v155 op_sel_hi:[1,0,0]
	v_fmac_f32_e32 v57, v121, v148
	ds_read_b32 v148, v119
	ds_read2_b32 v[153:154], v149 offset1:1
	v_add_nc_u32_e32 v119, 4, v119
	s_waitcnt lgkmcnt(0)
	v_and_b32_e32 v152, 0xf0f0f0f, v153
	v_lshrrev_b32_e32 v149, 4, v153
	v_and_b32_e32 v151, 0xf0f0f0f, v154
	v_dot4c_i32_i8 v156, v152, v2
	v_and_b32_e32 v150, 0xf0f0f0f, v149
	v_lshrrev_b32_e32 v2, 4, v154
	v_dot4c_i32_i8 v156, v150, v6
	v_and_b32_e32 v149, 0xf0f0f0f, v2
	v_add_nc_u32_e32 v2, 0x3188, v120
	v_cvt_f32_f16_sdwa v6, v14 dst_sel:DWORD dst_unused:UNUSED_PAD src0_sel:WORD_1
	v_add_nc_u32_e32 v120, 16, v120
	v_dot4c_i32_i8 v156, v151, v3
	ds_read2_b32 v[2:3], v2 offset1:1
	v_mul_f32_e32 v6, 0x41000000, v6
	v_dot4c_i32_i8 v156, v149, v7
	s_waitcnt lgkmcnt(0)
	v_and_b32_e32 v7, 0xf0f0f0f, v2
	v_lshrrev_b32_e32 v2, 4, v2
	v_and_b32_e32 v154, 0xf0f0f0f, v3
	v_dot4c_i32_i8 v156, v7, v4
	v_and_b32_e32 v153, 0xf0f0f0f, v2
	v_lshrrev_b32_e32 v2, 4, v3
	v_dot4c_i32_i8 v156, v153, v8
	v_and_b32_e32 v8, 0xf0f0f0f, v2
	v_dot4c_i32_i8 v156, v154, v5
	v_dot4c_i32_i8 v156, v8, v9
	v_mov_b32_e32 v9, 0
	v_cvt_f32_i32_e32 v2, v156
	v_fma_mix_f32 v2, v13, v2, -v155 op_sel_hi:[1,0,0]
	v_mov_b32_e32 v13, 0
	v_fmac_f32_e32 v56, v148, v2
	ds_read_b128 v[2:5], v114 offset:1024
	ds_read_b128 v[155:158], v114 offset:1040
	s_waitcnt lgkmcnt(1)
	v_dot4c_i32_i8 v9, v140, v2
	s_waitcnt lgkmcnt(0)
	v_dot4c_i32_i8 v9, v141, v155
	v_dot4c_i32_i8 v9, v142, v3
	v_dot4c_i32_i8 v9, v143, v156
	v_dot4c_i32_i8 v9, v144, v4
	v_dot4c_i32_i8 v9, v145, v157
	v_dot4c_i32_i8 v9, v146, v5
	v_dot4c_i32_i8 v9, v147, v158
	v_cvt_f32_i32_e32 v9, v9
	v_fma_mix_f32 v9, v9, v14, -v6 op_sel_hi:[0,1,0]
	v_fmac_f32_e32 v54, v139, v9
	v_mov_b32_e32 v9, 0
	v_dot4c_i32_i8 v9, v131, v2
	v_dot4c_i32_i8 v9, v132, v155
	v_dot4c_i32_i8 v9, v133, v3
	v_dot4c_i32_i8 v9, v134, v156
	v_dot4c_i32_i8 v9, v135, v4
	v_dot4c_i32_i8 v9, v136, v157
	v_dot4c_i32_i8 v9, v137, v5
	v_dot4c_i32_i8 v9, v138, v158
	v_cvt_f32_i32_e32 v9, v9
	v_fma_mix_f32 v9, v9, v14, -v6 op_sel_hi:[0,1,0]
	v_fmac_f32_e32 v49, v130, v9
	v_mov_b32_e32 v9, 0
	v_dot4c_i32_i8 v9, v122, v2
	;; [unrolled: 12-line block ×3, first 2 shown]
	v_dot4c_i32_i8 v9, v150, v155
	v_dot4c_i32_i8 v9, v151, v3
	;; [unrolled: 1-line block ×6, first 2 shown]
	v_mov_b32_e32 v5, 0
	v_dot4c_i32_i8 v9, v8, v158
	v_cvt_f32_i32_e32 v2, v9
	v_fma_mix_f32 v2, v2, v14, -v6 op_sel_hi:[0,1,0]
	v_fmac_f32_e32 v45, v148, v2
	ds_read_b128 v[155:158], v114 offset:2048
	ds_read_b128 v[159:162], v114 offset:2064
	ds_read2_b32 v[2:3], v115 offset0:64 offset1:96
	s_waitcnt lgkmcnt(2)
	v_dot4c_i32_i8 v5, v140, v155
	s_waitcnt lgkmcnt(0)
	v_cvt_f32_f16_sdwa v4, v2 dst_sel:DWORD dst_unused:UNUSED_PAD src0_sel:WORD_1
	v_dot4c_i32_i8 v5, v141, v159
	v_mul_f32_e32 v4, 0x41000000, v4
	v_dot4c_i32_i8 v5, v142, v156
	v_dot4c_i32_i8 v5, v143, v160
	v_dot4c_i32_i8 v5, v144, v157
	v_dot4c_i32_i8 v5, v145, v161
	v_dot4c_i32_i8 v5, v146, v158
	v_dot4c_i32_i8 v5, v147, v162
	v_cvt_f32_i32_e32 v5, v5
	v_fma_mix_f32 v5, v5, v2, -v4 op_sel_hi:[0,1,0]
	v_fmac_f32_e32 v43, v139, v5
	v_mov_b32_e32 v5, 0
	v_dot4c_i32_i8 v5, v131, v155
	v_dot4c_i32_i8 v5, v132, v159
	v_dot4c_i32_i8 v5, v133, v156
	v_dot4c_i32_i8 v5, v134, v160
	v_dot4c_i32_i8 v5, v135, v157
	v_dot4c_i32_i8 v5, v136, v161
	v_dot4c_i32_i8 v5, v137, v158
	v_dot4c_i32_i8 v5, v138, v162
	v_cvt_f32_i32_e32 v5, v5
	v_fma_mix_f32 v5, v5, v2, -v4 op_sel_hi:[0,1,0]
	v_fmac_f32_e32 v42, v130, v5
	v_mov_b32_e32 v5, 0
	v_dot4c_i32_i8 v5, v122, v155
	v_dot4c_i32_i8 v5, v123, v159
	;; [unrolled: 12-line block ×3, first 2 shown]
	v_dot4c_i32_i8 v5, v151, v156
	v_dot4c_i32_i8 v5, v149, v160
	;; [unrolled: 1-line block ×6, first 2 shown]
	ds_read_b128 v[155:158], v114 offset:3072
	ds_read_b128 v[159:162], v114 offset:3088
	v_cvt_f32_i32_e32 v5, v5
	v_fma_mix_f32 v2, v5, v2, -v4 op_sel_hi:[0,1,0]
	v_mov_b32_e32 v4, 0
	v_mov_b32_e32 v5, 0
	v_fmac_f32_e32 v38, v148, v2
	v_cvt_f32_f16_sdwa v2, v3 dst_sel:DWORD dst_unused:UNUSED_PAD src0_sel:WORD_1
	s_waitcnt lgkmcnt(1)
	v_dot4c_i32_i8 v4, v140, v155
	v_mul_f32_e32 v2, 0x41000000, v2
	s_waitcnt lgkmcnt(0)
	v_dot4c_i32_i8 v4, v141, v159
	v_dot4c_i32_i8 v4, v142, v156
	v_dot4c_i32_i8 v4, v143, v160
	v_dot4c_i32_i8 v4, v144, v157
	v_dot4c_i32_i8 v4, v145, v161
	v_dot4c_i32_i8 v4, v146, v158
	v_dot4c_i32_i8 v4, v147, v162
	v_cvt_f32_i32_e32 v4, v4
	v_fma_mix_f32 v4, v4, v3, -v2 op_sel_hi:[0,1,0]
	v_fmac_f32_e32 v37, v139, v4
	v_mov_b32_e32 v4, 0
	v_dot4c_i32_i8 v4, v131, v155
	v_dot4c_i32_i8 v4, v132, v159
	v_dot4c_i32_i8 v4, v133, v156
	v_dot4c_i32_i8 v4, v134, v160
	v_dot4c_i32_i8 v4, v135, v157
	v_dot4c_i32_i8 v4, v136, v161
	v_dot4c_i32_i8 v4, v137, v158
	v_dot4c_i32_i8 v4, v138, v162
	v_cvt_f32_i32_e32 v4, v4
	v_fma_mix_f32 v4, v4, v3, -v2 op_sel_hi:[0,1,0]
	v_fmac_f32_e32 v35, v130, v4
	v_mov_b32_e32 v4, 0
	v_dot4c_i32_i8 v4, v122, v155
	;; [unrolled: 12-line block ×3, first 2 shown]
	v_dot4c_i32_i8 v4, v150, v159
	v_dot4c_i32_i8 v4, v151, v156
	;; [unrolled: 1-line block ×7, first 2 shown]
	v_cvt_f32_i32_e32 v4, v4
	v_fma_mix_f32 v2, v4, v3, -v2 op_sel_hi:[0,1,0]
	v_fmac_f32_e32 v33, v148, v2
	ds_read_b128 v[155:158], v114 offset:4096
	ds_read_b128 v[159:162], v114 offset:4112
	ds_read2_b32 v[2:3], v115 offset0:128 offset1:160
	s_waitcnt lgkmcnt(2)
	v_dot4c_i32_i8 v5, v140, v155
	s_waitcnt lgkmcnt(0)
	v_cvt_f32_f16_sdwa v4, v2 dst_sel:DWORD dst_unused:UNUSED_PAD src0_sel:WORD_1
	v_dot4c_i32_i8 v5, v141, v159
	v_mul_f32_e32 v4, 0x41000000, v4
	v_dot4c_i32_i8 v5, v142, v156
	v_dot4c_i32_i8 v5, v143, v160
	v_dot4c_i32_i8 v5, v144, v157
	v_dot4c_i32_i8 v5, v145, v161
	v_dot4c_i32_i8 v5, v146, v158
	v_dot4c_i32_i8 v5, v147, v162
	v_cvt_f32_i32_e32 v5, v5
	v_fma_mix_f32 v5, v5, v2, -v4 op_sel_hi:[0,1,0]
	v_fmac_f32_e32 v32, v139, v5
	v_mov_b32_e32 v5, 0
	v_dot4c_i32_i8 v5, v131, v155
	v_dot4c_i32_i8 v5, v132, v159
	v_dot4c_i32_i8 v5, v133, v156
	v_dot4c_i32_i8 v5, v134, v160
	v_dot4c_i32_i8 v5, v135, v157
	v_dot4c_i32_i8 v5, v136, v161
	v_dot4c_i32_i8 v5, v137, v158
	v_dot4c_i32_i8 v5, v138, v162
	v_cvt_f32_i32_e32 v5, v5
	v_fma_mix_f32 v5, v5, v2, -v4 op_sel_hi:[0,1,0]
	v_fmac_f32_e32 v31, v130, v5
	v_mov_b32_e32 v5, 0
	v_dot4c_i32_i8 v5, v122, v155
	v_dot4c_i32_i8 v5, v123, v159
	;; [unrolled: 12-line block ×3, first 2 shown]
	v_dot4c_i32_i8 v5, v151, v156
	v_dot4c_i32_i8 v5, v149, v160
	;; [unrolled: 1-line block ×6, first 2 shown]
	ds_read_b128 v[155:158], v114 offset:5120
	ds_read_b128 v[159:162], v114 offset:5136
	v_cvt_f32_i32_e32 v5, v5
	v_fma_mix_f32 v2, v5, v2, -v4 op_sel_hi:[0,1,0]
	v_mov_b32_e32 v4, 0
	v_fmac_f32_e32 v27, v148, v2
	v_cvt_f32_f16_sdwa v2, v3 dst_sel:DWORD dst_unused:UNUSED_PAD src0_sel:WORD_1
	s_waitcnt lgkmcnt(1)
	v_dot4c_i32_i8 v4, v140, v155
	v_mul_f32_e32 v2, 0x41000000, v2
	s_waitcnt lgkmcnt(0)
	v_dot4c_i32_i8 v4, v141, v159
	v_dot4c_i32_i8 v4, v142, v156
	v_dot4c_i32_i8 v4, v143, v160
	v_dot4c_i32_i8 v4, v144, v157
	v_dot4c_i32_i8 v4, v145, v161
	v_dot4c_i32_i8 v4, v146, v158
	v_dot4c_i32_i8 v4, v147, v162
	v_cvt_f32_i32_e32 v4, v4
	v_fma_mix_f32 v4, v4, v3, -v2 op_sel_hi:[0,1,0]
	v_fmac_f32_e32 v26, v139, v4
	v_mov_b32_e32 v4, 0
	v_dot4c_i32_i8 v4, v131, v155
	v_dot4c_i32_i8 v4, v132, v159
	v_dot4c_i32_i8 v4, v133, v156
	v_dot4c_i32_i8 v4, v134, v160
	v_dot4c_i32_i8 v4, v135, v157
	v_dot4c_i32_i8 v4, v136, v161
	v_dot4c_i32_i8 v4, v137, v158
	v_dot4c_i32_i8 v4, v138, v162
	v_cvt_f32_i32_e32 v4, v4
	v_fma_mix_f32 v4, v4, v3, -v2 op_sel_hi:[0,1,0]
	v_fmac_f32_e32 v25, v130, v4
	v_mov_b32_e32 v4, 0
	v_dot4c_i32_i8 v4, v122, v155
	;; [unrolled: 12-line block ×3, first 2 shown]
	v_dot4c_i32_i8 v4, v150, v159
	v_dot4c_i32_i8 v4, v151, v156
	;; [unrolled: 1-line block ×7, first 2 shown]
	ds_read_b128 v[155:158], v114 offset:6144
	ds_read_b128 v[159:162], v114 offset:6160
	ds_read2_b32 v[5:6], v115 offset0:192 offset1:224
	v_add_nc_u32_e32 v115, 4, v115
	v_cvt_f32_i32_e32 v4, v4
	v_fma_mix_f32 v2, v4, v3, -v2 op_sel_hi:[0,1,0]
	v_mov_b32_e32 v3, 0
	v_fmac_f32_e32 v23, v148, v2
	s_waitcnt lgkmcnt(2)
	v_dot4c_i32_i8 v3, v140, v155
	s_waitcnt lgkmcnt(0)
	v_cvt_f32_f16_sdwa v2, v5 dst_sel:DWORD dst_unused:UNUSED_PAD src0_sel:WORD_1
	v_cvt_f32_f16_sdwa v9, v6 dst_sel:DWORD dst_unused:UNUSED_PAD src0_sel:WORD_1
	v_dot4c_i32_i8 v3, v141, v159
	v_mul_f32_e32 v2, 0x41000000, v2
	v_mul_f32_e32 v9, 0x41000000, v9
	v_dot4c_i32_i8 v3, v142, v156
	v_dot4c_i32_i8 v3, v143, v160
	v_dot4c_i32_i8 v3, v144, v157
	v_dot4c_i32_i8 v3, v145, v161
	v_dot4c_i32_i8 v3, v146, v158
	v_dot4c_i32_i8 v3, v147, v162
	v_cvt_f32_i32_e32 v3, v3
	v_fma_mix_f32 v3, v3, v5, -v2 op_sel_hi:[0,1,0]
	v_fmac_f32_e32 v22, v139, v3
	v_mov_b32_e32 v3, 0
	v_dot4c_i32_i8 v3, v131, v155
	v_dot4c_i32_i8 v3, v132, v159
	v_dot4c_i32_i8 v3, v133, v156
	v_dot4c_i32_i8 v3, v134, v160
	v_dot4c_i32_i8 v3, v135, v157
	v_dot4c_i32_i8 v3, v136, v161
	v_dot4c_i32_i8 v3, v137, v158
	v_dot4c_i32_i8 v3, v138, v162
	v_cvt_f32_i32_e32 v3, v3
	v_fma_mix_f32 v3, v3, v5, -v2 op_sel_hi:[0,1,0]
	v_fmac_f32_e32 v21, v130, v3
	v_mov_b32_e32 v3, 0
	v_dot4c_i32_i8 v3, v122, v155
	v_dot4c_i32_i8 v3, v123, v159
	v_dot4c_i32_i8 v3, v124, v156
	v_dot4c_i32_i8 v3, v125, v160
	v_dot4c_i32_i8 v3, v126, v157
	v_dot4c_i32_i8 v3, v127, v161
	v_dot4c_i32_i8 v3, v128, v158
	v_dot4c_i32_i8 v3, v129, v162
	v_cvt_f32_i32_e32 v3, v3
	v_fma_mix_f32 v3, v3, v5, -v2 op_sel_hi:[0,1,0]
	v_fmac_f32_e32 v20, v121, v3
	v_mov_b32_e32 v3, 0
	v_dot4c_i32_i8 v3, v152, v155
	v_dot4c_i32_i8 v3, v150, v159
	v_dot4c_i32_i8 v3, v151, v156
	v_dot4c_i32_i8 v3, v149, v160
	;; [unrolled: 1-line block ×6, first 2 shown]
	v_cvt_f32_i32_e32 v3, v3
	v_fma_mix_f32 v2, v3, v5, -v2 op_sel_hi:[0,1,0]
	v_fmac_f32_e32 v19, v148, v2
	ds_read_b128 v[155:158], v114 offset:7168
	ds_read_b128 v[2:5], v114 offset:7184
	v_add_nc_u32_e32 v114, 32, v114
	s_waitcnt lgkmcnt(1)
	v_dot4c_i32_i8 v13, v140, v155
	s_waitcnt lgkmcnt(0)
	v_dot4c_i32_i8 v13, v141, v2
	v_dot4c_i32_i8 v13, v142, v156
	v_dot4c_i32_i8 v13, v143, v3
	v_dot4c_i32_i8 v13, v144, v157
	v_dot4c_i32_i8 v13, v145, v4
	v_dot4c_i32_i8 v13, v146, v158
	v_dot4c_i32_i8 v13, v147, v5
	v_cvt_f32_i32_e32 v13, v13
	v_fma_mix_f32 v13, v13, v6, -v9 op_sel_hi:[0,1,0]
	v_fmac_f32_e32 v18, v139, v13
	v_mov_b32_e32 v13, 0
	v_dot4c_i32_i8 v13, v131, v155
	v_dot4c_i32_i8 v13, v132, v2
	v_dot4c_i32_i8 v13, v133, v156
	v_dot4c_i32_i8 v13, v134, v3
	v_dot4c_i32_i8 v13, v135, v157
	v_dot4c_i32_i8 v13, v136, v4
	v_dot4c_i32_i8 v13, v137, v158
	v_dot4c_i32_i8 v13, v138, v5
	v_cvt_f32_i32_e32 v13, v13
	v_fma_mix_f32 v13, v13, v6, -v9 op_sel_hi:[0,1,0]
	v_fmac_f32_e32 v17, v130, v13
	v_mov_b32_e32 v13, 0
	v_dot4c_i32_i8 v13, v122, v155
	;; [unrolled: 12-line block ×3, first 2 shown]
	v_dot4c_i32_i8 v13, v150, v2
	v_dot4c_i32_i8 v13, v151, v156
	;; [unrolled: 1-line block ×7, first 2 shown]
	v_cvt_f32_i32_e32 v2, v13
	v_fma_mix_f32 v2, v2, v6, -v9 op_sel_hi:[0,1,0]
	v_fmac_f32_e32 v15, v148, v2
	s_cbranch_scc1 .LBB117_8
; %bb.9:                                ;   in Loop: Header=BB117_6 Depth=1
	s_and_b32 s0, s11, -4
	s_cmp_eq_u32 s0, 4
	s_barrier
	buffer_gl0_inv
	s_cbranch_scc1 .LBB117_5
; %bb.10:                               ;   in Loop: Header=BB117_6 Depth=1
	v_add_nc_u32_e32 v115, s14, v89
	v_add_nc_u32_e32 v113, 4, v113
	s_mov_b32 s0, 12
	v_add_nc_u32_e32 v2, v115, v80
	v_add_nc_u32_e32 v4, v115, v81
	;; [unrolled: 1-line block ×5, first 2 shown]
	v_mad_u64_u32 v[113:114], null, v113, 36, s[2:3]
	v_mad_i64_i32 v[2:3], null, v2, 36, v[11:12]
	v_add_nc_u32_e32 v116, v115, v85
	v_mad_i64_i32 v[4:5], null, v4, 36, v[11:12]
	v_add_nc_u32_e32 v117, v115, v86
	;; [unrolled: 2-line block ×3, first 2 shown]
	v_mad_i64_i32 v[8:9], null, v8, 36, v[11:12]
	v_mad_i64_i32 v[13:14], null, v13, 36, v[11:12]
	;; [unrolled: 1-line block ×5, first 2 shown]
	s_clause 0x8
	global_load_dword v121, v[113:114], off
	global_load_dword v2, v[2:3], off offset:4
	global_load_dword v3, v[4:5], off offset:4
	;; [unrolled: 1-line block ×8, first 2 shown]
	v_mov_b32_e32 v113, v94
	v_mov_b32_e32 v114, v95
	v_mov_b32_e32 v115, v100
	v_mov_b32_e32 v116, v99
	v_mov_b32_e32 v117, v98
	v_mov_b32_e32 v118, v97
	v_mov_b32_e32 v119, v96
	s_waitcnt vmcnt(8)
	ds_write_b32 v79, v121
	s_waitcnt vmcnt(7)
	ds_write_b32 v105, v2
	;; [unrolled: 2-line block ×9, first 2 shown]
	s_waitcnt lgkmcnt(0)
	s_barrier
	buffer_gl0_inv
.LBB117_11:                             ;   Parent Loop BB117_6 Depth=1
                                        ; =>  This Inner Loop Header: Depth=2
	ds_read_b128 v[2:5], v114
	ds_read_b128 v[6:9], v114 offset:16
	ds_read2_b32 v[13:14], v113 offset1:32
	v_mov_b32_e32 v122, 0
	v_add_nc_u32_e32 v126, 0x2108, v119
	v_add_nc_u32_e32 v148, 0x3180, v119
	s_add_i32 s0, s0, 4
	s_cmp_lt_u32 s0, 28
	s_waitcnt lgkmcnt(0)
	v_cvt_f32_f16_sdwa v120, v13 dst_sel:DWORD dst_unused:UNUSED_PAD src0_sel:WORD_1
	v_mul_f32_e32 v152, 0x41000000, v120
	ds_read_b32 v139, v115
	ds_read2_b32 v[120:121], v119 offset1:1
	v_add_nc_u32_e32 v115, 4, v115
	s_waitcnt lgkmcnt(0)
	v_and_b32_e32 v140, 0xf0f0f0f, v120
	v_lshrrev_b32_e32 v120, 4, v120
	v_and_b32_e32 v142, 0xf0f0f0f, v121
	v_dot4c_i32_i8 v122, v140, v2
	v_and_b32_e32 v141, 0xf0f0f0f, v120
	v_lshrrev_b32_e32 v120, 4, v121
	v_dot4c_i32_i8 v122, v141, v6
	v_and_b32_e32 v143, 0xf0f0f0f, v120
	ds_read2_b32 v[120:121], v119 offset0:2 offset1:3
	v_dot4c_i32_i8 v122, v142, v3
	v_dot4c_i32_i8 v122, v143, v7
	s_waitcnt lgkmcnt(0)
	v_and_b32_e32 v144, 0xf0f0f0f, v120
	v_lshrrev_b32_e32 v120, 4, v120
	v_and_b32_e32 v146, 0xf0f0f0f, v121
	v_dot4c_i32_i8 v122, v144, v4
	v_and_b32_e32 v145, 0xf0f0f0f, v120
	v_lshrrev_b32_e32 v120, 4, v121
	v_dot4c_i32_i8 v122, v145, v8
	v_and_b32_e32 v147, 0xf0f0f0f, v120
	v_dot4c_i32_i8 v122, v146, v5
	v_dot4c_i32_i8 v122, v147, v9
	v_cvt_f32_i32_e32 v120, v122
	v_mov_b32_e32 v122, 0
	v_fma_mix_f32 v120, v13, v120, -v152 op_sel_hi:[1,0,0]
	v_fmac_f32_e32 v30, v139, v120
	v_add_nc_u32_e32 v120, 0x1080, v119
	ds_read_b32 v130, v116
	ds_read2_b32 v[120:121], v120 offset1:1
	v_add_nc_u32_e32 v116, 4, v116
	s_waitcnt lgkmcnt(0)
	v_and_b32_e32 v131, 0xf0f0f0f, v120
	v_lshrrev_b32_e32 v120, 4, v120
	v_and_b32_e32 v133, 0xf0f0f0f, v121
	v_dot4c_i32_i8 v122, v131, v2
	v_and_b32_e32 v132, 0xf0f0f0f, v120
	v_lshrrev_b32_e32 v120, 4, v121
	v_dot4c_i32_i8 v122, v132, v6
	v_and_b32_e32 v134, 0xf0f0f0f, v120
	v_add_nc_u32_e32 v120, 0x1088, v119
	v_dot4c_i32_i8 v122, v133, v3
	ds_read2_b32 v[120:121], v120 offset1:1
	v_dot4c_i32_i8 v122, v134, v7
	s_waitcnt lgkmcnt(0)
	v_and_b32_e32 v135, 0xf0f0f0f, v120
	v_lshrrev_b32_e32 v120, 4, v120
	v_and_b32_e32 v137, 0xf0f0f0f, v121
	v_dot4c_i32_i8 v122, v135, v4
	v_and_b32_e32 v136, 0xf0f0f0f, v120
	v_lshrrev_b32_e32 v120, 4, v121
	v_dot4c_i32_i8 v122, v136, v8
	v_and_b32_e32 v138, 0xf0f0f0f, v120
	v_dot4c_i32_i8 v122, v137, v5
	v_dot4c_i32_i8 v122, v138, v9
	v_cvt_f32_i32_e32 v120, v122
	v_fma_mix_f32 v120, v13, v120, -v152 op_sel_hi:[1,0,0]
	v_fmac_f32_e32 v66, v130, v120
	v_add_nc_u32_e32 v120, 0x2100, v119
	ds_read_b32 v121, v117
	ds_read2_b32 v[124:125], v120 offset1:1
	ds_read2_b32 v[128:129], v126 offset1:1
	v_add_nc_u32_e32 v117, 4, v117
	s_waitcnt lgkmcnt(1)
	v_lshrrev_b32_e32 v120, 4, v124
	v_and_b32_e32 v122, 0xf0f0f0f, v124
	v_and_b32_e32 v124, 0xf0f0f0f, v125
	v_lshrrev_b32_e32 v125, 4, v125
	s_waitcnt lgkmcnt(0)
	v_and_b32_e32 v126, 0xf0f0f0f, v128
	v_and_b32_e32 v123, 0xf0f0f0f, v120
	v_mov_b32_e32 v120, 0
	v_lshrrev_b32_e32 v127, 4, v128
	v_and_b32_e32 v125, 0xf0f0f0f, v125
	v_and_b32_e32 v128, 0xf0f0f0f, v129
	v_lshrrev_b32_e32 v129, 4, v129
	v_dot4c_i32_i8 v120, v122, v2
	v_and_b32_e32 v127, 0xf0f0f0f, v127
	v_and_b32_e32 v129, 0xf0f0f0f, v129
	v_dot4c_i32_i8 v120, v123, v6
	v_dot4c_i32_i8 v120, v124, v3
	;; [unrolled: 1-line block ×7, first 2 shown]
	v_cvt_f32_i32_e32 v120, v120
	v_fma_mix_f32 v120, v13, v120, -v152 op_sel_hi:[1,0,0]
	v_fmac_f32_e32 v57, v121, v120
	ds_read_b32 v120, v118
	ds_read2_b32 v[153:154], v148 offset1:1
	v_add_nc_u32_e32 v118, 4, v118
	s_waitcnt lgkmcnt(0)
	v_and_b32_e32 v150, 0xf0f0f0f, v153
	v_lshrrev_b32_e32 v148, 4, v153
	v_mov_b32_e32 v153, 0
	v_and_b32_e32 v149, 0xf0f0f0f, v148
	v_dot4c_i32_i8 v153, v150, v2
	v_lshrrev_b32_e32 v2, 4, v154
	v_and_b32_e32 v148, 0xf0f0f0f, v154
	v_dot4c_i32_i8 v153, v149, v6
	v_and_b32_e32 v6, 0xf0f0f0f, v2
	v_add_nc_u32_e32 v2, 0x3188, v119
	v_add_nc_u32_e32 v119, 16, v119
	v_dot4c_i32_i8 v153, v148, v3
	ds_read2_b32 v[2:3], v2 offset1:1
	v_dot4c_i32_i8 v153, v6, v7
	s_waitcnt lgkmcnt(0)
	v_and_b32_e32 v7, 0xf0f0f0f, v2
	v_lshrrev_b32_e32 v2, 4, v2
	v_dot4c_i32_i8 v153, v7, v4
	v_and_b32_e32 v151, 0xf0f0f0f, v2
	v_lshrrev_b32_e32 v2, 4, v3
	v_dot4c_i32_i8 v153, v151, v8
	v_and_b32_e32 v8, 0xf0f0f0f, v3
	v_and_b32_e32 v4, 0xf0f0f0f, v2
	v_mov_b32_e32 v3, 0
	v_dot4c_i32_i8 v153, v8, v5
	v_dot4c_i32_i8 v153, v4, v9
	v_mov_b32_e32 v9, 0
	v_cvt_f32_i32_e32 v2, v153
	v_fma_mix_f32 v2, v13, v2, -v152 op_sel_hi:[1,0,0]
	ds_read_b128 v[152:155], v114 offset:1024
	ds_read_b128 v[156:159], v114 offset:1040
	v_fmac_f32_e32 v56, v120, v2
	v_cvt_f32_f16_sdwa v2, v14 dst_sel:DWORD dst_unused:UNUSED_PAD src0_sel:WORD_1
	v_mul_f32_e32 v2, 0x41000000, v2
	s_waitcnt lgkmcnt(1)
	v_dot4c_i32_i8 v3, v140, v152
	s_waitcnt lgkmcnt(0)
	v_dot4c_i32_i8 v3, v141, v156
	v_dot4c_i32_i8 v3, v142, v153
	v_dot4c_i32_i8 v3, v143, v157
	v_dot4c_i32_i8 v3, v144, v154
	v_dot4c_i32_i8 v3, v145, v158
	v_dot4c_i32_i8 v3, v146, v155
	v_dot4c_i32_i8 v3, v147, v159
	v_cvt_f32_i32_e32 v3, v3
	v_fma_mix_f32 v3, v3, v14, -v2 op_sel_hi:[0,1,0]
	v_fmac_f32_e32 v54, v139, v3
	v_mov_b32_e32 v3, 0
	v_dot4c_i32_i8 v3, v131, v152
	v_dot4c_i32_i8 v3, v132, v156
	v_dot4c_i32_i8 v3, v133, v153
	v_dot4c_i32_i8 v3, v134, v157
	v_dot4c_i32_i8 v3, v135, v154
	v_dot4c_i32_i8 v3, v136, v158
	v_dot4c_i32_i8 v3, v137, v155
	v_dot4c_i32_i8 v3, v138, v159
	v_cvt_f32_i32_e32 v3, v3
	v_fma_mix_f32 v3, v3, v14, -v2 op_sel_hi:[0,1,0]
	v_fmac_f32_e32 v49, v130, v3
	v_mov_b32_e32 v3, 0
	v_dot4c_i32_i8 v3, v122, v152
	;; [unrolled: 12-line block ×3, first 2 shown]
	v_dot4c_i32_i8 v3, v149, v156
	v_dot4c_i32_i8 v3, v148, v153
	;; [unrolled: 1-line block ×7, first 2 shown]
	v_cvt_f32_i32_e32 v3, v3
	v_fma_mix_f32 v2, v3, v14, -v2 op_sel_hi:[0,1,0]
	v_fmac_f32_e32 v45, v120, v2
	ds_read_b128 v[152:155], v114 offset:2048
	ds_read_b128 v[156:159], v114 offset:2064
	ds_read2_b32 v[2:3], v113 offset0:64 offset1:96
	s_waitcnt lgkmcnt(2)
	v_dot4c_i32_i8 v9, v140, v152
	s_waitcnt lgkmcnt(0)
	v_cvt_f32_f16_sdwa v5, v2 dst_sel:DWORD dst_unused:UNUSED_PAD src0_sel:WORD_1
	v_dot4c_i32_i8 v9, v141, v156
	v_mul_f32_e32 v5, 0x41000000, v5
	v_dot4c_i32_i8 v9, v142, v153
	v_dot4c_i32_i8 v9, v143, v157
	v_dot4c_i32_i8 v9, v144, v154
	v_dot4c_i32_i8 v9, v145, v158
	v_dot4c_i32_i8 v9, v146, v155
	v_dot4c_i32_i8 v9, v147, v159
	v_cvt_f32_i32_e32 v9, v9
	v_fma_mix_f32 v9, v9, v2, -v5 op_sel_hi:[0,1,0]
	v_fmac_f32_e32 v43, v139, v9
	v_mov_b32_e32 v9, 0
	v_dot4c_i32_i8 v9, v131, v152
	v_dot4c_i32_i8 v9, v132, v156
	v_dot4c_i32_i8 v9, v133, v153
	v_dot4c_i32_i8 v9, v134, v157
	v_dot4c_i32_i8 v9, v135, v154
	v_dot4c_i32_i8 v9, v136, v158
	v_dot4c_i32_i8 v9, v137, v155
	v_dot4c_i32_i8 v9, v138, v159
	v_cvt_f32_i32_e32 v9, v9
	v_fma_mix_f32 v9, v9, v2, -v5 op_sel_hi:[0,1,0]
	v_fmac_f32_e32 v42, v130, v9
	v_mov_b32_e32 v9, 0
	v_dot4c_i32_i8 v9, v122, v152
	v_dot4c_i32_i8 v9, v123, v156
	;; [unrolled: 12-line block ×3, first 2 shown]
	v_dot4c_i32_i8 v9, v148, v153
	v_dot4c_i32_i8 v9, v6, v157
	;; [unrolled: 1-line block ×6, first 2 shown]
	ds_read_b128 v[152:155], v114 offset:3072
	ds_read_b128 v[156:159], v114 offset:3088
	v_cvt_f32_i32_e32 v9, v9
	v_fma_mix_f32 v2, v9, v2, -v5 op_sel_hi:[0,1,0]
	v_mov_b32_e32 v5, 0
	v_mov_b32_e32 v9, 0
	v_fmac_f32_e32 v38, v120, v2
	v_cvt_f32_f16_sdwa v2, v3 dst_sel:DWORD dst_unused:UNUSED_PAD src0_sel:WORD_1
	s_waitcnt lgkmcnt(1)
	v_dot4c_i32_i8 v5, v140, v152
	v_mul_f32_e32 v2, 0x41000000, v2
	s_waitcnt lgkmcnt(0)
	v_dot4c_i32_i8 v5, v141, v156
	v_dot4c_i32_i8 v5, v142, v153
	v_dot4c_i32_i8 v5, v143, v157
	v_dot4c_i32_i8 v5, v144, v154
	v_dot4c_i32_i8 v5, v145, v158
	v_dot4c_i32_i8 v5, v146, v155
	v_dot4c_i32_i8 v5, v147, v159
	v_cvt_f32_i32_e32 v5, v5
	v_fma_mix_f32 v5, v5, v3, -v2 op_sel_hi:[0,1,0]
	v_fmac_f32_e32 v37, v139, v5
	v_mov_b32_e32 v5, 0
	v_dot4c_i32_i8 v5, v131, v152
	v_dot4c_i32_i8 v5, v132, v156
	v_dot4c_i32_i8 v5, v133, v153
	v_dot4c_i32_i8 v5, v134, v157
	v_dot4c_i32_i8 v5, v135, v154
	v_dot4c_i32_i8 v5, v136, v158
	v_dot4c_i32_i8 v5, v137, v155
	v_dot4c_i32_i8 v5, v138, v159
	v_cvt_f32_i32_e32 v5, v5
	v_fma_mix_f32 v5, v5, v3, -v2 op_sel_hi:[0,1,0]
	v_fmac_f32_e32 v35, v130, v5
	v_mov_b32_e32 v5, 0
	v_dot4c_i32_i8 v5, v122, v152
	;; [unrolled: 12-line block ×3, first 2 shown]
	v_dot4c_i32_i8 v5, v149, v156
	v_dot4c_i32_i8 v5, v148, v153
	;; [unrolled: 1-line block ×7, first 2 shown]
	v_cvt_f32_i32_e32 v5, v5
	v_fma_mix_f32 v2, v5, v3, -v2 op_sel_hi:[0,1,0]
	v_fmac_f32_e32 v33, v120, v2
	ds_read_b128 v[152:155], v114 offset:4096
	ds_read_b128 v[156:159], v114 offset:4112
	ds_read2_b32 v[2:3], v113 offset0:128 offset1:160
	s_waitcnt lgkmcnt(2)
	v_dot4c_i32_i8 v9, v140, v152
	s_waitcnt lgkmcnt(0)
	v_cvt_f32_f16_sdwa v5, v2 dst_sel:DWORD dst_unused:UNUSED_PAD src0_sel:WORD_1
	v_dot4c_i32_i8 v9, v141, v156
	v_mul_f32_e32 v5, 0x41000000, v5
	v_dot4c_i32_i8 v9, v142, v153
	v_dot4c_i32_i8 v9, v143, v157
	v_dot4c_i32_i8 v9, v144, v154
	v_dot4c_i32_i8 v9, v145, v158
	v_dot4c_i32_i8 v9, v146, v155
	v_dot4c_i32_i8 v9, v147, v159
	v_cvt_f32_i32_e32 v9, v9
	v_fma_mix_f32 v9, v9, v2, -v5 op_sel_hi:[0,1,0]
	v_fmac_f32_e32 v32, v139, v9
	v_mov_b32_e32 v9, 0
	v_dot4c_i32_i8 v9, v131, v152
	v_dot4c_i32_i8 v9, v132, v156
	v_dot4c_i32_i8 v9, v133, v153
	v_dot4c_i32_i8 v9, v134, v157
	v_dot4c_i32_i8 v9, v135, v154
	v_dot4c_i32_i8 v9, v136, v158
	v_dot4c_i32_i8 v9, v137, v155
	v_dot4c_i32_i8 v9, v138, v159
	v_cvt_f32_i32_e32 v9, v9
	v_fma_mix_f32 v9, v9, v2, -v5 op_sel_hi:[0,1,0]
	v_fmac_f32_e32 v31, v130, v9
	v_mov_b32_e32 v9, 0
	v_dot4c_i32_i8 v9, v122, v152
	v_dot4c_i32_i8 v9, v123, v156
	;; [unrolled: 12-line block ×3, first 2 shown]
	v_dot4c_i32_i8 v9, v148, v153
	v_dot4c_i32_i8 v9, v6, v157
	;; [unrolled: 1-line block ×6, first 2 shown]
	ds_read_b128 v[152:155], v114 offset:5120
	ds_read_b128 v[156:159], v114 offset:5136
	v_cvt_f32_i32_e32 v9, v9
	v_fma_mix_f32 v2, v9, v2, -v5 op_sel_hi:[0,1,0]
	v_mov_b32_e32 v5, 0
	v_mov_b32_e32 v9, 0
	v_fmac_f32_e32 v27, v120, v2
	v_cvt_f32_f16_sdwa v2, v3 dst_sel:DWORD dst_unused:UNUSED_PAD src0_sel:WORD_1
	s_waitcnt lgkmcnt(1)
	v_dot4c_i32_i8 v5, v140, v152
	v_mul_f32_e32 v2, 0x41000000, v2
	s_waitcnt lgkmcnt(0)
	v_dot4c_i32_i8 v5, v141, v156
	v_dot4c_i32_i8 v5, v142, v153
	v_dot4c_i32_i8 v5, v143, v157
	v_dot4c_i32_i8 v5, v144, v154
	v_dot4c_i32_i8 v5, v145, v158
	v_dot4c_i32_i8 v5, v146, v155
	v_dot4c_i32_i8 v5, v147, v159
	v_cvt_f32_i32_e32 v5, v5
	v_fma_mix_f32 v5, v5, v3, -v2 op_sel_hi:[0,1,0]
	v_fmac_f32_e32 v26, v139, v5
	v_mov_b32_e32 v5, 0
	v_dot4c_i32_i8 v5, v131, v152
	v_dot4c_i32_i8 v5, v132, v156
	v_dot4c_i32_i8 v5, v133, v153
	v_dot4c_i32_i8 v5, v134, v157
	v_dot4c_i32_i8 v5, v135, v154
	v_dot4c_i32_i8 v5, v136, v158
	v_dot4c_i32_i8 v5, v137, v155
	v_dot4c_i32_i8 v5, v138, v159
	v_cvt_f32_i32_e32 v5, v5
	v_fma_mix_f32 v5, v5, v3, -v2 op_sel_hi:[0,1,0]
	v_fmac_f32_e32 v25, v130, v5
	v_mov_b32_e32 v5, 0
	v_dot4c_i32_i8 v5, v122, v152
	;; [unrolled: 12-line block ×3, first 2 shown]
	v_dot4c_i32_i8 v5, v149, v156
	v_dot4c_i32_i8 v5, v148, v153
	;; [unrolled: 1-line block ×7, first 2 shown]
	v_cvt_f32_i32_e32 v5, v5
	v_fma_mix_f32 v2, v5, v3, -v2 op_sel_hi:[0,1,0]
	v_fmac_f32_e32 v23, v120, v2
	ds_read_b128 v[152:155], v114 offset:6144
	ds_read_b128 v[156:159], v114 offset:6160
	ds_read2_b32 v[2:3], v113 offset0:192 offset1:224
	v_add_nc_u32_e32 v113, 4, v113
	s_waitcnt lgkmcnt(2)
	v_dot4c_i32_i8 v9, v140, v152
	s_waitcnt lgkmcnt(0)
	v_cvt_f32_f16_sdwa v5, v2 dst_sel:DWORD dst_unused:UNUSED_PAD src0_sel:WORD_1
	v_dot4c_i32_i8 v9, v141, v156
	v_mul_f32_e32 v5, 0x41000000, v5
	v_dot4c_i32_i8 v9, v142, v153
	v_dot4c_i32_i8 v9, v143, v157
	v_dot4c_i32_i8 v9, v144, v154
	v_dot4c_i32_i8 v9, v145, v158
	v_dot4c_i32_i8 v9, v146, v155
	v_dot4c_i32_i8 v9, v147, v159
	v_cvt_f32_i32_e32 v9, v9
	v_fma_mix_f32 v9, v9, v2, -v5 op_sel_hi:[0,1,0]
	v_fmac_f32_e32 v22, v139, v9
	v_mov_b32_e32 v9, 0
	v_dot4c_i32_i8 v9, v131, v152
	v_dot4c_i32_i8 v9, v132, v156
	v_dot4c_i32_i8 v9, v133, v153
	v_dot4c_i32_i8 v9, v134, v157
	v_dot4c_i32_i8 v9, v135, v154
	v_dot4c_i32_i8 v9, v136, v158
	v_dot4c_i32_i8 v9, v137, v155
	v_dot4c_i32_i8 v9, v138, v159
	v_cvt_f32_i32_e32 v9, v9
	v_fma_mix_f32 v9, v9, v2, -v5 op_sel_hi:[0,1,0]
	v_fmac_f32_e32 v21, v130, v9
	v_mov_b32_e32 v9, 0
	v_dot4c_i32_i8 v9, v122, v152
	v_dot4c_i32_i8 v9, v123, v156
	;; [unrolled: 12-line block ×3, first 2 shown]
	v_dot4c_i32_i8 v9, v148, v153
	v_dot4c_i32_i8 v9, v6, v157
	;; [unrolled: 1-line block ×6, first 2 shown]
	ds_read_b128 v[152:155], v114 offset:7168
	ds_read_b128 v[156:159], v114 offset:7184
	v_add_nc_u32_e32 v114, 32, v114
	v_cvt_f32_i32_e32 v9, v9
	v_fma_mix_f32 v2, v9, v2, -v5 op_sel_hi:[0,1,0]
	v_mov_b32_e32 v5, 0
	v_fmac_f32_e32 v19, v120, v2
	v_cvt_f32_f16_sdwa v2, v3 dst_sel:DWORD dst_unused:UNUSED_PAD src0_sel:WORD_1
	s_waitcnt lgkmcnt(1)
	v_dot4c_i32_i8 v5, v140, v152
	v_mul_f32_e32 v2, 0x41000000, v2
	s_waitcnt lgkmcnt(0)
	v_dot4c_i32_i8 v5, v141, v156
	v_dot4c_i32_i8 v5, v142, v153
	v_dot4c_i32_i8 v5, v143, v157
	v_dot4c_i32_i8 v5, v144, v154
	v_dot4c_i32_i8 v5, v145, v158
	v_dot4c_i32_i8 v5, v146, v155
	v_dot4c_i32_i8 v5, v147, v159
	v_cvt_f32_i32_e32 v5, v5
	v_fma_mix_f32 v5, v5, v3, -v2 op_sel_hi:[0,1,0]
	v_fmac_f32_e32 v18, v139, v5
	v_mov_b32_e32 v5, 0
	v_dot4c_i32_i8 v5, v131, v152
	v_dot4c_i32_i8 v5, v132, v156
	v_dot4c_i32_i8 v5, v133, v153
	v_dot4c_i32_i8 v5, v134, v157
	v_dot4c_i32_i8 v5, v135, v154
	v_dot4c_i32_i8 v5, v136, v158
	v_dot4c_i32_i8 v5, v137, v155
	v_dot4c_i32_i8 v5, v138, v159
	v_cvt_f32_i32_e32 v5, v5
	v_fma_mix_f32 v5, v5, v3, -v2 op_sel_hi:[0,1,0]
	v_fmac_f32_e32 v17, v130, v5
	v_mov_b32_e32 v5, 0
	v_dot4c_i32_i8 v5, v122, v152
	;; [unrolled: 12-line block ×3, first 2 shown]
	v_dot4c_i32_i8 v5, v149, v156
	v_dot4c_i32_i8 v5, v148, v153
	;; [unrolled: 1-line block ×7, first 2 shown]
	v_cvt_f32_i32_e32 v4, v5
	v_fma_mix_f32 v2, v4, v3, -v2 op_sel_hi:[0,1,0]
	v_fmac_f32_e32 v15, v120, v2
	s_cbranch_scc1 .LBB117_11
; %bb.12:                               ;   in Loop: Header=BB117_6 Depth=1
	s_barrier
	buffer_gl0_inv
	s_branch .LBB117_5
.LBB117_13:
	v_mov_b32_e32 v2, v28
.LBB117_14:
	s_mov_b32 s0, exec_lo
	v_cmpx_gt_u32_e64 s8, v2
	s_cbranch_execz .LBB117_65
; %bb.15:
	v_add_nc_u32_e32 v0, s6, v0
	v_mul_lo_u32 v5, v2, s10
	v_cmp_gt_u32_e32 vcc_lo, s10, v0
	s_and_saveexec_b32 s1, vcc_lo
	s_cbranch_execz .LBB117_17
; %bb.16:
	v_add_nc_u32_e32 v2, v0, v5
	v_mov_b32_e32 v3, 0
	v_lshlrev_b64 v[2:3], 2, v[2:3]
	s_waitcnt lgkmcnt(0)
	v_add_co_u32 v2, s0, s12, v2
	v_add_co_ci_u32_e64 v3, null, s13, v3, s0
	global_store_dword v[2:3], v30, off
.LBB117_17:
	s_or_b32 exec_lo, exec_lo, s1
	v_add_nc_u32_e32 v2, 32, v0
	v_cmp_gt_u32_e64 s0, s10, v2
	s_and_saveexec_b32 s2, s0
	s_cbranch_execz .LBB117_19
; %bb.18:
	v_add_nc_u32_e32 v3, v2, v5
	v_mov_b32_e32 v4, 0
	v_lshlrev_b64 v[3:4], 2, v[3:4]
	s_waitcnt lgkmcnt(0)
	v_add_co_u32 v3, s1, s12, v3
	v_add_co_ci_u32_e64 v4, null, s13, v4, s1
	global_store_dword v[3:4], v66, off
.LBB117_19:
	s_or_b32 exec_lo, exec_lo, s2
	v_add_nc_u32_e32 v3, 64, v0
	v_cmp_gt_u32_e64 s1, s10, v3
	s_and_saveexec_b32 s3, s1
	;; [unrolled: 14-line block ×3, first 2 shown]
	s_cbranch_execz .LBB117_23
; %bb.22:
	v_add_nc_u32_e32 v5, v4, v5
	v_mov_b32_e32 v6, 0
	v_lshlrev_b64 v[5:6], 2, v[5:6]
	s_waitcnt lgkmcnt(0)
	v_add_co_u32 v5, s3, s12, v5
	v_add_co_ci_u32_e64 v6, null, s13, v6, s3
	global_store_dword v[5:6], v56, off
.LBB117_23:
	s_or_b32 exec_lo, exec_lo, s4
	v_add3_u32 v5, v1, s7, 8
	v_cmp_gt_u32_e64 s3, s8, v5
	s_and_b32 exec_lo, exec_lo, s3
	s_cbranch_execz .LBB117_65
; %bb.24:
	v_mul_lo_u32 v5, v5, s10
	s_and_saveexec_b32 s4, vcc_lo
	s_cbranch_execnz .LBB117_66
; %bb.25:
	s_or_b32 exec_lo, exec_lo, s4
	s_and_saveexec_b32 s4, s0
	s_cbranch_execnz .LBB117_67
.LBB117_26:
	s_or_b32 exec_lo, exec_lo, s4
	s_and_saveexec_b32 s4, s1
	s_cbranch_execnz .LBB117_68
.LBB117_27:
	s_or_b32 exec_lo, exec_lo, s4
	s_and_saveexec_b32 s4, s2
	s_cbranch_execz .LBB117_29
.LBB117_28:
	v_add_nc_u32_e32 v5, v5, v4
	v_mov_b32_e32 v6, 0
	v_lshlrev_b64 v[5:6], 2, v[5:6]
	s_waitcnt lgkmcnt(0)
	v_add_co_u32 v5, s3, s12, v5
	v_add_co_ci_u32_e64 v6, null, s13, v6, s3
	global_store_dword v[5:6], v45, off
.LBB117_29:
	s_or_b32 exec_lo, exec_lo, s4
	v_add3_u32 v5, v1, s7, 16
	v_cmp_gt_u32_e64 s3, s8, v5
	s_and_b32 exec_lo, exec_lo, s3
	s_cbranch_execz .LBB117_65
; %bb.30:
	v_mul_lo_u32 v5, v5, s10
	s_and_saveexec_b32 s4, vcc_lo
	s_cbranch_execnz .LBB117_69
; %bb.31:
	s_or_b32 exec_lo, exec_lo, s4
	s_and_saveexec_b32 s4, s0
	s_cbranch_execnz .LBB117_70
.LBB117_32:
	s_or_b32 exec_lo, exec_lo, s4
	s_and_saveexec_b32 s4, s1
	s_cbranch_execnz .LBB117_71
.LBB117_33:
	s_or_b32 exec_lo, exec_lo, s4
	s_and_saveexec_b32 s4, s2
	s_cbranch_execz .LBB117_35
.LBB117_34:
	v_add_nc_u32_e32 v5, v5, v4
	v_mov_b32_e32 v6, 0
	v_lshlrev_b64 v[5:6], 2, v[5:6]
	s_waitcnt lgkmcnt(0)
	v_add_co_u32 v5, s3, s12, v5
	v_add_co_ci_u32_e64 v6, null, s13, v6, s3
	global_store_dword v[5:6], v38, off
.LBB117_35:
	s_or_b32 exec_lo, exec_lo, s4
	v_add3_u32 v5, v1, s7, 24
	v_cmp_gt_u32_e64 s3, s8, v5
	s_and_b32 exec_lo, exec_lo, s3
	s_cbranch_execz .LBB117_65
; %bb.36:
	v_mul_lo_u32 v5, v5, s10
	s_and_saveexec_b32 s4, vcc_lo
	s_cbranch_execnz .LBB117_72
; %bb.37:
	s_or_b32 exec_lo, exec_lo, s4
	s_and_saveexec_b32 s4, s0
	s_cbranch_execnz .LBB117_73
.LBB117_38:
	s_or_b32 exec_lo, exec_lo, s4
	s_and_saveexec_b32 s4, s1
	s_cbranch_execnz .LBB117_74
.LBB117_39:
	s_or_b32 exec_lo, exec_lo, s4
	s_and_saveexec_b32 s4, s2
	s_cbranch_execz .LBB117_41
.LBB117_40:
	v_add_nc_u32_e32 v5, v5, v4
	v_mov_b32_e32 v6, 0
	v_lshlrev_b64 v[5:6], 2, v[5:6]
	s_waitcnt lgkmcnt(0)
	v_add_co_u32 v5, s3, s12, v5
	v_add_co_ci_u32_e64 v6, null, s13, v6, s3
	global_store_dword v[5:6], v33, off
.LBB117_41:
	s_or_b32 exec_lo, exec_lo, s4
	v_add3_u32 v5, v1, s7, 32
	v_cmp_gt_u32_e64 s3, s8, v5
	s_and_b32 exec_lo, exec_lo, s3
	s_cbranch_execz .LBB117_65
; %bb.42:
	v_mul_lo_u32 v5, v5, s10
	s_and_saveexec_b32 s4, vcc_lo
	s_cbranch_execnz .LBB117_75
; %bb.43:
	s_or_b32 exec_lo, exec_lo, s4
	s_and_saveexec_b32 s4, s0
	s_cbranch_execnz .LBB117_76
.LBB117_44:
	s_or_b32 exec_lo, exec_lo, s4
	s_and_saveexec_b32 s4, s1
	s_cbranch_execnz .LBB117_77
.LBB117_45:
	s_or_b32 exec_lo, exec_lo, s4
	s_and_saveexec_b32 s4, s2
	s_cbranch_execz .LBB117_47
.LBB117_46:
	v_add_nc_u32_e32 v5, v5, v4
	v_mov_b32_e32 v6, 0
	v_lshlrev_b64 v[5:6], 2, v[5:6]
	s_waitcnt lgkmcnt(0)
	v_add_co_u32 v5, s3, s12, v5
	v_add_co_ci_u32_e64 v6, null, s13, v6, s3
	global_store_dword v[5:6], v27, off
.LBB117_47:
	s_or_b32 exec_lo, exec_lo, s4
	v_add3_u32 v5, v1, s7, 40
	v_cmp_gt_u32_e64 s3, s8, v5
	s_and_b32 exec_lo, exec_lo, s3
	s_cbranch_execz .LBB117_65
; %bb.48:
	v_mul_lo_u32 v5, v5, s10
	s_and_saveexec_b32 s4, vcc_lo
	s_cbranch_execnz .LBB117_78
; %bb.49:
	s_or_b32 exec_lo, exec_lo, s4
	s_and_saveexec_b32 s4, s0
	s_cbranch_execnz .LBB117_79
.LBB117_50:
	s_or_b32 exec_lo, exec_lo, s4
	s_and_saveexec_b32 s4, s1
	s_cbranch_execnz .LBB117_80
.LBB117_51:
	s_or_b32 exec_lo, exec_lo, s4
	s_and_saveexec_b32 s4, s2
	s_cbranch_execz .LBB117_53
.LBB117_52:
	v_add_nc_u32_e32 v5, v5, v4
	v_mov_b32_e32 v6, 0
	v_lshlrev_b64 v[5:6], 2, v[5:6]
	s_waitcnt lgkmcnt(0)
	v_add_co_u32 v5, s3, s12, v5
	v_add_co_ci_u32_e64 v6, null, s13, v6, s3
	global_store_dword v[5:6], v23, off
.LBB117_53:
	s_or_b32 exec_lo, exec_lo, s4
	v_add3_u32 v5, v1, s7, 48
	v_cmp_gt_u32_e64 s3, s8, v5
	s_and_b32 exec_lo, exec_lo, s3
	s_cbranch_execz .LBB117_65
; %bb.54:
	v_mul_lo_u32 v5, v5, s10
	s_and_saveexec_b32 s4, vcc_lo
	s_cbranch_execnz .LBB117_81
; %bb.55:
	s_or_b32 exec_lo, exec_lo, s4
	s_and_saveexec_b32 s4, s0
	s_cbranch_execnz .LBB117_82
.LBB117_56:
	s_or_b32 exec_lo, exec_lo, s4
	s_and_saveexec_b32 s4, s1
	s_cbranch_execnz .LBB117_83
.LBB117_57:
	s_or_b32 exec_lo, exec_lo, s4
	s_and_saveexec_b32 s4, s2
	s_cbranch_execz .LBB117_59
.LBB117_58:
	v_add_nc_u32_e32 v5, v5, v4
	v_mov_b32_e32 v6, 0
	v_lshlrev_b64 v[5:6], 2, v[5:6]
	s_waitcnt lgkmcnt(0)
	v_add_co_u32 v5, s3, s12, v5
	v_add_co_ci_u32_e64 v6, null, s13, v6, s3
	global_store_dword v[5:6], v19, off
.LBB117_59:
	s_or_b32 exec_lo, exec_lo, s4
	v_add3_u32 v1, v1, s7, 56
	v_cmp_gt_u32_e64 s3, s8, v1
	s_and_b32 exec_lo, exec_lo, s3
	s_cbranch_execz .LBB117_65
; %bb.60:
	v_mul_lo_u32 v1, v1, s10
	s_and_saveexec_b32 s3, vcc_lo
	s_cbranch_execnz .LBB117_84
; %bb.61:
	s_or_b32 exec_lo, exec_lo, s3
	s_and_saveexec_b32 s3, s0
	s_cbranch_execnz .LBB117_85
.LBB117_62:
	s_or_b32 exec_lo, exec_lo, s3
	s_and_saveexec_b32 s0, s1
	s_cbranch_execnz .LBB117_86
.LBB117_63:
	s_or_b32 exec_lo, exec_lo, s0
	s_and_b32 exec_lo, exec_lo, s2
	s_cbranch_execz .LBB117_65
.LBB117_64:
	v_add_nc_u32_e32 v0, v1, v4
	v_mov_b32_e32 v1, 0
	v_lshlrev_b64 v[0:1], 2, v[0:1]
	s_waitcnt lgkmcnt(0)
	v_add_co_u32 v0, vcc_lo, s12, v0
	v_add_co_ci_u32_e64 v1, null, s13, v1, vcc_lo
	global_store_dword v[0:1], v15, off
.LBB117_65:
	s_endpgm
.LBB117_66:
	v_add_nc_u32_e32 v6, v5, v0
	v_mov_b32_e32 v7, 0
	v_lshlrev_b64 v[6:7], 2, v[6:7]
	s_waitcnt lgkmcnt(0)
	v_add_co_u32 v6, s3, s12, v6
	v_add_co_ci_u32_e64 v7, null, s13, v7, s3
	global_store_dword v[6:7], v54, off
	s_or_b32 exec_lo, exec_lo, s4
	s_and_saveexec_b32 s4, s0
	s_cbranch_execz .LBB117_26
.LBB117_67:
	v_add_nc_u32_e32 v6, v5, v2
	v_mov_b32_e32 v7, 0
	v_lshlrev_b64 v[6:7], 2, v[6:7]
	s_waitcnt lgkmcnt(0)
	v_add_co_u32 v6, s3, s12, v6
	v_add_co_ci_u32_e64 v7, null, s13, v7, s3
	global_store_dword v[6:7], v49, off
	s_or_b32 exec_lo, exec_lo, s4
	s_and_saveexec_b32 s4, s1
	s_cbranch_execz .LBB117_27
.LBB117_68:
	v_add_nc_u32_e32 v6, v5, v3
	v_mov_b32_e32 v7, 0
	v_lshlrev_b64 v[6:7], 2, v[6:7]
	s_waitcnt lgkmcnt(0)
	v_add_co_u32 v6, s3, s12, v6
	v_add_co_ci_u32_e64 v7, null, s13, v7, s3
	global_store_dword v[6:7], v47, off
	s_or_b32 exec_lo, exec_lo, s4
	s_and_saveexec_b32 s4, s2
	s_cbranch_execnz .LBB117_28
	s_branch .LBB117_29
.LBB117_69:
	v_add_nc_u32_e32 v6, v5, v0
	v_mov_b32_e32 v7, 0
	v_lshlrev_b64 v[6:7], 2, v[6:7]
	s_waitcnt lgkmcnt(0)
	v_add_co_u32 v6, s3, s12, v6
	v_add_co_ci_u32_e64 v7, null, s13, v7, s3
	global_store_dword v[6:7], v43, off
	s_or_b32 exec_lo, exec_lo, s4
	s_and_saveexec_b32 s4, s0
	s_cbranch_execz .LBB117_32
.LBB117_70:
	v_add_nc_u32_e32 v6, v5, v2
	v_mov_b32_e32 v7, 0
	v_lshlrev_b64 v[6:7], 2, v[6:7]
	s_waitcnt lgkmcnt(0)
	v_add_co_u32 v6, s3, s12, v6
	v_add_co_ci_u32_e64 v7, null, s13, v7, s3
	global_store_dword v[6:7], v42, off
	s_or_b32 exec_lo, exec_lo, s4
	s_and_saveexec_b32 s4, s1
	s_cbranch_execz .LBB117_33
.LBB117_71:
	v_add_nc_u32_e32 v6, v5, v3
	v_mov_b32_e32 v7, 0
	v_lshlrev_b64 v[6:7], 2, v[6:7]
	s_waitcnt lgkmcnt(0)
	v_add_co_u32 v6, s3, s12, v6
	v_add_co_ci_u32_e64 v7, null, s13, v7, s3
	global_store_dword v[6:7], v39, off
	s_or_b32 exec_lo, exec_lo, s4
	s_and_saveexec_b32 s4, s2
	s_cbranch_execnz .LBB117_34
	s_branch .LBB117_35
.LBB117_72:
	v_add_nc_u32_e32 v6, v5, v0
	v_mov_b32_e32 v7, 0
	v_lshlrev_b64 v[6:7], 2, v[6:7]
	s_waitcnt lgkmcnt(0)
	v_add_co_u32 v6, s3, s12, v6
	v_add_co_ci_u32_e64 v7, null, s13, v7, s3
	global_store_dword v[6:7], v37, off
	s_or_b32 exec_lo, exec_lo, s4
	s_and_saveexec_b32 s4, s0
	s_cbranch_execz .LBB117_38
.LBB117_73:
	v_add_nc_u32_e32 v6, v5, v2
	v_mov_b32_e32 v7, 0
	v_lshlrev_b64 v[6:7], 2, v[6:7]
	s_waitcnt lgkmcnt(0)
	v_add_co_u32 v6, s3, s12, v6
	v_add_co_ci_u32_e64 v7, null, s13, v7, s3
	global_store_dword v[6:7], v35, off
	s_or_b32 exec_lo, exec_lo, s4
	s_and_saveexec_b32 s4, s1
	s_cbranch_execz .LBB117_39
.LBB117_74:
	v_add_nc_u32_e32 v6, v5, v3
	v_mov_b32_e32 v7, 0
	v_lshlrev_b64 v[6:7], 2, v[6:7]
	s_waitcnt lgkmcnt(0)
	v_add_co_u32 v6, s3, s12, v6
	v_add_co_ci_u32_e64 v7, null, s13, v7, s3
	global_store_dword v[6:7], v34, off
	s_or_b32 exec_lo, exec_lo, s4
	s_and_saveexec_b32 s4, s2
	s_cbranch_execnz .LBB117_40
	s_branch .LBB117_41
.LBB117_75:
	v_add_nc_u32_e32 v6, v5, v0
	v_mov_b32_e32 v7, 0
	v_lshlrev_b64 v[6:7], 2, v[6:7]
	s_waitcnt lgkmcnt(0)
	v_add_co_u32 v6, s3, s12, v6
	v_add_co_ci_u32_e64 v7, null, s13, v7, s3
	global_store_dword v[6:7], v32, off
	s_or_b32 exec_lo, exec_lo, s4
	s_and_saveexec_b32 s4, s0
	s_cbranch_execz .LBB117_44
.LBB117_76:
	v_add_nc_u32_e32 v6, v5, v2
	v_mov_b32_e32 v7, 0
	v_lshlrev_b64 v[6:7], 2, v[6:7]
	s_waitcnt lgkmcnt(0)
	v_add_co_u32 v6, s3, s12, v6
	v_add_co_ci_u32_e64 v7, null, s13, v7, s3
	global_store_dword v[6:7], v31, off
	s_or_b32 exec_lo, exec_lo, s4
	s_and_saveexec_b32 s4, s1
	s_cbranch_execz .LBB117_45
.LBB117_77:
	v_add_nc_u32_e32 v6, v5, v3
	v_mov_b32_e32 v7, 0
	v_lshlrev_b64 v[6:7], 2, v[6:7]
	s_waitcnt lgkmcnt(0)
	v_add_co_u32 v6, s3, s12, v6
	v_add_co_ci_u32_e64 v7, null, s13, v7, s3
	global_store_dword v[6:7], v29, off
	s_or_b32 exec_lo, exec_lo, s4
	s_and_saveexec_b32 s4, s2
	s_cbranch_execnz .LBB117_46
	s_branch .LBB117_47
.LBB117_78:
	v_add_nc_u32_e32 v6, v5, v0
	v_mov_b32_e32 v7, 0
	v_lshlrev_b64 v[6:7], 2, v[6:7]
	s_waitcnt lgkmcnt(0)
	v_add_co_u32 v6, s3, s12, v6
	v_add_co_ci_u32_e64 v7, null, s13, v7, s3
	global_store_dword v[6:7], v26, off
	s_or_b32 exec_lo, exec_lo, s4
	s_and_saveexec_b32 s4, s0
	s_cbranch_execz .LBB117_50
.LBB117_79:
	v_add_nc_u32_e32 v6, v5, v2
	v_mov_b32_e32 v7, 0
	v_lshlrev_b64 v[6:7], 2, v[6:7]
	s_waitcnt lgkmcnt(0)
	v_add_co_u32 v6, s3, s12, v6
	v_add_co_ci_u32_e64 v7, null, s13, v7, s3
	global_store_dword v[6:7], v25, off
	s_or_b32 exec_lo, exec_lo, s4
	s_and_saveexec_b32 s4, s1
	s_cbranch_execz .LBB117_51
.LBB117_80:
	v_add_nc_u32_e32 v6, v5, v3
	v_mov_b32_e32 v7, 0
	v_lshlrev_b64 v[6:7], 2, v[6:7]
	s_waitcnt lgkmcnt(0)
	v_add_co_u32 v6, s3, s12, v6
	v_add_co_ci_u32_e64 v7, null, s13, v7, s3
	global_store_dword v[6:7], v24, off
	s_or_b32 exec_lo, exec_lo, s4
	s_and_saveexec_b32 s4, s2
	s_cbranch_execnz .LBB117_52
	s_branch .LBB117_53
.LBB117_81:
	v_add_nc_u32_e32 v6, v5, v0
	v_mov_b32_e32 v7, 0
	v_lshlrev_b64 v[6:7], 2, v[6:7]
	s_waitcnt lgkmcnt(0)
	v_add_co_u32 v6, s3, s12, v6
	v_add_co_ci_u32_e64 v7, null, s13, v7, s3
	global_store_dword v[6:7], v22, off
	s_or_b32 exec_lo, exec_lo, s4
	s_and_saveexec_b32 s4, s0
	s_cbranch_execz .LBB117_56
.LBB117_82:
	v_add_nc_u32_e32 v6, v5, v2
	v_mov_b32_e32 v7, 0
	v_lshlrev_b64 v[6:7], 2, v[6:7]
	s_waitcnt lgkmcnt(0)
	v_add_co_u32 v6, s3, s12, v6
	v_add_co_ci_u32_e64 v7, null, s13, v7, s3
	global_store_dword v[6:7], v21, off
	s_or_b32 exec_lo, exec_lo, s4
	s_and_saveexec_b32 s4, s1
	s_cbranch_execz .LBB117_57
.LBB117_83:
	v_add_nc_u32_e32 v6, v5, v3
	v_mov_b32_e32 v7, 0
	v_lshlrev_b64 v[6:7], 2, v[6:7]
	s_waitcnt lgkmcnt(0)
	v_add_co_u32 v6, s3, s12, v6
	v_add_co_ci_u32_e64 v7, null, s13, v7, s3
	global_store_dword v[6:7], v20, off
	s_or_b32 exec_lo, exec_lo, s4
	s_and_saveexec_b32 s4, s2
	s_cbranch_execnz .LBB117_58
	s_branch .LBB117_59
.LBB117_84:
	v_add_nc_u32_e32 v5, v1, v0
	v_mov_b32_e32 v6, 0
	v_lshlrev_b64 v[5:6], 2, v[5:6]
	s_waitcnt lgkmcnt(0)
	v_add_co_u32 v5, vcc_lo, s12, v5
	v_add_co_ci_u32_e64 v6, null, s13, v6, vcc_lo
	global_store_dword v[5:6], v18, off
	s_or_b32 exec_lo, exec_lo, s3
	s_and_saveexec_b32 s3, s0
	s_cbranch_execz .LBB117_62
.LBB117_85:
	v_add_nc_u32_e32 v5, v1, v2
	v_mov_b32_e32 v6, 0
	v_lshlrev_b64 v[5:6], 2, v[5:6]
	s_waitcnt lgkmcnt(0)
	v_add_co_u32 v5, vcc_lo, s12, v5
	v_add_co_ci_u32_e64 v6, null, s13, v6, vcc_lo
	global_store_dword v[5:6], v17, off
	s_or_b32 exec_lo, exec_lo, s3
	s_and_saveexec_b32 s0, s1
	s_cbranch_execz .LBB117_63
.LBB117_86:
	v_add_nc_u32_e32 v2, v1, v3
	v_mov_b32_e32 v3, 0
	v_lshlrev_b64 v[2:3], 2, v[2:3]
	s_waitcnt lgkmcnt(0)
	v_add_co_u32 v2, vcc_lo, s12, v2
	v_add_co_ci_u32_e64 v3, null, s13, v3, vcc_lo
	global_store_dword v[2:3], v16, off
	s_or_b32 exec_lo, exec_lo, s0
	s_and_b32 exec_lo, exec_lo, s2
	s_cbranch_execnz .LBB117_64
	s_branch .LBB117_65
	.section	.rodata,"a",@progbits
	.p2align	6, 0x0
	.amdhsa_kernel _ZL12mul_mat_q4_0IfLb0EEvPKvS1_PT_iiiii
		.amdhsa_group_segment_fixed_size 30336
		.amdhsa_private_segment_fixed_size 0
		.amdhsa_kernarg_size 44
		.amdhsa_user_sgpr_count 6
		.amdhsa_user_sgpr_private_segment_buffer 1
		.amdhsa_user_sgpr_dispatch_ptr 0
		.amdhsa_user_sgpr_queue_ptr 0
		.amdhsa_user_sgpr_kernarg_segment_ptr 1
		.amdhsa_user_sgpr_dispatch_id 0
		.amdhsa_user_sgpr_flat_scratch_init 0
		.amdhsa_user_sgpr_private_segment_size 0
		.amdhsa_wavefront_size32 1
		.amdhsa_uses_dynamic_stack 0
		.amdhsa_system_sgpr_private_segment_wavefront_offset 0
		.amdhsa_system_sgpr_workgroup_id_x 1
		.amdhsa_system_sgpr_workgroup_id_y 1
		.amdhsa_system_sgpr_workgroup_id_z 0
		.amdhsa_system_sgpr_workgroup_info 0
		.amdhsa_system_vgpr_workitem_id 1
		.amdhsa_next_free_vgpr 163
		.amdhsa_next_free_sgpr 15
		.amdhsa_reserve_vcc 1
		.amdhsa_reserve_flat_scratch 0
		.amdhsa_float_round_mode_32 0
		.amdhsa_float_round_mode_16_64 0
		.amdhsa_float_denorm_mode_32 3
		.amdhsa_float_denorm_mode_16_64 3
		.amdhsa_dx10_clamp 1
		.amdhsa_ieee_mode 1
		.amdhsa_fp16_overflow 0
		.amdhsa_workgroup_processor_mode 1
		.amdhsa_memory_ordered 1
		.amdhsa_forward_progress 1
		.amdhsa_shared_vgpr_count 0
		.amdhsa_exception_fp_ieee_invalid_op 0
		.amdhsa_exception_fp_denorm_src 0
		.amdhsa_exception_fp_ieee_div_zero 0
		.amdhsa_exception_fp_ieee_overflow 0
		.amdhsa_exception_fp_ieee_underflow 0
		.amdhsa_exception_fp_ieee_inexact 0
		.amdhsa_exception_int_div_zero 0
	.end_amdhsa_kernel
	.section	.text._ZL12mul_mat_q4_0IfLb0EEvPKvS1_PT_iiiii,"axG",@progbits,_ZL12mul_mat_q4_0IfLb0EEvPKvS1_PT_iiiii,comdat
.Lfunc_end117:
	.size	_ZL12mul_mat_q4_0IfLb0EEvPKvS1_PT_iiiii, .Lfunc_end117-_ZL12mul_mat_q4_0IfLb0EEvPKvS1_PT_iiiii
                                        ; -- End function
	.set _ZL12mul_mat_q4_0IfLb0EEvPKvS1_PT_iiiii.num_vgpr, 163
	.set _ZL12mul_mat_q4_0IfLb0EEvPKvS1_PT_iiiii.num_agpr, 0
	.set _ZL12mul_mat_q4_0IfLb0EEvPKvS1_PT_iiiii.numbered_sgpr, 15
	.set _ZL12mul_mat_q4_0IfLb0EEvPKvS1_PT_iiiii.num_named_barrier, 0
	.set _ZL12mul_mat_q4_0IfLb0EEvPKvS1_PT_iiiii.private_seg_size, 0
	.set _ZL12mul_mat_q4_0IfLb0EEvPKvS1_PT_iiiii.uses_vcc, 1
	.set _ZL12mul_mat_q4_0IfLb0EEvPKvS1_PT_iiiii.uses_flat_scratch, 0
	.set _ZL12mul_mat_q4_0IfLb0EEvPKvS1_PT_iiiii.has_dyn_sized_stack, 0
	.set _ZL12mul_mat_q4_0IfLb0EEvPKvS1_PT_iiiii.has_recursion, 0
	.set _ZL12mul_mat_q4_0IfLb0EEvPKvS1_PT_iiiii.has_indirect_call, 0
	.section	.AMDGPU.csdata,"",@progbits
; Kernel info:
; codeLenInByte = 10472
; TotalNumSgprs: 17
; NumVgprs: 163
; ScratchSize: 0
; MemoryBound: 0
; FloatMode: 240
; IeeeMode: 1
; LDSByteSize: 30336 bytes/workgroup (compile time only)
; SGPRBlocks: 0
; VGPRBlocks: 20
; NumSGPRsForWavesPerEU: 17
; NumVGPRsForWavesPerEU: 163
; Occupancy: 5
; WaveLimiterHint : 0
; COMPUTE_PGM_RSRC2:SCRATCH_EN: 0
; COMPUTE_PGM_RSRC2:USER_SGPR: 6
; COMPUTE_PGM_RSRC2:TRAP_HANDLER: 0
; COMPUTE_PGM_RSRC2:TGID_X_EN: 1
; COMPUTE_PGM_RSRC2:TGID_Y_EN: 1
; COMPUTE_PGM_RSRC2:TGID_Z_EN: 0
; COMPUTE_PGM_RSRC2:TIDIG_COMP_CNT: 1
	.section	.text._ZL12mul_mat_q4_0IfLb1EEvPKvS1_PT_iiiii,"axG",@progbits,_ZL12mul_mat_q4_0IfLb1EEvPKvS1_PT_iiiii,comdat
	.globl	_ZL12mul_mat_q4_0IfLb1EEvPKvS1_PT_iiiii ; -- Begin function _ZL12mul_mat_q4_0IfLb1EEvPKvS1_PT_iiiii
	.p2align	8
	.type	_ZL12mul_mat_q4_0IfLb1EEvPKvS1_PT_iiiii,@function
_ZL12mul_mat_q4_0IfLb1EEvPKvS1_PT_iiiii: ; @_ZL12mul_mat_q4_0IfLb1EEvPKvS1_PT_iiiii
; %bb.0:
	s_clause 0x1
	s_load_dwordx4 s[8:11], s[4:5], 0x18
	s_load_dword s14, s[4:5], 0x28
	s_lshl_b32 s7, s7, 6
	v_add_nc_u32_e32 v42, s7, v1
	s_waitcnt lgkmcnt(0)
	s_cmp_gt_i32 s8, 31
	s_cbranch_scc1 .LBB118_2
; %bb.1:
	v_add_nc_u32_e32 v2, s7, v1
	s_mov_b32 s0, 0
	s_branch .LBB118_3
.LBB118_2:
	s_mov_b32 s0, -1
                                        ; implicit-def: $vgpr2
.LBB118_3:
	s_load_dwordx2 s[12:13], s[4:5], 0x10
	v_mov_b32_e32 v31, 0
	v_mov_b32_e32 v35, 0
	;; [unrolled: 1-line block ×32, first 2 shown]
	s_andn2_b32 vcc_lo, exec_lo, s0
	s_lshl_b32 s6, s6, 7
	s_cbranch_vccnz .LBB118_14
; %bb.4:
	s_load_dwordx4 s[0:3], s[4:5], 0x0
	s_ashr_i32 s4, s8, 31
	s_ashr_i32 s5, s11, 31
	s_lshr_b32 s4, s4, 27
	s_lshr_b32 s5, s5, 27
	s_add_i32 s4, s8, s4
	s_add_i32 s5, s11, s5
	s_ashr_i32 s4, s4, 5
	s_ashr_i32 s11, s5, 5
	s_mul_i32 s8, s4, s6
	v_add_nc_u32_e32 v9, 8, v1
	s_mul_i32 s5, s8, 18
	s_mul_hi_i32 s8, s8, 18
	v_lshlrev_b32_e32 v2, 2, v0
	v_add_nc_u32_e32 v38, 16, v1
	v_add_nc_u32_e32 v39, 24, v1
	;; [unrolled: 1-line block ×6, first 2 shown]
	s_waitcnt lgkmcnt(0)
	s_add_u32 s5, s0, s5
	s_addc_u32 s8, s1, s8
	s_not_b32 s0, s6
	v_lshrrev_b32_e32 v69, 3, v0
	s_add_i32 s0, s9, s0
	v_add_nc_u32_e32 v28, 24, v42
	v_min_i32_e32 v3, s0, v1
	v_min_i32_e32 v4, s0, v9
	;; [unrolled: 1-line block ×3, first 2 shown]
	v_lshl_add_u32 v34, v1, 2, v69
	v_add_nc_u32_e32 v30, 32, v42
	v_mad_u64_u32 v[10:11], null, 0x84, v3, v[2:3]
	v_mul_lo_u32 v54, v3, s4
	v_mad_u64_u32 v[11:12], null, 0x84, v4, v[2:3]
	v_min_i32_e32 v3, s0, v39
	v_mul_lo_u32 v56, v4, s4
	v_min_i32_e32 v4, s0, v40
	v_mul_lo_u32 v57, v5, s4
	v_min_i32_e32 v46, s0, v34
	v_mad_u64_u32 v[12:13], null, 0x84, v5, v[2:3]
	v_mul_lo_u32 v58, v3, s4
	v_mad_u64_u32 v[13:14], null, 0x84, v3, v[2:3]
	v_min_i32_e32 v3, s0, v41
	v_mul_lo_u32 v59, v4, s4
	v_add_nc_u32_e32 v5, 64, v1
	v_ashrrev_i32_e32 v6, 31, v46
	v_add_nc_u32_e32 v32, 40, v42
	v_mad_u64_u32 v[14:15], null, 0x84, v4, v[2:3]
	v_min_i32_e32 v4, s0, v43
	v_mul_lo_u32 v61, v3, s4
	v_mad_u64_u32 v[15:16], null, 0x84, v3, v[2:3]
	v_min_i32_e32 v3, s0, v45
	v_mul_lo_u32 v62, v4, s4
	v_min_i32_e32 v5, s0, v5
	v_lshrrev_b32_e32 v6, 30, v6
	s_add_i32 s1, s10, -1
	v_mad_u64_u32 v[16:17], null, 0x84, v4, v[2:3]
	v_add_nc_u32_e32 v4, 0x48, v1
	v_mul_lo_u32 v63, v3, s4
	v_mad_u64_u32 v[17:18], null, 0x84, v3, v[2:3]
	v_mul_lo_u32 v65, v5, s4
	v_min_i32_e32 v3, s0, v4
	v_add_nc_u32_e32 v4, 0x50, v1
	v_cvt_f64_u32_e32 v[28:29], v28
	v_add_nc_u32_e32 v35, 48, v42
	v_cvt_f64_u32_e32 v[30:31], v30
	v_mad_u64_u32 v[18:19], null, 0x84, v5, v[2:3]
	v_add_nc_u32_e32 v5, 0x58, v1
	v_mul_lo_u32 v66, v3, s4
	v_min_i32_e32 v4, s0, v4
	v_mad_u64_u32 v[19:20], null, 0x84, v3, v[2:3]
	v_min_i32_e32 v3, s0, v5
	v_add_nc_u32_e32 v5, 0x60, v1
	v_mul_lo_u32 v70, v4, s4
	v_cvt_f64_u32_e32 v[32:33], v32
	v_add_nc_u32_e32 v7, 8, v42
	v_mad_u64_u32 v[20:21], null, 0x84, v4, v[2:3]
	v_min_i32_e32 v4, s0, v5
	v_add_nc_u32_e32 v5, 0x68, v1
	v_mul_lo_u32 v71, v3, s4
	v_mad_u64_u32 v[21:22], null, 0x84, v3, v[2:3]
	v_mul_lo_u32 v72, v4, s4
	v_min_i32_e32 v3, s0, v5
	v_add_nc_u32_e32 v5, 0x70, v1
	v_add_nc_u32_e32 v37, 56, v42
	;; [unrolled: 1-line block ×3, first 2 shown]
	v_cvt_f64_u32_e32 v[7:8], v7
	v_mad_u64_u32 v[22:23], null, 0x84, v4, v[2:3]
	v_min_i32_e32 v4, s0, v5
	v_add_nc_u32_e32 v5, 0x78, v1
	v_mul_lo_u32 v73, v3, s4
	v_mad_u64_u32 v[23:24], null, 0x84, v3, v[2:3]
	v_mul_lo_u32 v75, v4, s4
	v_min_i32_e32 v3, s0, v5
	v_add_nc_u32_e32 v5, v46, v6
	v_add_nc_u32_e32 v6, 32, v34
	v_min_i32_e32 v52, s0, v52
	v_and_b32_e32 v76, 7, v0
	v_mad_u64_u32 v[24:25], null, 0x84, v4, v[2:3]
	v_add_nc_u32_e32 v4, 64, v34
	v_mul_lo_u32 v77, v3, s4
	v_and_b32_e32 v47, -4, v5
	v_min_i32_e32 v49, s0, v6
	v_mad_u64_u32 v[25:26], null, 0x84, v3, v[2:3]
	v_min_i32_e32 v51, s0, v4
	v_cvt_f64_i32_e32 v[3:4], s1
	v_cvt_f64_u32_e32 v[5:6], v42
	v_ashrrev_i32_e32 v36, 31, v49
	v_add_nc_u32_e32 v26, 16, v42
	v_cvt_f64_u32_e32 v[34:35], v35
	v_ashrrev_i32_e32 v60, 31, v51
	v_ashrrev_i32_e32 v64, 31, v52
	v_lshrrev_b32_e32 v55, 30, v36
	v_cvt_f64_u32_e32 v[26:27], v26
	v_cvt_f64_u32_e32 v[36:37], v37
	v_lshrrev_b32_e32 v60, 30, v60
	v_lshrrev_b32_e32 v50, 2, v0
	v_lshlrev_b32_e32 v48, 2, v76
	v_lshrrev_b32_e32 v64, 30, v64
	v_add_nc_u32_e32 v55, v49, v55
	v_add_nc_u32_e32 v60, v51, v60
	v_mul_lo_u32 v85, v49, s4
	v_add3_u32 v47, v47, v48, 0x6200
	v_add_nc_u32_e32 v64, v52, v64
	v_and_b32_e32 v55, -4, v55
	v_and_b32_e32 v60, -4, v60
	v_and_b32_e32 v53, 12, v2
	v_min_f64 v[28:29], v[28:29], v[3:4]
	v_min_f64 v[5:6], v[5:6], v[3:4]
	;; [unrolled: 1-line block ×6, first 2 shown]
	v_add3_u32 v55, v55, v48, 0x6200
	v_and_b32_e32 v2, 28, v2
	v_min_f64 v[26:27], v[26:27], v[3:4]
	v_min_f64 v[3:4], v[36:37], v[3:4]
	v_lshlrev_b32_e32 v36, 5, v49
	v_add3_u32 v49, v60, v48, 0x6200
	v_lshl_add_u32 v60, v1, 3, v50
	v_and_b32_e32 v37, -4, v64
	v_mul_lo_u32 v79, v46, s4
	v_lshlrev_b32_e32 v46, 5, v46
	v_mul_lo_u32 v86, v51, s4
	v_lshlrev_b32_e32 v51, 5, v51
	v_add3_u32 v37, v37, v48, 0x6200
	v_mul_lo_u32 v87, v52, s4
	v_mov_b32_e32 v44, 0
	v_mul_u32_u24_e32 v97, 0x84, v0
	v_cvt_i32_f64_e32 v28, v[28:29]
	v_cvt_i32_f64_e32 v6, v[5:6]
	v_cvt_i32_f64_e32 v30, v[30:31]
	v_cvt_i32_f64_e32 v31, v[32:33]
	v_cvt_i32_f64_e32 v32, v[34:35]
	v_cvt_i32_f64_e32 v7, v[7:8]
	v_and_b32_e32 v8, 63, v60
	v_and_b32_e32 v5, 3, v0
	v_cvt_i32_f64_e32 v48, v[26:27]
	v_cvt_i32_f64_e32 v3, v[3:4]
	v_and_b32_e32 v33, 31, v0
	v_or_b32_e32 v26, s7, v8
	v_lshlrev_b32_e32 v27, 2, v5
	v_and_b32_e32 v35, 0xfc, v0
	v_lshlrev_b32_e32 v29, 5, v52
	v_lshl_or_b32 v33, v33, 2, 0x4200
	v_min_i32_e32 v4, s1, v26
	v_lshl_or_b32 v8, v8, 4, v27
	v_lshl_add_u32 v103, v1, 4, 0x7280
	v_mad_u32_u24 v105, 0x84, v0, 64
	v_add_nc_u32_e32 v110, v47, v46
	v_add_nc_u32_e32 v111, v55, v36
	v_mul_lo_u32 v92, s11, v28
	v_mad_u64_u32 v[26:27], null, v4, s11, v[5:6]
	v_mul_lo_u32 v94, s11, v31
	v_add_nc_u32_e32 v27, 0x60, v0
	v_add_nc_u32_e32 v28, 64, v0
	;; [unrolled: 1-line block ×3, first 2 shown]
	v_mul_lo_u32 v95, s11, v32
	v_lshlrev_b32_e32 v32, 5, v0
	v_and_b32_e32 v27, 0x1fc, v27
	v_and_b32_e32 v28, 0x1fc, v28
	;; [unrolled: 1-line block ×3, first 2 shown]
	v_add_nc_u32_e32 v88, 0x7280, v8
	v_mul_lo_u32 v89, s11, v6
	v_lshlrev_b32_e32 v4, 7, v1
	v_mul_lo_u32 v90, s11, v7
	v_lshlrev_b32_e32 v5, 7, v9
	v_lshlrev_b32_e32 v6, 7, v38
	;; [unrolled: 1-line block ×3, first 2 shown]
	v_mul_lo_u32 v93, s11, v30
	v_lshlrev_b32_e32 v8, 7, v40
	v_lshlrev_b32_e32 v9, 7, v41
	;; [unrolled: 1-line block ×3, first 2 shown]
	v_mul_lo_u32 v96, s11, v3
	v_lshlrev_b32_e32 v3, 7, v45
	v_lshrrev_b32_e32 v98, 3, v31
	v_add_nc_u32_e32 v31, v32, v27
	v_add_nc_u32_e32 v38, v32, v28
	;; [unrolled: 1-line block ×4, first 2 shown]
	v_mul_lo_u32 v91, s11, v48
	v_add_co_u32 v27, s0, s2, v2
	v_add_co_ci_u32_e64 v28, null, s3, 0, s0
	v_add_nc_u32_e32 v99, 0x6e00, v31
	v_add_nc_u32_e32 v100, 0x6a00, v38
	;; [unrolled: 1-line block ×19, first 2 shown]
	v_mov_b32_e32 v81, 0
	v_mov_b32_e32 v68, 0
	;; [unrolled: 1-line block ×31, first 2 shown]
	s_add_i32 s9, s4, 3
	s_mov_b32 s11, 0
	s_branch .LBB118_6
.LBB118_5:                              ;   in Loop: Header=BB118_6 Depth=1
	s_add_i32 s11, s11, 8
	s_add_i32 s9, s9, -8
	s_cmp_ge_i32 s11, s4
	s_cbranch_scc1 .LBB118_13
.LBB118_6:                              ; =>This Loop Header: Depth=1
                                        ;     Child Loop BB118_8 Depth 2
                                        ;     Child Loop BB118_11 Depth 2
	s_mul_i32 s0, s11, 18
	s_mul_hi_u32 s1, s11, 18
	s_add_u32 s0, s5, s0
	s_addc_u32 s1, s8, s1
	s_cmp_gt_u32 s9, 3
	v_mad_u64_u32 v[2:3], null, v50, 18, s[0:1]
	v_mad_i64_i32 v[4:5], null, v54, 18, v[2:3]
	v_add_co_u32 v4, vcc_lo, v4, v53
	v_add_co_ci_u32_e64 v5, null, 0, v5, vcc_lo
	global_load_dword v4, v[4:5], off offset:2
	s_waitcnt vmcnt(0)
	ds_write_b32 v10, v4
	v_mad_i64_i32 v[4:5], null, v56, 18, v[2:3]
	v_add_co_u32 v4, vcc_lo, v4, v53
	v_add_co_ci_u32_e64 v5, null, 0, v5, vcc_lo
	global_load_dword v4, v[4:5], off offset:2
	s_waitcnt vmcnt(0)
	ds_write_b32 v11, v4
	;; [unrolled: 6-line block ×14, first 2 shown]
	v_mad_i64_i32 v[4:5], null, v75, 18, v[2:3]
	v_mad_i64_i32 v[2:3], null, v77, 18, v[2:3]
	v_add_co_u32 v4, vcc_lo, v4, v53
	v_add_co_ci_u32_e64 v5, null, 0, v5, vcc_lo
	v_add_co_u32 v2, vcc_lo, v2, v53
	v_add_co_ci_u32_e64 v3, null, 0, v3, vcc_lo
	s_clause 0x1
	global_load_dword v4, v[4:5], off offset:2
	global_load_dword v2, v[2:3], off offset:2
	s_waitcnt vmcnt(1)
	ds_write_b32 v24, v4
	s_waitcnt vmcnt(0)
	ds_write_b32 v25, v2
	v_mad_u64_u32 v[2:3], null, v76, 18, s[0:1]
	v_mad_i64_i32 v[4:5], null, v79, 18, v[2:3]
	global_load_ushort v4, v[4:5], off
	s_waitcnt vmcnt(0)
	v_cvt_f32_f16_e32 v4, v4
	ds_write_b32 v110, v4
	v_mad_i64_i32 v[4:5], null, v85, 18, v[2:3]
	global_load_ushort v4, v[4:5], off
	s_waitcnt vmcnt(0)
	v_cvt_f32_f16_e32 v4, v4
	ds_write_b32 v111, v4
	v_mad_i64_i32 v[4:5], null, v86, 18, v[2:3]
	v_mad_i64_i32 v[2:3], null, v87, 18, v[2:3]
	s_clause 0x1
	global_load_ushort v4, v[4:5], off
	global_load_ushort v2, v[2:3], off
	s_waitcnt vmcnt(1)
	v_cvt_f32_f16_e32 v4, v4
	s_waitcnt vmcnt(0)
	v_cvt_f32_f16_e32 v2, v2
	ds_write_b32 v112, v4
	ds_write_b32 v113, v2
	s_cbranch_scc0 .LBB118_5
; %bb.7:                                ;   in Loop: Header=BB118_6 Depth=1
	v_add_nc_u32_e32 v5, s11, v69
	v_add_nc_u32_e32 v4, s11, v26
	v_mov_b32_e32 v6, v103
	v_mov_b32_e32 v7, v102
	;; [unrolled: 1-line block ×3, first 2 shown]
	v_add_nc_u32_e32 v2, v5, v89
	v_mov_b32_e32 v9, v100
	v_mov_b32_e32 v29, v99
	;; [unrolled: 1-line block ×3, first 2 shown]
	s_mov_b32 s0, -4
	v_mad_i64_i32 v[2:3], null, v2, 36, v[27:28]
	global_load_dword v2, v[2:3], off offset:4
	s_waitcnt vmcnt(0)
	ds_write_b32 v114, v2
	v_add_nc_u32_e32 v2, v5, v90
	v_mad_i64_i32 v[2:3], null, v2, 36, v[27:28]
	global_load_dword v2, v[2:3], off offset:4
	s_waitcnt vmcnt(0)
	ds_write_b32 v115, v2
	v_add_nc_u32_e32 v2, v5, v91
	;; [unrolled: 5-line block ×7, first 2 shown]
	v_mov_b32_e32 v5, v104
	v_mad_i64_i32 v[2:3], null, v2, 36, v[27:28]
	global_load_dword v2, v[2:3], off offset:4
	s_waitcnt vmcnt(0)
	ds_write_b32 v121, v2
	v_mad_u64_u32 v[2:3], null, v4, 36, s[2:3]
	global_load_dword v2, v[2:3], off
	s_waitcnt vmcnt(0)
	ds_write_b32 v88, v2
	s_waitcnt lgkmcnt(0)
	s_barrier
	buffer_gl0_inv
.LBB118_8:                              ;   Parent Loop BB118_6 Depth=1
                                        ; =>  This Inner Loop Header: Depth=2
	ds_read_b128 v[155:158], v5
	ds_read_b128 v[159:162], v5 offset:16
	ds_read2_b32 v[2:3], v6 offset1:32
	v_mov_b32_e32 v127, 0
	v_add_nc_u32_e32 v132, 0x1080, v30
	v_add_nc_u32_e32 v137, 0x1088, v30
	v_mov_b32_e32 v136, 0
	v_add_nc_u32_e32 v141, 0x2100, v30
	v_add_nc_u32_e32 v145, 0x2108, v30
	v_mov_b32_e32 v150, 0
	v_mov_b32_e32 v164, 0
	v_add_nc_u32_e32 v154, 0x3188, v30
	v_mov_b32_e32 v166, 0
	v_mov_b32_e32 v167, 0
	s_add_i32 s0, s0, 4
	s_cmp_lt_u32 s0, 12
	s_waitcnt lgkmcnt(0)
	v_cvt_f32_f16_sdwa v122, v2 dst_sel:DWORD dst_unused:UNUSED_PAD src0_sel:WORD_1
	v_mul_f32_e32 v163, 0x41000000, v122
	ds_read_b32 v122, v7
	ds_read2_b32 v[125:126], v30 offset1:1
	ds_read2_b32 v[130:131], v30 offset0:2 offset1:3
	v_add_nc_u32_e32 v7, 4, v7
	s_waitcnt lgkmcnt(1)
	v_and_b32_e32 v123, 0xf0f0f0f, v125
	v_lshrrev_b32_e32 v124, 4, v125
	v_and_b32_e32 v125, 0xf0f0f0f, v126
	v_lshrrev_b32_e32 v126, 4, v126
	s_waitcnt lgkmcnt(0)
	v_and_b32_e32 v128, 0xf0f0f0f, v130
	v_dot4c_i32_i8 v127, v123, v155
	v_and_b32_e32 v124, 0xf0f0f0f, v124
	v_lshrrev_b32_e32 v129, 4, v130
	v_and_b32_e32 v126, 0xf0f0f0f, v126
	v_and_b32_e32 v130, 0xf0f0f0f, v131
	v_lshrrev_b32_e32 v131, 4, v131
	v_dot4c_i32_i8 v127, v124, v159
	v_and_b32_e32 v129, 0xf0f0f0f, v129
	v_and_b32_e32 v131, 0xf0f0f0f, v131
	v_dot4c_i32_i8 v127, v125, v156
	v_dot4c_i32_i8 v127, v126, v160
	v_dot4c_i32_i8 v127, v128, v157
	v_dot4c_i32_i8 v127, v129, v161
	v_dot4c_i32_i8 v127, v130, v158
	v_dot4c_i32_i8 v127, v131, v162
	v_cvt_f32_i32_e32 v127, v127
	v_fma_mix_f32 v127, v2, v127, -v163 op_sel_hi:[1,0,0]
	v_fmac_f32_e32 v44, v122, v127
	ds_read_b32 v127, v8
	ds_read2_b32 v[134:135], v132 offset1:1
	ds_read2_b32 v[139:140], v137 offset1:1
	v_add_nc_u32_e32 v8, 4, v8
	s_waitcnt lgkmcnt(1)
	v_and_b32_e32 v132, 0xf0f0f0f, v134
	v_lshrrev_b32_e32 v133, 4, v134
	v_and_b32_e32 v134, 0xf0f0f0f, v135
	v_lshrrev_b32_e32 v135, 4, v135
	s_waitcnt lgkmcnt(0)
	v_and_b32_e32 v137, 0xf0f0f0f, v139
	v_dot4c_i32_i8 v136, v132, v155
	v_and_b32_e32 v133, 0xf0f0f0f, v133
	v_lshrrev_b32_e32 v138, 4, v139
	v_and_b32_e32 v135, 0xf0f0f0f, v135
	v_and_b32_e32 v139, 0xf0f0f0f, v140
	v_lshrrev_b32_e32 v140, 4, v140
	v_dot4c_i32_i8 v136, v133, v159
	v_and_b32_e32 v138, 0xf0f0f0f, v138
	v_and_b32_e32 v140, 0xf0f0f0f, v140
	v_dot4c_i32_i8 v136, v134, v156
	v_dot4c_i32_i8 v136, v135, v160
	;; [unrolled: 1-line block ×6, first 2 shown]
	v_cvt_f32_i32_e32 v136, v136
	v_fma_mix_f32 v136, v2, v136, -v163 op_sel_hi:[1,0,0]
	v_fmac_f32_e32 v84, v127, v136
	ds_read_b32 v136, v9
	ds_read2_b32 v[143:144], v141 offset1:1
	ds_read2_b32 v[147:148], v145 offset1:1
	v_add_nc_u32_e32 v9, 4, v9
	s_waitcnt lgkmcnt(1)
	v_and_b32_e32 v141, 0xf0f0f0f, v143
	v_lshrrev_b32_e32 v142, 4, v143
	v_and_b32_e32 v143, 0xf0f0f0f, v144
	v_lshrrev_b32_e32 v144, 4, v144
	s_waitcnt lgkmcnt(0)
	v_and_b32_e32 v145, 0xf0f0f0f, v147
	v_dot4c_i32_i8 v150, v141, v155
	v_and_b32_e32 v142, 0xf0f0f0f, v142
	v_lshrrev_b32_e32 v146, 4, v147
	v_and_b32_e32 v144, 0xf0f0f0f, v144
	v_and_b32_e32 v147, 0xf0f0f0f, v148
	v_lshrrev_b32_e32 v148, 4, v148
	v_dot4c_i32_i8 v150, v142, v159
	v_and_b32_e32 v146, 0xf0f0f0f, v146
	v_and_b32_e32 v149, 0xf0f0f0f, v148
	v_dot4c_i32_i8 v150, v143, v156
	v_dot4c_i32_i8 v150, v144, v160
	;; [unrolled: 1-line block ×6, first 2 shown]
	v_cvt_f32_i32_e32 v148, v150
	v_add_nc_u32_e32 v150, 0x3180, v30
	v_add_nc_u32_e32 v30, 16, v30
	v_fma_mix_f32 v148, v2, v148, -v163 op_sel_hi:[1,0,0]
	v_fmac_f32_e32 v83, v136, v148
	ds_read_b32 v148, v29
	ds_read2_b32 v[152:153], v150 offset1:1
	v_add_nc_u32_e32 v29, 4, v29
	s_waitcnt lgkmcnt(0)
	v_and_b32_e32 v150, 0xf0f0f0f, v152
	v_lshrrev_b32_e32 v151, 4, v152
	v_and_b32_e32 v152, 0xf0f0f0f, v153
	v_lshrrev_b32_e32 v153, 4, v153
	v_dot4c_i32_i8 v164, v150, v155
	v_and_b32_e32 v151, 0xf0f0f0f, v151
	v_and_b32_e32 v153, 0xf0f0f0f, v153
	v_dot4c_i32_i8 v164, v151, v159
	v_dot4c_i32_i8 v164, v152, v156
	;; [unrolled: 1-line block ×3, first 2 shown]
	ds_read2_b32 v[159:160], v154 offset1:1
	s_waitcnt lgkmcnt(0)
	v_and_b32_e32 v154, 0xf0f0f0f, v159
	v_lshrrev_b32_e32 v155, 4, v159
	v_and_b32_e32 v156, 0xf0f0f0f, v160
	v_dot4c_i32_i8 v164, v154, v157
	v_and_b32_e32 v155, 0xf0f0f0f, v155
	v_lshrrev_b32_e32 v157, 4, v160
	v_dot4c_i32_i8 v164, v155, v161
	v_and_b32_e32 v157, 0xf0f0f0f, v157
	v_dot4c_i32_i8 v164, v156, v158
	v_dot4c_i32_i8 v164, v157, v162
	v_cvt_f32_i32_e32 v158, v164
	v_fma_mix_f32 v2, v2, v158, -v163 op_sel_hi:[1,0,0]
	ds_read_b128 v[158:161], v5 offset:1024
	ds_read_b128 v[162:165], v5 offset:1040
	v_fmac_f32_e32 v82, v148, v2
	v_cvt_f32_f16_sdwa v2, v3 dst_sel:DWORD dst_unused:UNUSED_PAD src0_sel:WORD_1
	v_mul_f32_e32 v2, 0x41000000, v2
	s_waitcnt lgkmcnt(1)
	v_dot4c_i32_i8 v166, v123, v158
	s_waitcnt lgkmcnt(0)
	v_dot4c_i32_i8 v166, v124, v162
	v_dot4c_i32_i8 v166, v125, v159
	v_dot4c_i32_i8 v166, v126, v163
	v_dot4c_i32_i8 v166, v128, v160
	v_dot4c_i32_i8 v166, v129, v164
	v_dot4c_i32_i8 v166, v130, v161
	v_dot4c_i32_i8 v166, v131, v165
	v_cvt_f32_i32_e32 v166, v166
	v_fma_mix_f32 v166, v166, v3, -v2 op_sel_hi:[0,1,0]
	v_fmac_f32_e32 v81, v122, v166
	v_mov_b32_e32 v166, 0
	v_dot4c_i32_i8 v166, v132, v158
	v_dot4c_i32_i8 v166, v133, v162
	v_dot4c_i32_i8 v166, v134, v159
	v_dot4c_i32_i8 v166, v135, v163
	v_dot4c_i32_i8 v166, v137, v160
	v_dot4c_i32_i8 v166, v138, v164
	v_dot4c_i32_i8 v166, v139, v161
	v_dot4c_i32_i8 v166, v140, v165
	v_cvt_f32_i32_e32 v166, v166
	v_fma_mix_f32 v166, v166, v3, -v2 op_sel_hi:[0,1,0]
	v_fmac_f32_e32 v80, v127, v166
	v_mov_b32_e32 v166, 0
	v_dot4c_i32_i8 v166, v141, v158
	;; [unrolled: 12-line block ×3, first 2 shown]
	v_dot4c_i32_i8 v166, v151, v162
	v_dot4c_i32_i8 v166, v152, v159
	v_dot4c_i32_i8 v166, v153, v163
	v_dot4c_i32_i8 v166, v154, v160
	v_dot4c_i32_i8 v166, v155, v164
	v_dot4c_i32_i8 v166, v156, v161
	v_dot4c_i32_i8 v166, v157, v165
	v_cvt_f32_i32_e32 v158, v166
	v_fma_mix_f32 v2, v158, v3, -v2 op_sel_hi:[0,1,0]
	v_fmac_f32_e32 v74, v148, v2
	ds_read_b128 v[158:161], v5 offset:2048
	ds_read_b128 v[162:165], v5 offset:2064
	ds_read2_b32 v[2:3], v6 offset0:64 offset1:96
	s_waitcnt lgkmcnt(2)
	v_dot4c_i32_i8 v167, v123, v158
	s_waitcnt lgkmcnt(0)
	v_cvt_f32_f16_sdwa v166, v2 dst_sel:DWORD dst_unused:UNUSED_PAD src0_sel:WORD_1
	v_dot4c_i32_i8 v167, v124, v162
	v_mul_f32_e32 v166, 0x41000000, v166
	v_dot4c_i32_i8 v167, v125, v159
	v_dot4c_i32_i8 v167, v126, v163
	v_dot4c_i32_i8 v167, v128, v160
	v_dot4c_i32_i8 v167, v129, v164
	v_dot4c_i32_i8 v167, v130, v161
	v_dot4c_i32_i8 v167, v131, v165
	v_cvt_f32_i32_e32 v167, v167
	v_fma_mix_f32 v167, v167, v2, -v166 op_sel_hi:[0,1,0]
	v_fmac_f32_e32 v68, v122, v167
	v_mov_b32_e32 v167, 0
	v_dot4c_i32_i8 v167, v132, v158
	v_dot4c_i32_i8 v167, v133, v162
	v_dot4c_i32_i8 v167, v134, v159
	v_dot4c_i32_i8 v167, v135, v163
	v_dot4c_i32_i8 v167, v137, v160
	v_dot4c_i32_i8 v167, v138, v164
	v_dot4c_i32_i8 v167, v139, v161
	v_dot4c_i32_i8 v167, v140, v165
	v_cvt_f32_i32_e32 v167, v167
	v_fma_mix_f32 v167, v167, v2, -v166 op_sel_hi:[0,1,0]
	v_fmac_f32_e32 v67, v127, v167
	v_mov_b32_e32 v167, 0
	v_dot4c_i32_i8 v167, v141, v158
	v_dot4c_i32_i8 v167, v142, v162
	;; [unrolled: 12-line block ×3, first 2 shown]
	v_dot4c_i32_i8 v167, v152, v159
	v_dot4c_i32_i8 v167, v153, v163
	;; [unrolled: 1-line block ×6, first 2 shown]
	v_cvt_f32_i32_e32 v158, v167
	v_mov_b32_e32 v167, 0
	v_fma_mix_f32 v2, v158, v2, -v166 op_sel_hi:[0,1,0]
	ds_read_b128 v[158:161], v5 offset:3072
	ds_read_b128 v[162:165], v5 offset:3088
	v_mov_b32_e32 v166, 0
	v_fmac_f32_e32 v60, v148, v2
	v_cvt_f32_f16_sdwa v2, v3 dst_sel:DWORD dst_unused:UNUSED_PAD src0_sel:WORD_1
	v_mul_f32_e32 v2, 0x41000000, v2
	s_waitcnt lgkmcnt(1)
	v_dot4c_i32_i8 v166, v123, v158
	s_waitcnt lgkmcnt(0)
	v_dot4c_i32_i8 v166, v124, v162
	v_dot4c_i32_i8 v166, v125, v159
	v_dot4c_i32_i8 v166, v126, v163
	v_dot4c_i32_i8 v166, v128, v160
	v_dot4c_i32_i8 v166, v129, v164
	v_dot4c_i32_i8 v166, v130, v161
	v_dot4c_i32_i8 v166, v131, v165
	v_cvt_f32_i32_e32 v166, v166
	v_fma_mix_f32 v166, v166, v3, -v2 op_sel_hi:[0,1,0]
	v_fmac_f32_e32 v55, v122, v166
	v_mov_b32_e32 v166, 0
	v_dot4c_i32_i8 v166, v132, v158
	v_dot4c_i32_i8 v166, v133, v162
	v_dot4c_i32_i8 v166, v134, v159
	v_dot4c_i32_i8 v166, v135, v163
	v_dot4c_i32_i8 v166, v137, v160
	v_dot4c_i32_i8 v166, v138, v164
	v_dot4c_i32_i8 v166, v139, v161
	v_dot4c_i32_i8 v166, v140, v165
	v_cvt_f32_i32_e32 v166, v166
	v_fma_mix_f32 v166, v166, v3, -v2 op_sel_hi:[0,1,0]
	v_fmac_f32_e32 v52, v127, v166
	v_mov_b32_e32 v166, 0
	v_dot4c_i32_i8 v166, v141, v158
	;; [unrolled: 12-line block ×3, first 2 shown]
	v_dot4c_i32_i8 v166, v151, v162
	v_dot4c_i32_i8 v166, v152, v159
	;; [unrolled: 1-line block ×7, first 2 shown]
	v_cvt_f32_i32_e32 v158, v166
	v_fma_mix_f32 v2, v158, v3, -v2 op_sel_hi:[0,1,0]
	v_fmac_f32_e32 v49, v148, v2
	ds_read_b128 v[158:161], v5 offset:4096
	ds_read_b128 v[162:165], v5 offset:4112
	ds_read2_b32 v[2:3], v6 offset0:128 offset1:160
	s_waitcnt lgkmcnt(2)
	v_dot4c_i32_i8 v167, v123, v158
	s_waitcnt lgkmcnt(0)
	v_cvt_f32_f16_sdwa v166, v2 dst_sel:DWORD dst_unused:UNUSED_PAD src0_sel:WORD_1
	v_dot4c_i32_i8 v167, v124, v162
	v_mul_f32_e32 v166, 0x41000000, v166
	v_dot4c_i32_i8 v167, v125, v159
	v_dot4c_i32_i8 v167, v126, v163
	v_dot4c_i32_i8 v167, v128, v160
	v_dot4c_i32_i8 v167, v129, v164
	v_dot4c_i32_i8 v167, v130, v161
	v_dot4c_i32_i8 v167, v131, v165
	v_cvt_f32_i32_e32 v167, v167
	v_fma_mix_f32 v167, v167, v2, -v166 op_sel_hi:[0,1,0]
	v_fmac_f32_e32 v48, v122, v167
	v_mov_b32_e32 v167, 0
	v_dot4c_i32_i8 v167, v132, v158
	v_dot4c_i32_i8 v167, v133, v162
	v_dot4c_i32_i8 v167, v134, v159
	v_dot4c_i32_i8 v167, v135, v163
	v_dot4c_i32_i8 v167, v137, v160
	v_dot4c_i32_i8 v167, v138, v164
	v_dot4c_i32_i8 v167, v139, v161
	v_dot4c_i32_i8 v167, v140, v165
	v_cvt_f32_i32_e32 v167, v167
	v_fma_mix_f32 v167, v167, v2, -v166 op_sel_hi:[0,1,0]
	v_fmac_f32_e32 v47, v127, v167
	v_mov_b32_e32 v167, 0
	v_dot4c_i32_i8 v167, v141, v158
	v_dot4c_i32_i8 v167, v142, v162
	;; [unrolled: 12-line block ×3, first 2 shown]
	v_dot4c_i32_i8 v167, v152, v159
	v_dot4c_i32_i8 v167, v153, v163
	;; [unrolled: 1-line block ×6, first 2 shown]
	v_cvt_f32_i32_e32 v158, v167
	v_mov_b32_e32 v167, 0
	v_fma_mix_f32 v2, v158, v2, -v166 op_sel_hi:[0,1,0]
	ds_read_b128 v[158:161], v5 offset:5120
	ds_read_b128 v[162:165], v5 offset:5136
	v_mov_b32_e32 v166, 0
	v_fmac_f32_e32 v45, v148, v2
	v_cvt_f32_f16_sdwa v2, v3 dst_sel:DWORD dst_unused:UNUSED_PAD src0_sel:WORD_1
	v_mul_f32_e32 v2, 0x41000000, v2
	s_waitcnt lgkmcnt(1)
	v_dot4c_i32_i8 v166, v123, v158
	s_waitcnt lgkmcnt(0)
	v_dot4c_i32_i8 v166, v124, v162
	v_dot4c_i32_i8 v166, v125, v159
	v_dot4c_i32_i8 v166, v126, v163
	v_dot4c_i32_i8 v166, v128, v160
	v_dot4c_i32_i8 v166, v129, v164
	v_dot4c_i32_i8 v166, v130, v161
	v_dot4c_i32_i8 v166, v131, v165
	v_cvt_f32_i32_e32 v166, v166
	v_fma_mix_f32 v166, v166, v3, -v2 op_sel_hi:[0,1,0]
	v_fmac_f32_e32 v43, v122, v166
	v_mov_b32_e32 v166, 0
	v_dot4c_i32_i8 v166, v132, v158
	v_dot4c_i32_i8 v166, v133, v162
	v_dot4c_i32_i8 v166, v134, v159
	v_dot4c_i32_i8 v166, v135, v163
	v_dot4c_i32_i8 v166, v137, v160
	v_dot4c_i32_i8 v166, v138, v164
	v_dot4c_i32_i8 v166, v139, v161
	v_dot4c_i32_i8 v166, v140, v165
	v_cvt_f32_i32_e32 v166, v166
	v_fma_mix_f32 v166, v166, v3, -v2 op_sel_hi:[0,1,0]
	v_fmac_f32_e32 v41, v127, v166
	v_mov_b32_e32 v166, 0
	v_dot4c_i32_i8 v166, v141, v158
	;; [unrolled: 12-line block ×3, first 2 shown]
	v_dot4c_i32_i8 v166, v151, v162
	v_dot4c_i32_i8 v166, v152, v159
	v_dot4c_i32_i8 v166, v153, v163
	v_dot4c_i32_i8 v166, v154, v160
	v_dot4c_i32_i8 v166, v155, v164
	v_dot4c_i32_i8 v166, v156, v161
	v_dot4c_i32_i8 v166, v157, v165
	v_cvt_f32_i32_e32 v158, v166
	v_fma_mix_f32 v2, v158, v3, -v2 op_sel_hi:[0,1,0]
	v_fmac_f32_e32 v39, v148, v2
	ds_read_b128 v[158:161], v5 offset:6144
	ds_read_b128 v[162:165], v5 offset:6160
	ds_read2_b32 v[2:3], v6 offset0:192 offset1:224
	v_add_nc_u32_e32 v6, 4, v6
	s_waitcnt lgkmcnt(2)
	v_dot4c_i32_i8 v167, v123, v158
	s_waitcnt lgkmcnt(0)
	v_cvt_f32_f16_sdwa v166, v2 dst_sel:DWORD dst_unused:UNUSED_PAD src0_sel:WORD_1
	v_dot4c_i32_i8 v167, v124, v162
	v_mul_f32_e32 v166, 0x41000000, v166
	v_dot4c_i32_i8 v167, v125, v159
	v_dot4c_i32_i8 v167, v126, v163
	v_dot4c_i32_i8 v167, v128, v160
	v_dot4c_i32_i8 v167, v129, v164
	v_dot4c_i32_i8 v167, v130, v161
	v_dot4c_i32_i8 v167, v131, v165
	v_cvt_f32_i32_e32 v167, v167
	v_fma_mix_f32 v167, v167, v2, -v166 op_sel_hi:[0,1,0]
	v_fmac_f32_e32 v38, v122, v167
	v_mov_b32_e32 v167, 0
	v_dot4c_i32_i8 v167, v132, v158
	v_dot4c_i32_i8 v167, v133, v162
	v_dot4c_i32_i8 v167, v134, v159
	v_dot4c_i32_i8 v167, v135, v163
	v_dot4c_i32_i8 v167, v137, v160
	v_dot4c_i32_i8 v167, v138, v164
	v_dot4c_i32_i8 v167, v139, v161
	v_dot4c_i32_i8 v167, v140, v165
	v_cvt_f32_i32_e32 v167, v167
	v_fma_mix_f32 v167, v167, v2, -v166 op_sel_hi:[0,1,0]
	v_fmac_f32_e32 v37, v127, v167
	v_mov_b32_e32 v167, 0
	v_dot4c_i32_i8 v167, v141, v158
	v_dot4c_i32_i8 v167, v142, v162
	;; [unrolled: 12-line block ×3, first 2 shown]
	v_dot4c_i32_i8 v167, v152, v159
	v_dot4c_i32_i8 v167, v153, v163
	;; [unrolled: 1-line block ×6, first 2 shown]
	v_cvt_f32_i32_e32 v158, v167
	v_fma_mix_f32 v2, v158, v2, -v166 op_sel_hi:[0,1,0]
	ds_read_b128 v[158:161], v5 offset:7168
	ds_read_b128 v[162:165], v5 offset:7184
	v_mov_b32_e32 v166, 0
	v_add_nc_u32_e32 v5, 32, v5
	v_fmac_f32_e32 v35, v148, v2
	v_cvt_f32_f16_sdwa v2, v3 dst_sel:DWORD dst_unused:UNUSED_PAD src0_sel:WORD_1
	v_mul_f32_e32 v2, 0x41000000, v2
	s_waitcnt lgkmcnt(1)
	v_dot4c_i32_i8 v166, v123, v158
	s_waitcnt lgkmcnt(0)
	v_dot4c_i32_i8 v166, v124, v162
	v_dot4c_i32_i8 v166, v125, v159
	v_dot4c_i32_i8 v166, v126, v163
	v_dot4c_i32_i8 v166, v128, v160
	v_dot4c_i32_i8 v166, v129, v164
	v_dot4c_i32_i8 v166, v130, v161
	v_dot4c_i32_i8 v166, v131, v165
	v_cvt_f32_i32_e32 v123, v166
	v_fma_mix_f32 v123, v123, v3, -v2 op_sel_hi:[0,1,0]
	v_fmac_f32_e32 v34, v122, v123
	v_mov_b32_e32 v122, 0
	v_dot4c_i32_i8 v122, v132, v158
	v_dot4c_i32_i8 v122, v133, v162
	v_dot4c_i32_i8 v122, v134, v159
	v_dot4c_i32_i8 v122, v135, v163
	v_dot4c_i32_i8 v122, v137, v160
	v_dot4c_i32_i8 v122, v138, v164
	v_dot4c_i32_i8 v122, v139, v161
	v_dot4c_i32_i8 v122, v140, v165
	v_cvt_f32_i32_e32 v122, v122
	v_fma_mix_f32 v122, v122, v3, -v2 op_sel_hi:[0,1,0]
	v_fmac_f32_e32 v33, v127, v122
	v_mov_b32_e32 v122, 0
	v_dot4c_i32_i8 v122, v141, v158
	;; [unrolled: 12-line block ×3, first 2 shown]
	v_dot4c_i32_i8 v122, v151, v162
	v_dot4c_i32_i8 v122, v152, v159
	;; [unrolled: 1-line block ×7, first 2 shown]
	v_cvt_f32_i32_e32 v122, v122
	v_fma_mix_f32 v2, v122, v3, -v2 op_sel_hi:[0,1,0]
	v_fmac_f32_e32 v31, v148, v2
	s_cbranch_scc1 .LBB118_8
; %bb.9:                                ;   in Loop: Header=BB118_6 Depth=1
	s_and_b32 s0, s9, -4
	s_cmp_eq_u32 s0, 4
	s_barrier
	buffer_gl0_inv
	s_cbranch_scc1 .LBB118_5
; %bb.10:                               ;   in Loop: Header=BB118_6 Depth=1
	v_add_nc_u32_e32 v9, s11, v98
	v_add_nc_u32_e32 v4, 4, v4
	s_mov_b32 s0, 12
	v_add_nc_u32_e32 v2, v9, v89
	v_add_nc_u32_e32 v5, v9, v90
	;; [unrolled: 1-line block ×5, first 2 shown]
	v_mad_u64_u32 v[124:125], null, v4, 36, s[2:3]
	v_mad_i64_i32 v[2:3], null, v2, 36, v[27:28]
	v_add_nc_u32_e32 v126, v9, v94
	v_mad_i64_i32 v[5:6], null, v5, 36, v[27:28]
	v_add_nc_u32_e32 v128, v9, v95
	;; [unrolled: 2-line block ×3, first 2 shown]
	v_mad_i64_i32 v[29:30], null, v29, 36, v[27:28]
	v_mad_i64_i32 v[122:123], null, v122, 36, v[27:28]
	;; [unrolled: 1-line block ×5, first 2 shown]
	s_clause 0x8
	global_load_dword v4, v[124:125], off
	global_load_dword v2, v[2:3], off offset:4
	global_load_dword v3, v[5:6], off offset:4
	;; [unrolled: 1-line block ×8, first 2 shown]
	v_mov_b32_e32 v122, v103
	v_mov_b32_e32 v123, v104
	;; [unrolled: 1-line block ×7, first 2 shown]
	s_waitcnt vmcnt(8)
	ds_write_b32 v88, v4
	s_waitcnt vmcnt(7)
	ds_write_b32 v114, v2
	;; [unrolled: 2-line block ×9, first 2 shown]
	s_waitcnt lgkmcnt(0)
	s_barrier
	buffer_gl0_inv
.LBB118_11:                             ;   Parent Loop BB118_6 Depth=1
                                        ; =>  This Inner Loop Header: Depth=2
	ds_read_b128 v[2:5], v123
	ds_read_b128 v[6:9], v123 offset:16
	ds_read2_b32 v[29:30], v122 offset1:32
	ds_read_b32 v130, v124
	ds_read2_b32 v[131:132], v128 offset1:1
	v_add_nc_u32_e32 v136, 0x2108, v128
	v_add_nc_u32_e32 v157, 0x3180, v128
	;; [unrolled: 1-line block ×3, first 2 shown]
	s_add_i32 s0, s0, 4
	s_cmp_lt_u32 s0, 28
	s_waitcnt lgkmcnt(2)
	v_cvt_f32_f16_sdwa v129, v29 dst_sel:DWORD dst_unused:UNUSED_PAD src0_sel:WORD_1
	s_waitcnt lgkmcnt(0)
	v_and_b32_e32 v149, 0xf0f0f0f, v131
	v_and_b32_e32 v151, 0xf0f0f0f, v132
	v_mul_f32_e32 v161, 0x41000000, v129
	v_lshrrev_b32_e32 v129, 4, v131
	v_lshrrev_b32_e32 v131, 4, v132
	v_and_b32_e32 v150, 0xf0f0f0f, v129
	v_mov_b32_e32 v129, 0
	v_and_b32_e32 v152, 0xf0f0f0f, v131
	ds_read2_b32 v[131:132], v128 offset0:2 offset1:3
	v_dot4c_i32_i8 v129, v149, v2
	v_dot4c_i32_i8 v129, v150, v6
	;; [unrolled: 1-line block ×4, first 2 shown]
	s_waitcnt lgkmcnt(0)
	v_and_b32_e32 v153, 0xf0f0f0f, v131
	v_lshrrev_b32_e32 v131, 4, v131
	v_and_b32_e32 v155, 0xf0f0f0f, v132
	v_dot4c_i32_i8 v129, v153, v4
	v_and_b32_e32 v154, 0xf0f0f0f, v131
	v_lshrrev_b32_e32 v131, 4, v132
	v_dot4c_i32_i8 v129, v154, v8
	v_and_b32_e32 v156, 0xf0f0f0f, v131
	v_dot4c_i32_i8 v129, v155, v5
	v_dot4c_i32_i8 v129, v156, v9
	v_cvt_f32_i32_e32 v129, v129
	v_fma_mix_f32 v129, v29, v129, -v161 op_sel_hi:[1,0,0]
	v_fmac_f32_e32 v44, v130, v129
	v_add_nc_u32_e32 v129, 0x1080, v128
	ds_read_b32 v137, v125
	ds_read2_b32 v[131:132], v129 offset1:1
	v_add_nc_u32_e32 v125, 4, v125
	s_waitcnt lgkmcnt(0)
	v_and_b32_e32 v141, 0xf0f0f0f, v131
	v_lshrrev_b32_e32 v129, 4, v131
	v_lshrrev_b32_e32 v131, 4, v132
	v_and_b32_e32 v143, 0xf0f0f0f, v132
	v_and_b32_e32 v142, 0xf0f0f0f, v129
	;; [unrolled: 1-line block ×3, first 2 shown]
	v_add_nc_u32_e32 v131, 0x1088, v128
	v_mov_b32_e32 v129, 0
	ds_read2_b32 v[131:132], v131 offset1:1
	v_dot4c_i32_i8 v129, v141, v2
	v_dot4c_i32_i8 v129, v142, v6
	;; [unrolled: 1-line block ×4, first 2 shown]
	s_waitcnt lgkmcnt(0)
	v_and_b32_e32 v145, 0xf0f0f0f, v131
	v_lshrrev_b32_e32 v131, 4, v131
	v_and_b32_e32 v147, 0xf0f0f0f, v132
	v_dot4c_i32_i8 v129, v145, v4
	v_and_b32_e32 v146, 0xf0f0f0f, v131
	v_lshrrev_b32_e32 v131, 4, v132
	v_dot4c_i32_i8 v129, v146, v8
	v_and_b32_e32 v148, 0xf0f0f0f, v131
	v_dot4c_i32_i8 v129, v147, v5
	v_dot4c_i32_i8 v129, v148, v9
	v_cvt_f32_i32_e32 v129, v129
	v_fma_mix_f32 v129, v29, v129, -v161 op_sel_hi:[1,0,0]
	v_fmac_f32_e32 v84, v137, v129
	v_add_nc_u32_e32 v129, 0x2100, v128
	ds_read_b32 v131, v126
	ds_read2_b32 v[134:135], v129 offset1:1
	ds_read2_b32 v[139:140], v136 offset1:1
	v_add_nc_u32_e32 v126, 4, v126
	s_waitcnt lgkmcnt(1)
	v_lshrrev_b32_e32 v129, 4, v134
	v_and_b32_e32 v132, 0xf0f0f0f, v134
	v_and_b32_e32 v134, 0xf0f0f0f, v135
	v_lshrrev_b32_e32 v135, 4, v135
	s_waitcnt lgkmcnt(0)
	v_and_b32_e32 v136, 0xf0f0f0f, v139
	v_and_b32_e32 v133, 0xf0f0f0f, v129
	v_mov_b32_e32 v129, 0
	v_lshrrev_b32_e32 v138, 4, v139
	v_and_b32_e32 v135, 0xf0f0f0f, v135
	v_and_b32_e32 v139, 0xf0f0f0f, v140
	v_lshrrev_b32_e32 v140, 4, v140
	v_dot4c_i32_i8 v129, v132, v2
	v_and_b32_e32 v138, 0xf0f0f0f, v138
	v_and_b32_e32 v140, 0xf0f0f0f, v140
	v_dot4c_i32_i8 v129, v133, v6
	v_dot4c_i32_i8 v129, v134, v3
	;; [unrolled: 1-line block ×7, first 2 shown]
	v_cvt_f32_i32_e32 v129, v129
	v_fma_mix_f32 v129, v29, v129, -v161 op_sel_hi:[1,0,0]
	v_fmac_f32_e32 v83, v131, v129
	ds_read_b32 v129, v127
	ds_read2_b32 v[162:163], v157 offset1:1
	v_add_nc_u32_e32 v127, 4, v127
	s_waitcnt lgkmcnt(0)
	v_and_b32_e32 v159, 0xf0f0f0f, v162
	v_lshrrev_b32_e32 v157, 4, v162
	v_mov_b32_e32 v162, 0
	v_and_b32_e32 v158, 0xf0f0f0f, v157
	v_dot4c_i32_i8 v162, v159, v2
	v_lshrrev_b32_e32 v2, 4, v163
	v_and_b32_e32 v157, 0xf0f0f0f, v163
	v_dot4c_i32_i8 v162, v158, v6
	v_and_b32_e32 v6, 0xf0f0f0f, v2
	v_add_nc_u32_e32 v2, 0x3188, v128
	v_add_nc_u32_e32 v128, 16, v128
	v_dot4c_i32_i8 v162, v157, v3
	ds_read2_b32 v[2:3], v2 offset1:1
	v_dot4c_i32_i8 v162, v6, v7
	s_waitcnt lgkmcnt(0)
	v_and_b32_e32 v7, 0xf0f0f0f, v2
	v_lshrrev_b32_e32 v2, 4, v2
	v_dot4c_i32_i8 v162, v7, v4
	v_and_b32_e32 v160, 0xf0f0f0f, v2
	v_lshrrev_b32_e32 v2, 4, v3
	v_dot4c_i32_i8 v162, v160, v8
	v_and_b32_e32 v8, 0xf0f0f0f, v3
	v_and_b32_e32 v4, 0xf0f0f0f, v2
	v_mov_b32_e32 v3, 0
	v_dot4c_i32_i8 v162, v8, v5
	v_dot4c_i32_i8 v162, v4, v9
	v_mov_b32_e32 v9, 0
	v_cvt_f32_i32_e32 v2, v162
	v_fma_mix_f32 v2, v29, v2, -v161 op_sel_hi:[1,0,0]
	ds_read_b128 v[161:164], v123 offset:1024
	ds_read_b128 v[165:168], v123 offset:1040
	v_fmac_f32_e32 v82, v129, v2
	v_cvt_f32_f16_sdwa v2, v30 dst_sel:DWORD dst_unused:UNUSED_PAD src0_sel:WORD_1
	v_mul_f32_e32 v2, 0x41000000, v2
	s_waitcnt lgkmcnt(1)
	v_dot4c_i32_i8 v3, v149, v161
	s_waitcnt lgkmcnt(0)
	v_dot4c_i32_i8 v3, v150, v165
	v_dot4c_i32_i8 v3, v151, v162
	v_dot4c_i32_i8 v3, v152, v166
	v_dot4c_i32_i8 v3, v153, v163
	v_dot4c_i32_i8 v3, v154, v167
	v_dot4c_i32_i8 v3, v155, v164
	v_dot4c_i32_i8 v3, v156, v168
	v_cvt_f32_i32_e32 v3, v3
	v_fma_mix_f32 v3, v3, v30, -v2 op_sel_hi:[0,1,0]
	v_fmac_f32_e32 v81, v130, v3
	v_mov_b32_e32 v3, 0
	v_dot4c_i32_i8 v3, v141, v161
	v_dot4c_i32_i8 v3, v142, v165
	v_dot4c_i32_i8 v3, v143, v162
	v_dot4c_i32_i8 v3, v144, v166
	v_dot4c_i32_i8 v3, v145, v163
	v_dot4c_i32_i8 v3, v146, v167
	v_dot4c_i32_i8 v3, v147, v164
	v_dot4c_i32_i8 v3, v148, v168
	v_cvt_f32_i32_e32 v3, v3
	v_fma_mix_f32 v3, v3, v30, -v2 op_sel_hi:[0,1,0]
	v_fmac_f32_e32 v80, v137, v3
	v_mov_b32_e32 v3, 0
	v_dot4c_i32_i8 v3, v132, v161
	;; [unrolled: 12-line block ×3, first 2 shown]
	v_dot4c_i32_i8 v3, v158, v165
	v_dot4c_i32_i8 v3, v157, v162
	v_dot4c_i32_i8 v3, v6, v166
	v_dot4c_i32_i8 v3, v7, v163
	v_dot4c_i32_i8 v3, v160, v167
	v_dot4c_i32_i8 v3, v8, v164
	v_dot4c_i32_i8 v3, v4, v168
	v_cvt_f32_i32_e32 v3, v3
	v_fma_mix_f32 v2, v3, v30, -v2 op_sel_hi:[0,1,0]
	v_fmac_f32_e32 v74, v129, v2
	ds_read_b128 v[161:164], v123 offset:2048
	ds_read_b128 v[165:168], v123 offset:2064
	ds_read2_b32 v[2:3], v122 offset0:64 offset1:96
	s_waitcnt lgkmcnt(2)
	v_dot4c_i32_i8 v9, v149, v161
	s_waitcnt lgkmcnt(0)
	v_cvt_f32_f16_sdwa v5, v2 dst_sel:DWORD dst_unused:UNUSED_PAD src0_sel:WORD_1
	v_dot4c_i32_i8 v9, v150, v165
	v_mul_f32_e32 v5, 0x41000000, v5
	v_dot4c_i32_i8 v9, v151, v162
	v_dot4c_i32_i8 v9, v152, v166
	v_dot4c_i32_i8 v9, v153, v163
	v_dot4c_i32_i8 v9, v154, v167
	v_dot4c_i32_i8 v9, v155, v164
	v_dot4c_i32_i8 v9, v156, v168
	v_cvt_f32_i32_e32 v9, v9
	v_fma_mix_f32 v9, v9, v2, -v5 op_sel_hi:[0,1,0]
	v_fmac_f32_e32 v68, v130, v9
	v_mov_b32_e32 v9, 0
	v_dot4c_i32_i8 v9, v141, v161
	v_dot4c_i32_i8 v9, v142, v165
	v_dot4c_i32_i8 v9, v143, v162
	v_dot4c_i32_i8 v9, v144, v166
	v_dot4c_i32_i8 v9, v145, v163
	v_dot4c_i32_i8 v9, v146, v167
	v_dot4c_i32_i8 v9, v147, v164
	v_dot4c_i32_i8 v9, v148, v168
	v_cvt_f32_i32_e32 v9, v9
	v_fma_mix_f32 v9, v9, v2, -v5 op_sel_hi:[0,1,0]
	v_fmac_f32_e32 v67, v137, v9
	v_mov_b32_e32 v9, 0
	v_dot4c_i32_i8 v9, v132, v161
	v_dot4c_i32_i8 v9, v133, v165
	;; [unrolled: 12-line block ×3, first 2 shown]
	v_dot4c_i32_i8 v9, v157, v162
	v_dot4c_i32_i8 v9, v6, v166
	;; [unrolled: 1-line block ×6, first 2 shown]
	ds_read_b128 v[161:164], v123 offset:3072
	ds_read_b128 v[165:168], v123 offset:3088
	v_cvt_f32_i32_e32 v9, v9
	v_fma_mix_f32 v2, v9, v2, -v5 op_sel_hi:[0,1,0]
	v_mov_b32_e32 v5, 0
	v_mov_b32_e32 v9, 0
	v_fmac_f32_e32 v60, v129, v2
	v_cvt_f32_f16_sdwa v2, v3 dst_sel:DWORD dst_unused:UNUSED_PAD src0_sel:WORD_1
	s_waitcnt lgkmcnt(1)
	v_dot4c_i32_i8 v5, v149, v161
	v_mul_f32_e32 v2, 0x41000000, v2
	s_waitcnt lgkmcnt(0)
	v_dot4c_i32_i8 v5, v150, v165
	v_dot4c_i32_i8 v5, v151, v162
	v_dot4c_i32_i8 v5, v152, v166
	v_dot4c_i32_i8 v5, v153, v163
	v_dot4c_i32_i8 v5, v154, v167
	v_dot4c_i32_i8 v5, v155, v164
	v_dot4c_i32_i8 v5, v156, v168
	v_cvt_f32_i32_e32 v5, v5
	v_fma_mix_f32 v5, v5, v3, -v2 op_sel_hi:[0,1,0]
	v_fmac_f32_e32 v55, v130, v5
	v_mov_b32_e32 v5, 0
	v_dot4c_i32_i8 v5, v141, v161
	v_dot4c_i32_i8 v5, v142, v165
	v_dot4c_i32_i8 v5, v143, v162
	v_dot4c_i32_i8 v5, v144, v166
	v_dot4c_i32_i8 v5, v145, v163
	v_dot4c_i32_i8 v5, v146, v167
	v_dot4c_i32_i8 v5, v147, v164
	v_dot4c_i32_i8 v5, v148, v168
	v_cvt_f32_i32_e32 v5, v5
	v_fma_mix_f32 v5, v5, v3, -v2 op_sel_hi:[0,1,0]
	v_fmac_f32_e32 v52, v137, v5
	v_mov_b32_e32 v5, 0
	v_dot4c_i32_i8 v5, v132, v161
	;; [unrolled: 12-line block ×3, first 2 shown]
	v_dot4c_i32_i8 v5, v158, v165
	v_dot4c_i32_i8 v5, v157, v162
	;; [unrolled: 1-line block ×7, first 2 shown]
	v_cvt_f32_i32_e32 v5, v5
	v_fma_mix_f32 v2, v5, v3, -v2 op_sel_hi:[0,1,0]
	v_fmac_f32_e32 v49, v129, v2
	ds_read_b128 v[161:164], v123 offset:4096
	ds_read_b128 v[165:168], v123 offset:4112
	ds_read2_b32 v[2:3], v122 offset0:128 offset1:160
	s_waitcnt lgkmcnt(2)
	v_dot4c_i32_i8 v9, v149, v161
	s_waitcnt lgkmcnt(0)
	v_cvt_f32_f16_sdwa v5, v2 dst_sel:DWORD dst_unused:UNUSED_PAD src0_sel:WORD_1
	v_dot4c_i32_i8 v9, v150, v165
	v_mul_f32_e32 v5, 0x41000000, v5
	v_dot4c_i32_i8 v9, v151, v162
	v_dot4c_i32_i8 v9, v152, v166
	v_dot4c_i32_i8 v9, v153, v163
	v_dot4c_i32_i8 v9, v154, v167
	v_dot4c_i32_i8 v9, v155, v164
	v_dot4c_i32_i8 v9, v156, v168
	v_cvt_f32_i32_e32 v9, v9
	v_fma_mix_f32 v9, v9, v2, -v5 op_sel_hi:[0,1,0]
	v_fmac_f32_e32 v48, v130, v9
	v_mov_b32_e32 v9, 0
	v_dot4c_i32_i8 v9, v141, v161
	v_dot4c_i32_i8 v9, v142, v165
	v_dot4c_i32_i8 v9, v143, v162
	v_dot4c_i32_i8 v9, v144, v166
	v_dot4c_i32_i8 v9, v145, v163
	v_dot4c_i32_i8 v9, v146, v167
	v_dot4c_i32_i8 v9, v147, v164
	v_dot4c_i32_i8 v9, v148, v168
	v_cvt_f32_i32_e32 v9, v9
	v_fma_mix_f32 v9, v9, v2, -v5 op_sel_hi:[0,1,0]
	v_fmac_f32_e32 v47, v137, v9
	v_mov_b32_e32 v9, 0
	v_dot4c_i32_i8 v9, v132, v161
	v_dot4c_i32_i8 v9, v133, v165
	;; [unrolled: 12-line block ×3, first 2 shown]
	v_dot4c_i32_i8 v9, v157, v162
	v_dot4c_i32_i8 v9, v6, v166
	;; [unrolled: 1-line block ×6, first 2 shown]
	ds_read_b128 v[161:164], v123 offset:5120
	ds_read_b128 v[165:168], v123 offset:5136
	v_cvt_f32_i32_e32 v9, v9
	v_fma_mix_f32 v2, v9, v2, -v5 op_sel_hi:[0,1,0]
	v_mov_b32_e32 v5, 0
	v_mov_b32_e32 v9, 0
	v_fmac_f32_e32 v45, v129, v2
	v_cvt_f32_f16_sdwa v2, v3 dst_sel:DWORD dst_unused:UNUSED_PAD src0_sel:WORD_1
	s_waitcnt lgkmcnt(1)
	v_dot4c_i32_i8 v5, v149, v161
	v_mul_f32_e32 v2, 0x41000000, v2
	s_waitcnt lgkmcnt(0)
	v_dot4c_i32_i8 v5, v150, v165
	v_dot4c_i32_i8 v5, v151, v162
	v_dot4c_i32_i8 v5, v152, v166
	v_dot4c_i32_i8 v5, v153, v163
	v_dot4c_i32_i8 v5, v154, v167
	v_dot4c_i32_i8 v5, v155, v164
	v_dot4c_i32_i8 v5, v156, v168
	v_cvt_f32_i32_e32 v5, v5
	v_fma_mix_f32 v5, v5, v3, -v2 op_sel_hi:[0,1,0]
	v_fmac_f32_e32 v43, v130, v5
	v_mov_b32_e32 v5, 0
	v_dot4c_i32_i8 v5, v141, v161
	v_dot4c_i32_i8 v5, v142, v165
	v_dot4c_i32_i8 v5, v143, v162
	v_dot4c_i32_i8 v5, v144, v166
	v_dot4c_i32_i8 v5, v145, v163
	v_dot4c_i32_i8 v5, v146, v167
	v_dot4c_i32_i8 v5, v147, v164
	v_dot4c_i32_i8 v5, v148, v168
	v_cvt_f32_i32_e32 v5, v5
	v_fma_mix_f32 v5, v5, v3, -v2 op_sel_hi:[0,1,0]
	v_fmac_f32_e32 v41, v137, v5
	v_mov_b32_e32 v5, 0
	v_dot4c_i32_i8 v5, v132, v161
	;; [unrolled: 12-line block ×3, first 2 shown]
	v_dot4c_i32_i8 v5, v158, v165
	v_dot4c_i32_i8 v5, v157, v162
	;; [unrolled: 1-line block ×7, first 2 shown]
	v_cvt_f32_i32_e32 v5, v5
	v_fma_mix_f32 v2, v5, v3, -v2 op_sel_hi:[0,1,0]
	v_fmac_f32_e32 v39, v129, v2
	ds_read_b128 v[161:164], v123 offset:6144
	ds_read_b128 v[165:168], v123 offset:6160
	ds_read2_b32 v[2:3], v122 offset0:192 offset1:224
	v_add_nc_u32_e32 v122, 4, v122
	s_waitcnt lgkmcnt(2)
	v_dot4c_i32_i8 v9, v149, v161
	s_waitcnt lgkmcnt(0)
	v_cvt_f32_f16_sdwa v5, v2 dst_sel:DWORD dst_unused:UNUSED_PAD src0_sel:WORD_1
	v_dot4c_i32_i8 v9, v150, v165
	v_mul_f32_e32 v5, 0x41000000, v5
	v_dot4c_i32_i8 v9, v151, v162
	v_dot4c_i32_i8 v9, v152, v166
	v_dot4c_i32_i8 v9, v153, v163
	v_dot4c_i32_i8 v9, v154, v167
	v_dot4c_i32_i8 v9, v155, v164
	v_dot4c_i32_i8 v9, v156, v168
	v_cvt_f32_i32_e32 v9, v9
	v_fma_mix_f32 v9, v9, v2, -v5 op_sel_hi:[0,1,0]
	v_fmac_f32_e32 v38, v130, v9
	v_mov_b32_e32 v9, 0
	v_dot4c_i32_i8 v9, v141, v161
	v_dot4c_i32_i8 v9, v142, v165
	v_dot4c_i32_i8 v9, v143, v162
	v_dot4c_i32_i8 v9, v144, v166
	v_dot4c_i32_i8 v9, v145, v163
	v_dot4c_i32_i8 v9, v146, v167
	v_dot4c_i32_i8 v9, v147, v164
	v_dot4c_i32_i8 v9, v148, v168
	v_cvt_f32_i32_e32 v9, v9
	v_fma_mix_f32 v9, v9, v2, -v5 op_sel_hi:[0,1,0]
	v_fmac_f32_e32 v37, v137, v9
	v_mov_b32_e32 v9, 0
	v_dot4c_i32_i8 v9, v132, v161
	v_dot4c_i32_i8 v9, v133, v165
	;; [unrolled: 12-line block ×3, first 2 shown]
	v_dot4c_i32_i8 v9, v157, v162
	v_dot4c_i32_i8 v9, v6, v166
	;; [unrolled: 1-line block ×6, first 2 shown]
	ds_read_b128 v[161:164], v123 offset:7168
	ds_read_b128 v[165:168], v123 offset:7184
	v_add_nc_u32_e32 v123, 32, v123
	v_cvt_f32_i32_e32 v9, v9
	v_fma_mix_f32 v2, v9, v2, -v5 op_sel_hi:[0,1,0]
	v_mov_b32_e32 v5, 0
	v_fmac_f32_e32 v35, v129, v2
	v_cvt_f32_f16_sdwa v2, v3 dst_sel:DWORD dst_unused:UNUSED_PAD src0_sel:WORD_1
	s_waitcnt lgkmcnt(1)
	v_dot4c_i32_i8 v5, v149, v161
	v_mul_f32_e32 v2, 0x41000000, v2
	s_waitcnt lgkmcnt(0)
	v_dot4c_i32_i8 v5, v150, v165
	v_dot4c_i32_i8 v5, v151, v162
	v_dot4c_i32_i8 v5, v152, v166
	v_dot4c_i32_i8 v5, v153, v163
	v_dot4c_i32_i8 v5, v154, v167
	v_dot4c_i32_i8 v5, v155, v164
	v_dot4c_i32_i8 v5, v156, v168
	v_cvt_f32_i32_e32 v5, v5
	v_fma_mix_f32 v5, v5, v3, -v2 op_sel_hi:[0,1,0]
	v_fmac_f32_e32 v34, v130, v5
	v_mov_b32_e32 v5, 0
	v_dot4c_i32_i8 v5, v141, v161
	v_dot4c_i32_i8 v5, v142, v165
	v_dot4c_i32_i8 v5, v143, v162
	v_dot4c_i32_i8 v5, v144, v166
	v_dot4c_i32_i8 v5, v145, v163
	v_dot4c_i32_i8 v5, v146, v167
	v_dot4c_i32_i8 v5, v147, v164
	v_dot4c_i32_i8 v5, v148, v168
	v_cvt_f32_i32_e32 v5, v5
	v_fma_mix_f32 v5, v5, v3, -v2 op_sel_hi:[0,1,0]
	v_fmac_f32_e32 v33, v137, v5
	v_mov_b32_e32 v5, 0
	v_dot4c_i32_i8 v5, v132, v161
	;; [unrolled: 12-line block ×3, first 2 shown]
	v_dot4c_i32_i8 v5, v158, v165
	v_dot4c_i32_i8 v5, v157, v162
	;; [unrolled: 1-line block ×7, first 2 shown]
	v_cvt_f32_i32_e32 v4, v5
	v_fma_mix_f32 v2, v4, v3, -v2 op_sel_hi:[0,1,0]
	v_fmac_f32_e32 v31, v129, v2
	s_cbranch_scc1 .LBB118_11
; %bb.12:                               ;   in Loop: Header=BB118_6 Depth=1
	s_barrier
	buffer_gl0_inv
	s_branch .LBB118_5
.LBB118_13:
	v_mov_b32_e32 v2, v42
.LBB118_14:
	s_mov_b32 s0, exec_lo
	v_cmpx_gt_u32_e64 s10, v2
	s_cbranch_execz .LBB118_65
; %bb.15:
	v_add_nc_u32_e32 v0, s6, v0
	v_mul_lo_u32 v5, v2, s14
	v_cmp_gt_u32_e32 vcc_lo, s14, v0
	s_and_saveexec_b32 s1, vcc_lo
	s_cbranch_execz .LBB118_17
; %bb.16:
	v_add_nc_u32_e32 v2, v0, v5
	v_mov_b32_e32 v3, 0
	v_lshlrev_b64 v[2:3], 2, v[2:3]
	s_waitcnt lgkmcnt(0)
	v_add_co_u32 v2, s0, s12, v2
	v_add_co_ci_u32_e64 v3, null, s13, v3, s0
	global_store_dword v[2:3], v44, off
.LBB118_17:
	s_or_b32 exec_lo, exec_lo, s1
	v_add_nc_u32_e32 v2, 32, v0
	v_cmp_gt_u32_e64 s0, s14, v2
	s_and_saveexec_b32 s2, s0
	s_cbranch_execz .LBB118_19
; %bb.18:
	v_add_nc_u32_e32 v3, v2, v5
	v_mov_b32_e32 v4, 0
	v_lshlrev_b64 v[3:4], 2, v[3:4]
	s_waitcnt lgkmcnt(0)
	v_add_co_u32 v3, s1, s12, v3
	v_add_co_ci_u32_e64 v4, null, s13, v4, s1
	global_store_dword v[3:4], v84, off
.LBB118_19:
	s_or_b32 exec_lo, exec_lo, s2
	v_add_nc_u32_e32 v3, 64, v0
	v_cmp_gt_u32_e64 s1, s14, v3
	s_and_saveexec_b32 s3, s1
	;; [unrolled: 14-line block ×3, first 2 shown]
	s_cbranch_execz .LBB118_23
; %bb.22:
	v_add_nc_u32_e32 v5, v4, v5
	v_mov_b32_e32 v6, 0
	v_lshlrev_b64 v[5:6], 2, v[5:6]
	s_waitcnt lgkmcnt(0)
	v_add_co_u32 v5, s3, s12, v5
	v_add_co_ci_u32_e64 v6, null, s13, v6, s3
	global_store_dword v[5:6], v82, off
.LBB118_23:
	s_or_b32 exec_lo, exec_lo, s4
	v_add3_u32 v5, v1, s7, 8
	v_cmp_gt_u32_e64 s3, s10, v5
	s_and_b32 exec_lo, exec_lo, s3
	s_cbranch_execz .LBB118_65
; %bb.24:
	v_mul_lo_u32 v5, v5, s14
	s_and_saveexec_b32 s4, vcc_lo
	s_cbranch_execnz .LBB118_66
; %bb.25:
	s_or_b32 exec_lo, exec_lo, s4
	s_and_saveexec_b32 s4, s0
	s_cbranch_execnz .LBB118_67
.LBB118_26:
	s_or_b32 exec_lo, exec_lo, s4
	s_and_saveexec_b32 s4, s1
	s_cbranch_execnz .LBB118_68
.LBB118_27:
	s_or_b32 exec_lo, exec_lo, s4
	s_and_saveexec_b32 s4, s2
	s_cbranch_execz .LBB118_29
.LBB118_28:
	v_add_nc_u32_e32 v5, v5, v4
	v_mov_b32_e32 v6, 0
	v_lshlrev_b64 v[5:6], 2, v[5:6]
	s_waitcnt lgkmcnt(0)
	v_add_co_u32 v5, s3, s12, v5
	v_add_co_ci_u32_e64 v6, null, s13, v6, s3
	global_store_dword v[5:6], v74, off
.LBB118_29:
	s_or_b32 exec_lo, exec_lo, s4
	v_add3_u32 v5, v1, s7, 16
	v_cmp_gt_u32_e64 s3, s10, v5
	s_and_b32 exec_lo, exec_lo, s3
	s_cbranch_execz .LBB118_65
; %bb.30:
	v_mul_lo_u32 v5, v5, s14
	s_and_saveexec_b32 s4, vcc_lo
	s_cbranch_execnz .LBB118_69
; %bb.31:
	s_or_b32 exec_lo, exec_lo, s4
	s_and_saveexec_b32 s4, s0
	s_cbranch_execnz .LBB118_70
.LBB118_32:
	s_or_b32 exec_lo, exec_lo, s4
	s_and_saveexec_b32 s4, s1
	s_cbranch_execnz .LBB118_71
.LBB118_33:
	s_or_b32 exec_lo, exec_lo, s4
	s_and_saveexec_b32 s4, s2
	s_cbranch_execz .LBB118_35
.LBB118_34:
	v_add_nc_u32_e32 v5, v5, v4
	v_mov_b32_e32 v6, 0
	v_lshlrev_b64 v[5:6], 2, v[5:6]
	s_waitcnt lgkmcnt(0)
	v_add_co_u32 v5, s3, s12, v5
	v_add_co_ci_u32_e64 v6, null, s13, v6, s3
	global_store_dword v[5:6], v60, off
.LBB118_35:
	s_or_b32 exec_lo, exec_lo, s4
	v_add3_u32 v5, v1, s7, 24
	v_cmp_gt_u32_e64 s3, s10, v5
	s_and_b32 exec_lo, exec_lo, s3
	s_cbranch_execz .LBB118_65
; %bb.36:
	v_mul_lo_u32 v5, v5, s14
	s_and_saveexec_b32 s4, vcc_lo
	s_cbranch_execnz .LBB118_72
; %bb.37:
	s_or_b32 exec_lo, exec_lo, s4
	s_and_saveexec_b32 s4, s0
	s_cbranch_execnz .LBB118_73
.LBB118_38:
	s_or_b32 exec_lo, exec_lo, s4
	s_and_saveexec_b32 s4, s1
	s_cbranch_execnz .LBB118_74
.LBB118_39:
	s_or_b32 exec_lo, exec_lo, s4
	s_and_saveexec_b32 s4, s2
	s_cbranch_execz .LBB118_41
.LBB118_40:
	v_add_nc_u32_e32 v5, v5, v4
	v_mov_b32_e32 v6, 0
	v_lshlrev_b64 v[5:6], 2, v[5:6]
	s_waitcnt lgkmcnt(0)
	v_add_co_u32 v5, s3, s12, v5
	v_add_co_ci_u32_e64 v6, null, s13, v6, s3
	global_store_dword v[5:6], v49, off
.LBB118_41:
	s_or_b32 exec_lo, exec_lo, s4
	v_add3_u32 v5, v1, s7, 32
	v_cmp_gt_u32_e64 s3, s10, v5
	s_and_b32 exec_lo, exec_lo, s3
	s_cbranch_execz .LBB118_65
; %bb.42:
	v_mul_lo_u32 v5, v5, s14
	s_and_saveexec_b32 s4, vcc_lo
	s_cbranch_execnz .LBB118_75
; %bb.43:
	s_or_b32 exec_lo, exec_lo, s4
	s_and_saveexec_b32 s4, s0
	s_cbranch_execnz .LBB118_76
.LBB118_44:
	s_or_b32 exec_lo, exec_lo, s4
	s_and_saveexec_b32 s4, s1
	s_cbranch_execnz .LBB118_77
.LBB118_45:
	s_or_b32 exec_lo, exec_lo, s4
	s_and_saveexec_b32 s4, s2
	s_cbranch_execz .LBB118_47
.LBB118_46:
	v_add_nc_u32_e32 v5, v5, v4
	v_mov_b32_e32 v6, 0
	v_lshlrev_b64 v[5:6], 2, v[5:6]
	s_waitcnt lgkmcnt(0)
	v_add_co_u32 v5, s3, s12, v5
	v_add_co_ci_u32_e64 v6, null, s13, v6, s3
	global_store_dword v[5:6], v45, off
.LBB118_47:
	s_or_b32 exec_lo, exec_lo, s4
	v_add3_u32 v5, v1, s7, 40
	v_cmp_gt_u32_e64 s3, s10, v5
	s_and_b32 exec_lo, exec_lo, s3
	s_cbranch_execz .LBB118_65
; %bb.48:
	v_mul_lo_u32 v5, v5, s14
	s_and_saveexec_b32 s4, vcc_lo
	s_cbranch_execnz .LBB118_78
; %bb.49:
	s_or_b32 exec_lo, exec_lo, s4
	s_and_saveexec_b32 s4, s0
	s_cbranch_execnz .LBB118_79
.LBB118_50:
	s_or_b32 exec_lo, exec_lo, s4
	s_and_saveexec_b32 s4, s1
	s_cbranch_execnz .LBB118_80
.LBB118_51:
	s_or_b32 exec_lo, exec_lo, s4
	s_and_saveexec_b32 s4, s2
	s_cbranch_execz .LBB118_53
.LBB118_52:
	v_add_nc_u32_e32 v5, v5, v4
	v_mov_b32_e32 v6, 0
	v_lshlrev_b64 v[5:6], 2, v[5:6]
	s_waitcnt lgkmcnt(0)
	v_add_co_u32 v5, s3, s12, v5
	v_add_co_ci_u32_e64 v6, null, s13, v6, s3
	global_store_dword v[5:6], v39, off
.LBB118_53:
	s_or_b32 exec_lo, exec_lo, s4
	v_add3_u32 v5, v1, s7, 48
	v_cmp_gt_u32_e64 s3, s10, v5
	s_and_b32 exec_lo, exec_lo, s3
	s_cbranch_execz .LBB118_65
; %bb.54:
	v_mul_lo_u32 v5, v5, s14
	s_and_saveexec_b32 s4, vcc_lo
	s_cbranch_execnz .LBB118_81
; %bb.55:
	s_or_b32 exec_lo, exec_lo, s4
	s_and_saveexec_b32 s4, s0
	s_cbranch_execnz .LBB118_82
.LBB118_56:
	s_or_b32 exec_lo, exec_lo, s4
	s_and_saveexec_b32 s4, s1
	s_cbranch_execnz .LBB118_83
.LBB118_57:
	s_or_b32 exec_lo, exec_lo, s4
	s_and_saveexec_b32 s4, s2
	s_cbranch_execz .LBB118_59
.LBB118_58:
	v_add_nc_u32_e32 v5, v5, v4
	v_mov_b32_e32 v6, 0
	v_lshlrev_b64 v[5:6], 2, v[5:6]
	s_waitcnt lgkmcnt(0)
	v_add_co_u32 v5, s3, s12, v5
	v_add_co_ci_u32_e64 v6, null, s13, v6, s3
	global_store_dword v[5:6], v35, off
.LBB118_59:
	s_or_b32 exec_lo, exec_lo, s4
	v_add3_u32 v1, v1, s7, 56
	v_cmp_gt_u32_e64 s3, s10, v1
	s_and_b32 exec_lo, exec_lo, s3
	s_cbranch_execz .LBB118_65
; %bb.60:
	v_mul_lo_u32 v1, v1, s14
	s_and_saveexec_b32 s3, vcc_lo
	s_cbranch_execnz .LBB118_84
; %bb.61:
	s_or_b32 exec_lo, exec_lo, s3
	s_and_saveexec_b32 s3, s0
	s_cbranch_execnz .LBB118_85
.LBB118_62:
	s_or_b32 exec_lo, exec_lo, s3
	s_and_saveexec_b32 s0, s1
	s_cbranch_execnz .LBB118_86
.LBB118_63:
	s_or_b32 exec_lo, exec_lo, s0
	s_and_b32 exec_lo, exec_lo, s2
	s_cbranch_execz .LBB118_65
.LBB118_64:
	v_add_nc_u32_e32 v0, v1, v4
	v_mov_b32_e32 v1, 0
	v_lshlrev_b64 v[0:1], 2, v[0:1]
	s_waitcnt lgkmcnt(0)
	v_add_co_u32 v0, vcc_lo, s12, v0
	v_add_co_ci_u32_e64 v1, null, s13, v1, vcc_lo
	global_store_dword v[0:1], v31, off
.LBB118_65:
	s_endpgm
.LBB118_66:
	v_add_nc_u32_e32 v6, v5, v0
	v_mov_b32_e32 v7, 0
	v_lshlrev_b64 v[6:7], 2, v[6:7]
	s_waitcnt lgkmcnt(0)
	v_add_co_u32 v6, s3, s12, v6
	v_add_co_ci_u32_e64 v7, null, s13, v7, s3
	global_store_dword v[6:7], v81, off
	s_or_b32 exec_lo, exec_lo, s4
	s_and_saveexec_b32 s4, s0
	s_cbranch_execz .LBB118_26
.LBB118_67:
	v_add_nc_u32_e32 v6, v5, v2
	v_mov_b32_e32 v7, 0
	v_lshlrev_b64 v[6:7], 2, v[6:7]
	s_waitcnt lgkmcnt(0)
	v_add_co_u32 v6, s3, s12, v6
	v_add_co_ci_u32_e64 v7, null, s13, v7, s3
	global_store_dword v[6:7], v80, off
	s_or_b32 exec_lo, exec_lo, s4
	s_and_saveexec_b32 s4, s1
	s_cbranch_execz .LBB118_27
.LBB118_68:
	v_add_nc_u32_e32 v6, v5, v3
	v_mov_b32_e32 v7, 0
	v_lshlrev_b64 v[6:7], 2, v[6:7]
	s_waitcnt lgkmcnt(0)
	v_add_co_u32 v6, s3, s12, v6
	v_add_co_ci_u32_e64 v7, null, s13, v7, s3
	global_store_dword v[6:7], v78, off
	s_or_b32 exec_lo, exec_lo, s4
	s_and_saveexec_b32 s4, s2
	s_cbranch_execnz .LBB118_28
	s_branch .LBB118_29
.LBB118_69:
	v_add_nc_u32_e32 v6, v5, v0
	v_mov_b32_e32 v7, 0
	v_lshlrev_b64 v[6:7], 2, v[6:7]
	s_waitcnt lgkmcnt(0)
	v_add_co_u32 v6, s3, s12, v6
	v_add_co_ci_u32_e64 v7, null, s13, v7, s3
	global_store_dword v[6:7], v68, off
	s_or_b32 exec_lo, exec_lo, s4
	s_and_saveexec_b32 s4, s0
	s_cbranch_execz .LBB118_32
.LBB118_70:
	v_add_nc_u32_e32 v6, v5, v2
	v_mov_b32_e32 v7, 0
	v_lshlrev_b64 v[6:7], 2, v[6:7]
	s_waitcnt lgkmcnt(0)
	v_add_co_u32 v6, s3, s12, v6
	v_add_co_ci_u32_e64 v7, null, s13, v7, s3
	global_store_dword v[6:7], v67, off
	s_or_b32 exec_lo, exec_lo, s4
	s_and_saveexec_b32 s4, s1
	s_cbranch_execz .LBB118_33
.LBB118_71:
	v_add_nc_u32_e32 v6, v5, v3
	v_mov_b32_e32 v7, 0
	v_lshlrev_b64 v[6:7], 2, v[6:7]
	s_waitcnt lgkmcnt(0)
	v_add_co_u32 v6, s3, s12, v6
	v_add_co_ci_u32_e64 v7, null, s13, v7, s3
	global_store_dword v[6:7], v64, off
	s_or_b32 exec_lo, exec_lo, s4
	s_and_saveexec_b32 s4, s2
	s_cbranch_execnz .LBB118_34
	s_branch .LBB118_35
.LBB118_72:
	v_add_nc_u32_e32 v6, v5, v0
	v_mov_b32_e32 v7, 0
	v_lshlrev_b64 v[6:7], 2, v[6:7]
	s_waitcnt lgkmcnt(0)
	v_add_co_u32 v6, s3, s12, v6
	v_add_co_ci_u32_e64 v7, null, s13, v7, s3
	global_store_dword v[6:7], v55, off
	s_or_b32 exec_lo, exec_lo, s4
	s_and_saveexec_b32 s4, s0
	s_cbranch_execz .LBB118_38
.LBB118_73:
	v_add_nc_u32_e32 v6, v5, v2
	v_mov_b32_e32 v7, 0
	v_lshlrev_b64 v[6:7], 2, v[6:7]
	s_waitcnt lgkmcnt(0)
	v_add_co_u32 v6, s3, s12, v6
	v_add_co_ci_u32_e64 v7, null, s13, v7, s3
	global_store_dword v[6:7], v52, off
	s_or_b32 exec_lo, exec_lo, s4
	s_and_saveexec_b32 s4, s1
	s_cbranch_execz .LBB118_39
.LBB118_74:
	v_add_nc_u32_e32 v6, v5, v3
	v_mov_b32_e32 v7, 0
	v_lshlrev_b64 v[6:7], 2, v[6:7]
	s_waitcnt lgkmcnt(0)
	v_add_co_u32 v6, s3, s12, v6
	v_add_co_ci_u32_e64 v7, null, s13, v7, s3
	global_store_dword v[6:7], v51, off
	s_or_b32 exec_lo, exec_lo, s4
	s_and_saveexec_b32 s4, s2
	s_cbranch_execnz .LBB118_40
	s_branch .LBB118_41
.LBB118_75:
	v_add_nc_u32_e32 v6, v5, v0
	v_mov_b32_e32 v7, 0
	v_lshlrev_b64 v[6:7], 2, v[6:7]
	s_waitcnt lgkmcnt(0)
	v_add_co_u32 v6, s3, s12, v6
	v_add_co_ci_u32_e64 v7, null, s13, v7, s3
	global_store_dword v[6:7], v48, off
	s_or_b32 exec_lo, exec_lo, s4
	s_and_saveexec_b32 s4, s0
	s_cbranch_execz .LBB118_44
.LBB118_76:
	v_add_nc_u32_e32 v6, v5, v2
	v_mov_b32_e32 v7, 0
	v_lshlrev_b64 v[6:7], 2, v[6:7]
	s_waitcnt lgkmcnt(0)
	v_add_co_u32 v6, s3, s12, v6
	v_add_co_ci_u32_e64 v7, null, s13, v7, s3
	global_store_dword v[6:7], v47, off
	s_or_b32 exec_lo, exec_lo, s4
	s_and_saveexec_b32 s4, s1
	s_cbranch_execz .LBB118_45
.LBB118_77:
	v_add_nc_u32_e32 v6, v5, v3
	v_mov_b32_e32 v7, 0
	v_lshlrev_b64 v[6:7], 2, v[6:7]
	s_waitcnt lgkmcnt(0)
	v_add_co_u32 v6, s3, s12, v6
	v_add_co_ci_u32_e64 v7, null, s13, v7, s3
	global_store_dword v[6:7], v46, off
	s_or_b32 exec_lo, exec_lo, s4
	s_and_saveexec_b32 s4, s2
	s_cbranch_execnz .LBB118_46
	s_branch .LBB118_47
.LBB118_78:
	v_add_nc_u32_e32 v6, v5, v0
	v_mov_b32_e32 v7, 0
	v_lshlrev_b64 v[6:7], 2, v[6:7]
	s_waitcnt lgkmcnt(0)
	v_add_co_u32 v6, s3, s12, v6
	v_add_co_ci_u32_e64 v7, null, s13, v7, s3
	global_store_dword v[6:7], v43, off
	s_or_b32 exec_lo, exec_lo, s4
	s_and_saveexec_b32 s4, s0
	s_cbranch_execz .LBB118_50
.LBB118_79:
	v_add_nc_u32_e32 v6, v5, v2
	v_mov_b32_e32 v7, 0
	v_lshlrev_b64 v[6:7], 2, v[6:7]
	s_waitcnt lgkmcnt(0)
	v_add_co_u32 v6, s3, s12, v6
	v_add_co_ci_u32_e64 v7, null, s13, v7, s3
	global_store_dword v[6:7], v41, off
	s_or_b32 exec_lo, exec_lo, s4
	s_and_saveexec_b32 s4, s1
	s_cbranch_execz .LBB118_51
.LBB118_80:
	v_add_nc_u32_e32 v6, v5, v3
	v_mov_b32_e32 v7, 0
	v_lshlrev_b64 v[6:7], 2, v[6:7]
	s_waitcnt lgkmcnt(0)
	v_add_co_u32 v6, s3, s12, v6
	v_add_co_ci_u32_e64 v7, null, s13, v7, s3
	global_store_dword v[6:7], v40, off
	s_or_b32 exec_lo, exec_lo, s4
	s_and_saveexec_b32 s4, s2
	s_cbranch_execnz .LBB118_52
	s_branch .LBB118_53
.LBB118_81:
	v_add_nc_u32_e32 v6, v5, v0
	v_mov_b32_e32 v7, 0
	v_lshlrev_b64 v[6:7], 2, v[6:7]
	s_waitcnt lgkmcnt(0)
	v_add_co_u32 v6, s3, s12, v6
	v_add_co_ci_u32_e64 v7, null, s13, v7, s3
	global_store_dword v[6:7], v38, off
	s_or_b32 exec_lo, exec_lo, s4
	s_and_saveexec_b32 s4, s0
	s_cbranch_execz .LBB118_56
.LBB118_82:
	v_add_nc_u32_e32 v6, v5, v2
	v_mov_b32_e32 v7, 0
	v_lshlrev_b64 v[6:7], 2, v[6:7]
	s_waitcnt lgkmcnt(0)
	v_add_co_u32 v6, s3, s12, v6
	v_add_co_ci_u32_e64 v7, null, s13, v7, s3
	global_store_dword v[6:7], v37, off
	s_or_b32 exec_lo, exec_lo, s4
	s_and_saveexec_b32 s4, s1
	s_cbranch_execz .LBB118_57
.LBB118_83:
	v_add_nc_u32_e32 v6, v5, v3
	v_mov_b32_e32 v7, 0
	v_lshlrev_b64 v[6:7], 2, v[6:7]
	s_waitcnt lgkmcnt(0)
	v_add_co_u32 v6, s3, s12, v6
	v_add_co_ci_u32_e64 v7, null, s13, v7, s3
	global_store_dword v[6:7], v36, off
	s_or_b32 exec_lo, exec_lo, s4
	s_and_saveexec_b32 s4, s2
	s_cbranch_execnz .LBB118_58
	s_branch .LBB118_59
.LBB118_84:
	v_add_nc_u32_e32 v5, v1, v0
	v_mov_b32_e32 v6, 0
	v_lshlrev_b64 v[5:6], 2, v[5:6]
	s_waitcnt lgkmcnt(0)
	v_add_co_u32 v5, vcc_lo, s12, v5
	v_add_co_ci_u32_e64 v6, null, s13, v6, vcc_lo
	global_store_dword v[5:6], v34, off
	s_or_b32 exec_lo, exec_lo, s3
	s_and_saveexec_b32 s3, s0
	s_cbranch_execz .LBB118_62
.LBB118_85:
	v_add_nc_u32_e32 v5, v1, v2
	v_mov_b32_e32 v6, 0
	v_lshlrev_b64 v[5:6], 2, v[5:6]
	s_waitcnt lgkmcnt(0)
	v_add_co_u32 v5, vcc_lo, s12, v5
	v_add_co_ci_u32_e64 v6, null, s13, v6, vcc_lo
	global_store_dword v[5:6], v33, off
	s_or_b32 exec_lo, exec_lo, s3
	s_and_saveexec_b32 s0, s1
	s_cbranch_execz .LBB118_63
.LBB118_86:
	v_add_nc_u32_e32 v2, v1, v3
	v_mov_b32_e32 v3, 0
	v_lshlrev_b64 v[2:3], 2, v[2:3]
	s_waitcnt lgkmcnt(0)
	v_add_co_u32 v2, vcc_lo, s12, v2
	v_add_co_ci_u32_e64 v3, null, s13, v3, vcc_lo
	global_store_dword v[2:3], v32, off
	s_or_b32 exec_lo, exec_lo, s0
	s_and_b32 exec_lo, exec_lo, s2
	s_cbranch_execnz .LBB118_64
	s_branch .LBB118_65
	.section	.rodata,"a",@progbits
	.p2align	6, 0x0
	.amdhsa_kernel _ZL12mul_mat_q4_0IfLb1EEvPKvS1_PT_iiiii
		.amdhsa_group_segment_fixed_size 30336
		.amdhsa_private_segment_fixed_size 0
		.amdhsa_kernarg_size 44
		.amdhsa_user_sgpr_count 6
		.amdhsa_user_sgpr_private_segment_buffer 1
		.amdhsa_user_sgpr_dispatch_ptr 0
		.amdhsa_user_sgpr_queue_ptr 0
		.amdhsa_user_sgpr_kernarg_segment_ptr 1
		.amdhsa_user_sgpr_dispatch_id 0
		.amdhsa_user_sgpr_flat_scratch_init 0
		.amdhsa_user_sgpr_private_segment_size 0
		.amdhsa_wavefront_size32 1
		.amdhsa_uses_dynamic_stack 0
		.amdhsa_system_sgpr_private_segment_wavefront_offset 0
		.amdhsa_system_sgpr_workgroup_id_x 1
		.amdhsa_system_sgpr_workgroup_id_y 1
		.amdhsa_system_sgpr_workgroup_id_z 0
		.amdhsa_system_sgpr_workgroup_info 0
		.amdhsa_system_vgpr_workitem_id 1
		.amdhsa_next_free_vgpr 169
		.amdhsa_next_free_sgpr 15
		.amdhsa_reserve_vcc 1
		.amdhsa_reserve_flat_scratch 0
		.amdhsa_float_round_mode_32 0
		.amdhsa_float_round_mode_16_64 0
		.amdhsa_float_denorm_mode_32 3
		.amdhsa_float_denorm_mode_16_64 3
		.amdhsa_dx10_clamp 1
		.amdhsa_ieee_mode 1
		.amdhsa_fp16_overflow 0
		.amdhsa_workgroup_processor_mode 1
		.amdhsa_memory_ordered 1
		.amdhsa_forward_progress 1
		.amdhsa_shared_vgpr_count 0
		.amdhsa_exception_fp_ieee_invalid_op 0
		.amdhsa_exception_fp_denorm_src 0
		.amdhsa_exception_fp_ieee_div_zero 0
		.amdhsa_exception_fp_ieee_overflow 0
		.amdhsa_exception_fp_ieee_underflow 0
		.amdhsa_exception_fp_ieee_inexact 0
		.amdhsa_exception_int_div_zero 0
	.end_amdhsa_kernel
	.section	.text._ZL12mul_mat_q4_0IfLb1EEvPKvS1_PT_iiiii,"axG",@progbits,_ZL12mul_mat_q4_0IfLb1EEvPKvS1_PT_iiiii,comdat
.Lfunc_end118:
	.size	_ZL12mul_mat_q4_0IfLb1EEvPKvS1_PT_iiiii, .Lfunc_end118-_ZL12mul_mat_q4_0IfLb1EEvPKvS1_PT_iiiii
                                        ; -- End function
	.set _ZL12mul_mat_q4_0IfLb1EEvPKvS1_PT_iiiii.num_vgpr, 169
	.set _ZL12mul_mat_q4_0IfLb1EEvPKvS1_PT_iiiii.num_agpr, 0
	.set _ZL12mul_mat_q4_0IfLb1EEvPKvS1_PT_iiiii.numbered_sgpr, 15
	.set _ZL12mul_mat_q4_0IfLb1EEvPKvS1_PT_iiiii.num_named_barrier, 0
	.set _ZL12mul_mat_q4_0IfLb1EEvPKvS1_PT_iiiii.private_seg_size, 0
	.set _ZL12mul_mat_q4_0IfLb1EEvPKvS1_PT_iiiii.uses_vcc, 1
	.set _ZL12mul_mat_q4_0IfLb1EEvPKvS1_PT_iiiii.uses_flat_scratch, 0
	.set _ZL12mul_mat_q4_0IfLb1EEvPKvS1_PT_iiiii.has_dyn_sized_stack, 0
	.set _ZL12mul_mat_q4_0IfLb1EEvPKvS1_PT_iiiii.has_recursion, 0
	.set _ZL12mul_mat_q4_0IfLb1EEvPKvS1_PT_iiiii.has_indirect_call, 0
	.section	.AMDGPU.csdata,"",@progbits
; Kernel info:
; codeLenInByte = 10772
; TotalNumSgprs: 17
; NumVgprs: 169
; ScratchSize: 0
; MemoryBound: 0
; FloatMode: 240
; IeeeMode: 1
; LDSByteSize: 30336 bytes/workgroup (compile time only)
; SGPRBlocks: 0
; VGPRBlocks: 21
; NumSGPRsForWavesPerEU: 17
; NumVGPRsForWavesPerEU: 169
; Occupancy: 5
; WaveLimiterHint : 0
; COMPUTE_PGM_RSRC2:SCRATCH_EN: 0
; COMPUTE_PGM_RSRC2:USER_SGPR: 6
; COMPUTE_PGM_RSRC2:TRAP_HANDLER: 0
; COMPUTE_PGM_RSRC2:TGID_X_EN: 1
; COMPUTE_PGM_RSRC2:TGID_Y_EN: 1
; COMPUTE_PGM_RSRC2:TGID_Z_EN: 0
; COMPUTE_PGM_RSRC2:TIDIG_COMP_CNT: 1
	.section	.text._ZL12mul_mat_q4_1IfLb0EEvPKvS1_PT_iiiii,"axG",@progbits,_ZL12mul_mat_q4_1IfLb0EEvPKvS1_PT_iiiii,comdat
	.globl	_ZL12mul_mat_q4_1IfLb0EEvPKvS1_PT_iiiii ; -- Begin function _ZL12mul_mat_q4_1IfLb0EEvPKvS1_PT_iiiii
	.p2align	8
	.type	_ZL12mul_mat_q4_1IfLb0EEvPKvS1_PT_iiiii,@function
_ZL12mul_mat_q4_1IfLb0EEvPKvS1_PT_iiiii: ; @_ZL12mul_mat_q4_1IfLb0EEvPKvS1_PT_iiiii
; %bb.0:
	s_clause 0x1
	s_load_dword s14, s[4:5], 0x18
	s_load_dwordx4 s[8:11], s[4:5], 0x20
	s_lshl_b32 s7, s7, 6
	v_add_nc_u32_e32 v28, s7, v1
	s_waitcnt lgkmcnt(0)
	s_cmp_gt_i32 s14, 31
	s_cbranch_scc1 .LBB119_2
; %bb.1:
	v_add_nc_u32_e32 v2, s7, v1
	s_mov_b32 s0, 0
	s_branch .LBB119_3
.LBB119_2:
	s_mov_b32 s0, -1
                                        ; implicit-def: $vgpr2
.LBB119_3:
	s_load_dwordx2 s[12:13], s[4:5], 0x10
	v_mov_b32_e32 v15, 0
	v_mov_b32_e32 v19, 0
	;; [unrolled: 1-line block ×32, first 2 shown]
	s_andn2_b32 vcc_lo, exec_lo, s0
	s_lshl_b32 s6, s6, 7
	s_cbranch_vccnz .LBB119_14
; %bb.4:
	s_load_dwordx4 s[0:3], s[4:5], 0x0
	s_ashr_i32 s4, s14, 31
	s_ashr_i32 s5, s9, 31
	s_lshr_b32 s4, s4, 27
	s_lshr_b32 s5, s5, 27
	s_add_i32 s11, s14, s4
	s_add_i32 s5, s9, s5
	s_ashr_i32 s4, s11, 5
	s_ashr_i32 s14, s5, 5
	s_mul_i32 s9, s4, s6
	v_add_nc_u32_e32 v12, 40, v28
	s_mul_i32 s5, s9, 20
	s_mul_hi_i32 s9, s9, 20
	v_add_nc_u32_e32 v14, 48, v28
	v_cvt_f64_u32_e32 v[2:3], v28
	v_add_nc_u32_e32 v16, 56, v28
	v_cvt_f64_u32_e32 v[12:13], v12
	v_mul_lo_u32 v44, s4, v1
	v_cvt_f64_u32_e32 v[14:15], v14
	v_add_nc_u32_e32 v4, 8, v28
	s_waitcnt lgkmcnt(0)
	s_add_u32 s5, s0, s5
	s_addc_u32 s9, s1, s9
	s_add_i32 s1, s8, -1
	v_add_nc_u32_e32 v6, 16, v28
	v_cvt_f64_i32_e32 v[18:19], s1
	v_add_nc_u32_e32 v8, 24, v28
	v_add_nc_u32_e32 v10, 32, v28
	v_cvt_f64_u32_e32 v[16:17], v16
	s_lshl_b32 s0, s4, 3
	v_cvt_f64_u32_e32 v[4:5], v4
	v_add_nc_u32_e32 v46, s0, v44
	v_cvt_f64_u32_e32 v[6:7], v6
	v_cvt_f64_u32_e32 v[8:9], v8
	;; [unrolled: 1-line block ×3, first 2 shown]
	v_lshrrev_b32_e32 v36, 2, v0
	v_add_nc_u32_e32 v48, s0, v46
	v_lshrrev_b32_e32 v41, 3, v0
	v_lshlrev_b32_e32 v20, 2, v0
	v_and_b32_e32 v40, 7, v0
	v_lshl_add_u32 v23, v1, 3, v36
	v_add_nc_u32_e32 v52, s0, v48
	v_lshl_add_u32 v21, v1, 2, v41
	s_andn2_b32 s11, s11, 31
	v_and_b32_e32 v50, 12, v20
	v_and_b32_e32 v23, 63, v23
	v_add_nc_u32_e32 v53, s0, v52
	v_min_f64 v[2:3], v[2:3], v[18:19]
	v_min_f64 v[12:13], v[12:13], v[18:19]
	;; [unrolled: 1-line block ×4, first 2 shown]
	v_add_nc_u32_e32 v55, s0, v53
	v_min_f64 v[4:5], v[4:5], v[18:19]
	v_mul_lo_u32 v67, s4, v21
	v_min_f64 v[6:7], v[6:7], v[18:19]
	v_min_f64 v[8:9], v[8:9], v[18:19]
	v_min_f64 v[10:11], v[10:11], v[18:19]
	v_add_nc_u32_e32 v58, s0, v55
	v_and_b32_e32 v24, 0x7fc, v21
	v_lshlrev_b32_e32 v25, 5, v21
	v_add_nc_u32_e32 v26, 32, v21
	v_add_nc_u32_e32 v27, 64, v21
	;; [unrolled: 1-line block ×4, first 2 shown]
	v_mad_u32_u24 v51, 0x84, v1, v20
	v_lshlrev_b32_e32 v22, 2, v40
	v_and_b32_e32 v29, 0xffc, v26
	v_add_nc_u32_e32 v68, s0, v63
	v_and_b32_e32 v31, 0xffc, v27
	v_cvt_i32_f64_e32 v3, v[2:3]
	v_cvt_i32_f64_e32 v12, v[12:13]
	;; [unrolled: 1-line block ×3, first 2 shown]
	v_add_nc_u32_e32 v69, s0, v68
	v_cvt_i32_f64_e32 v14, v[16:17]
	v_cvt_i32_f64_e32 v4, v[4:5]
	v_and_b32_e32 v2, 3, v0
	v_cvt_i32_f64_e32 v5, v[6:7]
	v_add_nc_u32_e32 v70, s0, v69
	v_cvt_i32_f64_e32 v6, v[8:9]
	v_cvt_i32_f64_e32 v8, v[10:11]
	v_or_b32_e32 v9, s7, v23
	v_lshlrev_b32_e32 v10, 2, v2
	v_add_nc_u32_e32 v71, s0, v70
	v_and_b32_e32 v11, 31, v0
	v_add_nc_u32_e32 v73, s11, v67
	v_min_i32_e32 v9, s1, v9
	v_lshl_or_b32 v16, v23, 4, v10
	v_add_nc_u32_e32 v72, s0, v71
	v_lshl_or_b32 v17, v11, 2, 0x4200
	v_and_b32_e32 v32, 0xffc, v21
	v_lshlrev_b32_e32 v7, 5, v21
	v_mad_u64_u32 v[10:11], null, v9, s14, v[2:3]
	v_mul_lo_u32 v85, s14, v12
	v_mul_lo_u32 v86, s14, v13
	v_add_nc_u32_e32 v11, 0x60, v0
	v_add_nc_u32_e32 v12, 64, v0
	;; [unrolled: 1-line block ×4, first 2 shown]
	v_and_b32_e32 v15, 28, v20
	v_lshlrev_b32_e32 v20, 7, v1
	v_add_nc_u32_e32 v79, 0x7280, v16
	v_mul_lo_u32 v87, s14, v14
	v_lshlrev_b32_e32 v14, 5, v0
	v_and_b32_e32 v11, 0x1fc, v11
	v_and_b32_e32 v12, 0x1fc, v12
	v_and_b32_e32 v16, 0x1fc, v13
	v_and_b32_e32 v21, 0xfc, v0
	v_add_nc_u32_e32 v76, s0, v74
	v_add3_u32 v24, v24, v22, 0x6200
	v_lshlrev_b32_e32 v26, 5, v26
	v_lshlrev_b32_e32 v18, 5, v27
	v_add_nc_u32_e32 v75, s11, v73
	v_add3_u32 v19, v29, v22, 0x6200
	v_add3_u32 v27, v31, v22, 0x6200
	;; [unrolled: 1-line block ×3, first 2 shown]
	v_mul_lo_u32 v80, s14, v3
	v_mul_lo_u32 v81, s14, v4
	v_add_nc_u32_e32 v2, 0x400, v20
	v_mul_lo_u32 v82, s14, v5
	v_add_nc_u32_e32 v3, 0x800, v20
	;; [unrolled: 2-line block ×4, first 2 shown]
	v_add_nc_u32_e32 v6, 0x1400, v20
	v_add_nc_u32_e32 v8, 0x1800, v20
	;; [unrolled: 1-line block ×3, first 2 shown]
	v_lshrrev_b32_e32 v89, 3, v13
	v_add_nc_u32_e32 v13, v14, v11
	v_add_nc_u32_e32 v23, v14, v12
	;; [unrolled: 1-line block ×5, first 2 shown]
	v_add_co_u32 v11, s0, s2, v15
	v_mov_b32_e32 v30, 0
	v_add_nc_u32_e32 v59, 0x2940, v51
	v_add_nc_u32_e32 v60, 0x2d60, v51
	;; [unrolled: 1-line block ×7, first 2 shown]
	v_mul_u32_u24_e32 v88, 0x84, v0
	v_add_co_ci_u32_e64 v12, null, s3, 0, s0
	v_add_nc_u32_e32 v90, 0x6e00, v13
	v_add_nc_u32_e32 v91, 0x6a00, v23
	;; [unrolled: 1-line block ×4, first 2 shown]
	v_lshl_add_u32 v94, v1, 4, 0x7280
	v_add_nc_u32_e32 v95, 0x4200, v20
	v_mad_u32_u24 v96, 0x84, v0, 64
	v_add_nc_u32_e32 v97, 0x6e10, v13
	v_add_nc_u32_e32 v98, 0x6a10, v23
	v_add_nc_u32_e32 v99, 0x6610, v16
	v_add_nc_u32_e32 v100, 0x6210, v14
	v_add_nc_u32_e32 v101, v24, v25
	v_add_nc_u32_e32 v102, v19, v26
	v_add_nc_u32_e32 v103, v27, v18
	v_add_nc_u32_e32 v104, v22, v7
	v_add_nc_u32_e32 v105, v17, v20
	v_add_nc_u32_e32 v106, v17, v2
	v_add_nc_u32_e32 v107, v17, v3
	v_add_nc_u32_e32 v108, v17, v4
	v_add_nc_u32_e32 v109, v17, v5
	v_add_nc_u32_e32 v110, v17, v6
	v_add_nc_u32_e32 v111, v17, v8
	v_add_nc_u32_e32 v112, v17, v9
	v_mov_b32_e32 v54, 0
	v_mov_b32_e32 v43, 0
	;; [unrolled: 1-line block ×31, first 2 shown]
	s_add_i32 s11, s4, 3
	s_mov_b32 s14, 0
	s_branch .LBB119_6
.LBB119_5:                              ;   in Loop: Header=BB119_6 Depth=1
	s_add_i32 s14, s14, 8
	s_add_i32 s11, s11, -8
	s_cmp_ge_i32 s14, s4
	s_cbranch_scc1 .LBB119_13
.LBB119_6:                              ; =>This Loop Header: Depth=1
                                        ;     Child Loop BB119_8 Depth 2
                                        ;     Child Loop BB119_11 Depth 2
	s_mul_i32 s0, s14, 20
	s_mul_hi_u32 s1, s14, 20
	s_add_u32 s0, s5, s0
	s_addc_u32 s1, s9, s1
	s_cmp_gt_u32 s11, 3
	v_mad_u64_u32 v[2:3], null, v36, 20, s[0:1]
	v_mad_u64_u32 v[4:5], null, v44, 20, v[2:3]
	v_add_co_u32 v4, vcc_lo, v4, v50
	v_add_co_ci_u32_e64 v5, null, 0, v5, vcc_lo
	global_load_dword v4, v[4:5], off offset:4
	s_waitcnt vmcnt(0)
	ds_write_b32 v51, v4
	v_mad_u64_u32 v[4:5], null, v46, 20, v[2:3]
	v_add_co_u32 v4, vcc_lo, v4, v50
	v_add_co_ci_u32_e64 v5, null, 0, v5, vcc_lo
	global_load_dword v4, v[4:5], off offset:4
	v_add_nc_u32_e32 v5, 0x420, v51
	s_waitcnt vmcnt(0)
	ds_write_b32 v5, v4
	v_mad_u64_u32 v[4:5], null, v48, 20, v[2:3]
	v_add_co_u32 v4, vcc_lo, v4, v50
	v_add_co_ci_u32_e64 v5, null, 0, v5, vcc_lo
	global_load_dword v4, v[4:5], off offset:4
	v_add_nc_u32_e32 v5, 0x840, v51
	;; [unrolled: 7-line block ×9, first 2 shown]
	s_waitcnt vmcnt(0)
	ds_write_b32 v5, v4
	v_mad_u64_u32 v[4:5], null, v70, 20, v[2:3]
	v_add_co_u32 v4, vcc_lo, v4, v50
	v_add_co_ci_u32_e64 v5, null, 0, v5, vcc_lo
	global_load_dword v4, v[4:5], off offset:4
	s_waitcnt vmcnt(0)
	ds_write_b32 v59, v4
	v_mad_u64_u32 v[4:5], null, v71, 20, v[2:3]
	v_add_co_u32 v4, vcc_lo, v4, v50
	v_add_co_ci_u32_e64 v5, null, 0, v5, vcc_lo
	global_load_dword v4, v[4:5], off offset:4
	;; [unrolled: 6-line block ×4, first 2 shown]
	s_waitcnt vmcnt(0)
	ds_write_b32 v62, v4
	v_mad_u64_u32 v[4:5], null, v76, 20, v[2:3]
	v_mad_u64_u32 v[2:3], null, v78, 20, v[2:3]
	v_add_co_u32 v4, vcc_lo, v4, v50
	v_add_co_ci_u32_e64 v5, null, 0, v5, vcc_lo
	v_add_co_u32 v2, vcc_lo, v2, v50
	v_add_co_ci_u32_e64 v3, null, 0, v3, vcc_lo
	s_clause 0x1
	global_load_dword v4, v[4:5], off offset:4
	global_load_dword v2, v[2:3], off offset:4
	s_waitcnt vmcnt(1)
	ds_write_b32 v64, v4
	s_waitcnt vmcnt(0)
	ds_write_b32 v65, v2
	v_mad_u64_u32 v[2:3], null, v40, 20, s[0:1]
	v_mad_u64_u32 v[4:5], null, v67, 20, v[2:3]
	global_load_dword v4, v[4:5], off
	s_waitcnt vmcnt(0)
	ds_write_b32 v101, v4
	v_mad_u64_u32 v[4:5], null, v73, 20, v[2:3]
	global_load_dword v4, v[4:5], off
	s_waitcnt vmcnt(0)
	ds_write_b32 v102, v4
	v_mad_u64_u32 v[4:5], null, v75, 20, v[2:3]
	v_mad_u64_u32 v[2:3], null, v77, 20, v[2:3]
	s_clause 0x1
	global_load_dword v4, v[4:5], off
	global_load_dword v2, v[2:3], off
	s_waitcnt vmcnt(1)
	ds_write_b32 v103, v4
	s_waitcnt vmcnt(0)
	ds_write_b32 v104, v2
	s_cbranch_scc0 .LBB119_5
; %bb.7:                                ;   in Loop: Header=BB119_6 Depth=1
	v_add_nc_u32_e32 v116, s14, v41
	v_add_nc_u32_e32 v113, s14, v10
	s_mov_b32 s0, -4
	v_add_nc_u32_e32 v2, v116, v80
	v_add_nc_u32_e32 v4, v116, v81
	;; [unrolled: 1-line block ×5, first 2 shown]
	v_mad_u64_u32 v[114:115], null, v113, 36, s[2:3]
	v_mad_i64_i32 v[2:3], null, v2, 36, v[11:12]
	v_add_nc_u32_e32 v117, v116, v85
	v_mad_i64_i32 v[4:5], null, v4, 36, v[11:12]
	v_add_nc_u32_e32 v118, v116, v86
	;; [unrolled: 2-line block ×3, first 2 shown]
	v_mad_i64_i32 v[8:9], null, v8, 36, v[11:12]
	v_mad_i64_i32 v[13:14], null, v13, 36, v[11:12]
	;; [unrolled: 1-line block ×5, first 2 shown]
	s_clause 0x8
	global_load_dword v122, v[114:115], off
	global_load_dword v2, v[2:3], off offset:4
	global_load_dword v3, v[4:5], off offset:4
	;; [unrolled: 1-line block ×8, first 2 shown]
	v_mov_b32_e32 v114, v95
	v_mov_b32_e32 v115, v94
	;; [unrolled: 1-line block ×7, first 2 shown]
	s_waitcnt vmcnt(8)
	ds_write_b32 v79, v122
	s_waitcnt vmcnt(7)
	ds_write_b32 v105, v2
	;; [unrolled: 2-line block ×9, first 2 shown]
	s_waitcnt lgkmcnt(0)
	s_barrier
	buffer_gl0_inv
.LBB119_8:                              ;   Parent Loop BB119_6 Depth=1
                                        ; =>  This Inner Loop Header: Depth=2
	ds_read_b128 v[2:5], v114
	ds_read_b128 v[6:9], v114 offset:16
	ds_read2_b32 v[13:14], v115 offset1:32
	ds_read_b32 v139, v116
	ds_read2_b32 v[121:122], v120 offset1:1
	v_mov_b32_e32 v123, 0
	v_add_nc_u32_e32 v126, 0x2108, v120
	v_mov_b32_e32 v140, 0
	v_mov_b32_e32 v155, 0
	v_add_nc_u32_e32 v116, 4, v116
	s_add_i32 s0, s0, 4
	s_cmp_lt_u32 s0, 12
	s_waitcnt lgkmcnt(0)
	v_and_b32_e32 v141, 0xf0f0f0f, v121
	v_lshrrev_b32_e32 v121, 4, v121
	v_and_b32_e32 v143, 0xf0f0f0f, v122
	v_dot4c_i32_i8 v123, v141, v2
	v_and_b32_e32 v142, 0xf0f0f0f, v121
	v_lshrrev_b32_e32 v121, 4, v122
	v_dot4c_i32_i8 v123, v142, v6
	v_and_b32_e32 v144, 0xf0f0f0f, v121
	ds_read2_b32 v[121:122], v120 offset0:2 offset1:3
	v_dot4c_i32_i8 v123, v143, v3
	v_dot4c_i32_i8 v123, v144, v7
	s_waitcnt lgkmcnt(0)
	v_and_b32_e32 v145, 0xf0f0f0f, v121
	v_lshrrev_b32_e32 v121, 4, v121
	v_and_b32_e32 v147, 0xf0f0f0f, v122
	v_dot4c_i32_i8 v123, v145, v4
	v_and_b32_e32 v146, 0xf0f0f0f, v121
	v_lshrrev_b32_e32 v121, 4, v122
	v_dot4c_i32_i8 v123, v146, v8
	v_and_b32_e32 v148, 0xf0f0f0f, v121
	v_pk_mul_f16 v121, v13, v139
	v_dot4c_i32_i8 v123, v147, v5
	v_dot4c_i32_i8 v123, v148, v9
	v_cvt_f32_i32_e32 v122, v123
	v_mov_b32_e32 v123, 0
	v_fma_mix_f32 v121, v121, v122, v121 op_sel:[0,0,1] op_sel_hi:[1,0,1]
	v_add_f32_e32 v30, v30, v121
	v_add_nc_u32_e32 v121, 0x1080, v120
	ds_read_b32 v130, v117
	ds_read2_b32 v[121:122], v121 offset1:1
	v_add_nc_u32_e32 v117, 4, v117
	s_waitcnt lgkmcnt(0)
	v_and_b32_e32 v131, 0xf0f0f0f, v121
	v_lshrrev_b32_e32 v121, 4, v121
	v_and_b32_e32 v133, 0xf0f0f0f, v122
	v_dot4c_i32_i8 v123, v131, v2
	v_and_b32_e32 v132, 0xf0f0f0f, v121
	v_lshrrev_b32_e32 v121, 4, v122
	v_dot4c_i32_i8 v123, v132, v6
	v_and_b32_e32 v134, 0xf0f0f0f, v121
	v_add_nc_u32_e32 v121, 0x1088, v120
	v_dot4c_i32_i8 v123, v133, v3
	ds_read2_b32 v[121:122], v121 offset1:1
	v_dot4c_i32_i8 v123, v134, v7
	s_waitcnt lgkmcnt(0)
	v_and_b32_e32 v135, 0xf0f0f0f, v121
	v_lshrrev_b32_e32 v121, 4, v121
	v_and_b32_e32 v137, 0xf0f0f0f, v122
	v_dot4c_i32_i8 v123, v135, v4
	v_and_b32_e32 v136, 0xf0f0f0f, v121
	v_lshrrev_b32_e32 v121, 4, v122
	v_dot4c_i32_i8 v123, v136, v8
	v_and_b32_e32 v138, 0xf0f0f0f, v121
	v_pk_mul_f16 v121, v13, v130
	v_dot4c_i32_i8 v123, v137, v5
	v_dot4c_i32_i8 v123, v138, v9
	v_cvt_f32_i32_e32 v122, v123
	v_fma_mix_f32 v121, v121, v122, v121 op_sel:[0,0,1] op_sel_hi:[1,0,1]
	v_add_nc_u32_e32 v122, 0x2100, v120
	v_add_f32_e32 v66, v66, v121
	ds_read_b32 v121, v118
	ds_read2_b32 v[124:125], v122 offset1:1
	ds_read2_b32 v[128:129], v126 offset1:1
	v_add_nc_u32_e32 v118, 4, v118
	s_waitcnt lgkmcnt(2)
	v_pk_mul_f16 v149, v13, v121
	s_waitcnt lgkmcnt(1)
	v_and_b32_e32 v122, 0xf0f0f0f, v124
	v_lshrrev_b32_e32 v123, 4, v124
	v_and_b32_e32 v124, 0xf0f0f0f, v125
	v_lshrrev_b32_e32 v125, 4, v125
	s_waitcnt lgkmcnt(0)
	v_and_b32_e32 v126, 0xf0f0f0f, v128
	v_dot4c_i32_i8 v140, v122, v2
	v_and_b32_e32 v123, 0xf0f0f0f, v123
	v_lshrrev_b32_e32 v127, 4, v128
	v_and_b32_e32 v125, 0xf0f0f0f, v125
	v_and_b32_e32 v128, 0xf0f0f0f, v129
	v_lshrrev_b32_e32 v129, 4, v129
	v_dot4c_i32_i8 v140, v123, v6
	v_and_b32_e32 v127, 0xf0f0f0f, v127
	v_and_b32_e32 v129, 0xf0f0f0f, v129
	v_dot4c_i32_i8 v140, v124, v3
	v_dot4c_i32_i8 v140, v125, v7
	;; [unrolled: 1-line block ×6, first 2 shown]
	v_cvt_f32_i32_e32 v140, v140
	v_fma_mix_f32 v140, v149, v140, v149 op_sel:[0,0,1] op_sel_hi:[1,0,1]
	v_add_nc_u32_e32 v149, 0x3180, v120
	v_add_f32_e32 v57, v57, v140
	ds_read_b32 v140, v119
	ds_read2_b32 v[153:154], v149 offset1:1
	v_add_nc_u32_e32 v119, 4, v119
	s_waitcnt lgkmcnt(0)
	v_and_b32_e32 v152, 0xf0f0f0f, v153
	v_lshrrev_b32_e32 v149, 4, v153
	v_and_b32_e32 v151, 0xf0f0f0f, v154
	v_dot4c_i32_i8 v155, v152, v2
	v_and_b32_e32 v150, 0xf0f0f0f, v149
	v_lshrrev_b32_e32 v2, 4, v154
	v_dot4c_i32_i8 v155, v150, v6
	v_and_b32_e32 v149, 0xf0f0f0f, v2
	v_add_nc_u32_e32 v2, 0x3188, v120
	v_mov_b32_e32 v6, 0
	v_add_nc_u32_e32 v120, 16, v120
	v_dot4c_i32_i8 v155, v151, v3
	ds_read2_b32 v[2:3], v2 offset1:1
	v_dot4c_i32_i8 v155, v149, v7
	s_waitcnt lgkmcnt(0)
	v_and_b32_e32 v7, 0xf0f0f0f, v2
	v_lshrrev_b32_e32 v2, 4, v2
	v_and_b32_e32 v154, 0xf0f0f0f, v3
	v_dot4c_i32_i8 v155, v7, v4
	v_and_b32_e32 v153, 0xf0f0f0f, v2
	v_lshrrev_b32_e32 v2, 4, v3
	v_dot4c_i32_i8 v155, v153, v8
	v_and_b32_e32 v8, 0xf0f0f0f, v2
	v_pk_mul_f16 v2, v13, v140
	v_dot4c_i32_i8 v155, v154, v5
	v_dot4c_i32_i8 v155, v8, v9
	v_pk_mul_f16 v9, v139, v14
	v_cvt_f32_i32_e32 v3, v155
	v_fma_mix_f32 v2, v2, v3, v2 op_sel:[0,0,1] op_sel_hi:[1,0,1]
	v_add_f32_e32 v56, v56, v2
	ds_read_b128 v[2:5], v114 offset:1024
	ds_read_b128 v[155:158], v114 offset:1040
	s_waitcnt lgkmcnt(1)
	v_dot4c_i32_i8 v6, v141, v2
	s_waitcnt lgkmcnt(0)
	v_dot4c_i32_i8 v6, v142, v155
	v_dot4c_i32_i8 v6, v143, v3
	;; [unrolled: 1-line block ×7, first 2 shown]
	v_cvt_f32_i32_e32 v6, v6
	v_fma_mix_f32 v6, v6, v9, v9 op_sel:[0,0,1] op_sel_hi:[0,1,1]
	v_pk_mul_f16 v9, v130, v14
	v_add_f32_e32 v54, v54, v6
	v_mov_b32_e32 v6, 0
	v_dot4c_i32_i8 v6, v131, v2
	v_dot4c_i32_i8 v6, v132, v155
	;; [unrolled: 1-line block ×8, first 2 shown]
	v_cvt_f32_i32_e32 v6, v6
	v_fma_mix_f32 v6, v6, v9, v9 op_sel:[0,0,1] op_sel_hi:[0,1,1]
	v_pk_mul_f16 v9, v121, v14
	v_add_f32_e32 v49, v49, v6
	v_mov_b32_e32 v6, 0
	v_dot4c_i32_i8 v6, v122, v2
	v_dot4c_i32_i8 v6, v123, v155
	;; [unrolled: 1-line block ×8, first 2 shown]
	v_cvt_f32_i32_e32 v6, v6
	v_fma_mix_f32 v6, v6, v9, v9 op_sel:[0,0,1] op_sel_hi:[0,1,1]
	v_mov_b32_e32 v9, 0
	v_add_f32_e32 v47, v47, v6
	v_mov_b32_e32 v6, 0
	v_dot4c_i32_i8 v6, v152, v2
	v_pk_mul_f16 v2, v140, v14
	v_dot4c_i32_i8 v6, v150, v155
	v_dot4c_i32_i8 v6, v151, v3
	;; [unrolled: 1-line block ×4, first 2 shown]
	v_mov_b32_e32 v4, 0
	v_dot4c_i32_i8 v6, v153, v157
	v_dot4c_i32_i8 v6, v154, v5
	;; [unrolled: 1-line block ×3, first 2 shown]
	v_cvt_f32_i32_e32 v3, v6
	v_fma_mix_f32 v2, v3, v2, v2 op_sel:[0,0,1] op_sel_hi:[0,1,1]
	v_add_f32_e32 v45, v45, v2
	ds_read_b128 v[155:158], v114 offset:2048
	ds_read_b128 v[159:162], v114 offset:2064
	ds_read2_b32 v[2:3], v115 offset0:64 offset1:96
	s_waitcnt lgkmcnt(2)
	v_dot4c_i32_i8 v4, v141, v155
	s_waitcnt lgkmcnt(0)
	v_pk_mul_f16 v5, v139, v2
	v_dot4c_i32_i8 v4, v142, v159
	v_dot4c_i32_i8 v4, v143, v156
	;; [unrolled: 1-line block ×7, first 2 shown]
	v_cvt_f32_i32_e32 v4, v4
	v_fma_mix_f32 v4, v4, v5, v5 op_sel:[0,0,1] op_sel_hi:[0,1,1]
	v_pk_mul_f16 v5, v130, v2
	v_add_f32_e32 v43, v43, v4
	v_mov_b32_e32 v4, 0
	v_dot4c_i32_i8 v4, v131, v155
	v_dot4c_i32_i8 v4, v132, v159
	;; [unrolled: 1-line block ×8, first 2 shown]
	v_cvt_f32_i32_e32 v4, v4
	v_fma_mix_f32 v4, v4, v5, v5 op_sel:[0,0,1] op_sel_hi:[0,1,1]
	v_pk_mul_f16 v5, v121, v2
	v_pk_mul_f16 v2, v140, v2
	v_add_f32_e32 v42, v42, v4
	v_mov_b32_e32 v4, 0
	v_dot4c_i32_i8 v4, v122, v155
	v_dot4c_i32_i8 v4, v123, v159
	;; [unrolled: 1-line block ×8, first 2 shown]
	v_cvt_f32_i32_e32 v4, v4
	v_fma_mix_f32 v4, v4, v5, v5 op_sel:[0,0,1] op_sel_hi:[0,1,1]
	v_add_f32_e32 v39, v39, v4
	v_mov_b32_e32 v4, 0
	v_dot4c_i32_i8 v4, v152, v155
	v_dot4c_i32_i8 v4, v150, v159
	;; [unrolled: 1-line block ×8, first 2 shown]
	ds_read_b128 v[155:158], v114 offset:3072
	ds_read_b128 v[159:162], v114 offset:3088
	v_cvt_f32_i32_e32 v4, v4
	v_fma_mix_f32 v2, v4, v2, v2 op_sel:[0,0,1] op_sel_hi:[0,1,1]
	v_pk_mul_f16 v4, v139, v3
	v_add_f32_e32 v38, v38, v2
	v_mov_b32_e32 v2, 0
	s_waitcnt lgkmcnt(1)
	v_dot4c_i32_i8 v2, v141, v155
	s_waitcnt lgkmcnt(0)
	v_dot4c_i32_i8 v2, v142, v159
	v_dot4c_i32_i8 v2, v143, v156
	;; [unrolled: 1-line block ×7, first 2 shown]
	v_cvt_f32_i32_e32 v2, v2
	v_fma_mix_f32 v2, v2, v4, v4 op_sel:[0,0,1] op_sel_hi:[0,1,1]
	v_pk_mul_f16 v4, v130, v3
	v_add_f32_e32 v37, v37, v2
	v_mov_b32_e32 v2, 0
	v_dot4c_i32_i8 v2, v131, v155
	v_dot4c_i32_i8 v2, v132, v159
	;; [unrolled: 1-line block ×8, first 2 shown]
	v_cvt_f32_i32_e32 v2, v2
	v_fma_mix_f32 v2, v2, v4, v4 op_sel:[0,0,1] op_sel_hi:[0,1,1]
	v_pk_mul_f16 v4, v121, v3
	v_pk_mul_f16 v3, v140, v3
	v_add_f32_e32 v35, v35, v2
	v_mov_b32_e32 v2, 0
	v_dot4c_i32_i8 v2, v122, v155
	v_dot4c_i32_i8 v2, v123, v159
	;; [unrolled: 1-line block ×8, first 2 shown]
	v_cvt_f32_i32_e32 v2, v2
	v_fma_mix_f32 v2, v2, v4, v4 op_sel:[0,0,1] op_sel_hi:[0,1,1]
	v_mov_b32_e32 v4, 0
	v_add_f32_e32 v34, v34, v2
	v_mov_b32_e32 v2, 0
	v_dot4c_i32_i8 v2, v152, v155
	v_dot4c_i32_i8 v2, v150, v159
	v_dot4c_i32_i8 v2, v151, v156
	v_dot4c_i32_i8 v2, v149, v160
	v_dot4c_i32_i8 v2, v7, v157
	v_dot4c_i32_i8 v2, v153, v161
	v_dot4c_i32_i8 v2, v154, v158
	v_dot4c_i32_i8 v2, v8, v162
	v_cvt_f32_i32_e32 v2, v2
	v_fma_mix_f32 v2, v2, v3, v3 op_sel:[0,0,1] op_sel_hi:[0,1,1]
	v_add_f32_e32 v33, v33, v2
	ds_read_b128 v[155:158], v114 offset:4096
	ds_read_b128 v[159:162], v114 offset:4112
	ds_read2_b32 v[2:3], v115 offset0:128 offset1:160
	s_waitcnt lgkmcnt(2)
	v_dot4c_i32_i8 v4, v141, v155
	s_waitcnt lgkmcnt(0)
	v_pk_mul_f16 v5, v139, v2
	v_dot4c_i32_i8 v4, v142, v159
	v_dot4c_i32_i8 v4, v143, v156
	;; [unrolled: 1-line block ×7, first 2 shown]
	v_cvt_f32_i32_e32 v4, v4
	v_fma_mix_f32 v4, v4, v5, v5 op_sel:[0,0,1] op_sel_hi:[0,1,1]
	v_pk_mul_f16 v5, v130, v2
	v_add_f32_e32 v32, v32, v4
	v_mov_b32_e32 v4, 0
	v_dot4c_i32_i8 v4, v131, v155
	v_dot4c_i32_i8 v4, v132, v159
	;; [unrolled: 1-line block ×8, first 2 shown]
	v_cvt_f32_i32_e32 v4, v4
	v_fma_mix_f32 v4, v4, v5, v5 op_sel:[0,0,1] op_sel_hi:[0,1,1]
	v_pk_mul_f16 v5, v121, v2
	v_pk_mul_f16 v2, v140, v2
	v_add_f32_e32 v31, v31, v4
	v_mov_b32_e32 v4, 0
	v_dot4c_i32_i8 v4, v122, v155
	v_dot4c_i32_i8 v4, v123, v159
	;; [unrolled: 1-line block ×8, first 2 shown]
	v_cvt_f32_i32_e32 v4, v4
	v_fma_mix_f32 v4, v4, v5, v5 op_sel:[0,0,1] op_sel_hi:[0,1,1]
	v_add_f32_e32 v29, v29, v4
	v_mov_b32_e32 v4, 0
	v_dot4c_i32_i8 v4, v152, v155
	v_dot4c_i32_i8 v4, v150, v159
	v_dot4c_i32_i8 v4, v151, v156
	v_dot4c_i32_i8 v4, v149, v160
	v_dot4c_i32_i8 v4, v7, v157
	v_dot4c_i32_i8 v4, v153, v161
	v_dot4c_i32_i8 v4, v154, v158
	v_dot4c_i32_i8 v4, v8, v162
	ds_read_b128 v[155:158], v114 offset:5120
	ds_read_b128 v[159:162], v114 offset:5136
	v_cvt_f32_i32_e32 v4, v4
	v_fma_mix_f32 v2, v4, v2, v2 op_sel:[0,0,1] op_sel_hi:[0,1,1]
	v_pk_mul_f16 v4, v139, v3
	v_add_f32_e32 v27, v27, v2
	v_mov_b32_e32 v2, 0
	s_waitcnt lgkmcnt(1)
	v_dot4c_i32_i8 v2, v141, v155
	s_waitcnt lgkmcnt(0)
	v_dot4c_i32_i8 v2, v142, v159
	v_dot4c_i32_i8 v2, v143, v156
	;; [unrolled: 1-line block ×7, first 2 shown]
	v_cvt_f32_i32_e32 v2, v2
	v_fma_mix_f32 v2, v2, v4, v4 op_sel:[0,0,1] op_sel_hi:[0,1,1]
	v_pk_mul_f16 v4, v130, v3
	v_add_f32_e32 v26, v26, v2
	v_mov_b32_e32 v2, 0
	v_dot4c_i32_i8 v2, v131, v155
	v_dot4c_i32_i8 v2, v132, v159
	;; [unrolled: 1-line block ×8, first 2 shown]
	v_cvt_f32_i32_e32 v2, v2
	v_fma_mix_f32 v2, v2, v4, v4 op_sel:[0,0,1] op_sel_hi:[0,1,1]
	v_pk_mul_f16 v4, v121, v3
	v_pk_mul_f16 v3, v140, v3
	v_add_f32_e32 v25, v25, v2
	v_mov_b32_e32 v2, 0
	v_dot4c_i32_i8 v2, v122, v155
	v_dot4c_i32_i8 v2, v123, v159
	;; [unrolled: 1-line block ×8, first 2 shown]
	v_cvt_f32_i32_e32 v2, v2
	v_fma_mix_f32 v2, v2, v4, v4 op_sel:[0,0,1] op_sel_hi:[0,1,1]
	v_add_f32_e32 v24, v24, v2
	v_mov_b32_e32 v2, 0
	v_dot4c_i32_i8 v2, v152, v155
	v_dot4c_i32_i8 v2, v150, v159
	;; [unrolled: 1-line block ×8, first 2 shown]
	ds_read_b128 v[155:158], v114 offset:6144
	ds_read_b128 v[159:162], v114 offset:6160
	ds_read2_b32 v[5:6], v115 offset0:192 offset1:224
	v_add_nc_u32_e32 v115, 4, v115
	v_cvt_f32_i32_e32 v2, v2
	v_fma_mix_f32 v2, v2, v3, v3 op_sel:[0,0,1] op_sel_hi:[0,1,1]
	v_add_f32_e32 v23, v23, v2
	v_mov_b32_e32 v2, 0
	s_waitcnt lgkmcnt(2)
	v_dot4c_i32_i8 v2, v141, v155
	s_waitcnt lgkmcnt(0)
	v_pk_mul_f16 v3, v139, v5
	v_pk_mul_f16 v13, v139, v6
	v_dot4c_i32_i8 v2, v142, v159
	v_dot4c_i32_i8 v2, v143, v156
	v_dot4c_i32_i8 v2, v144, v160
	v_dot4c_i32_i8 v2, v145, v157
	v_dot4c_i32_i8 v2, v146, v161
	v_dot4c_i32_i8 v2, v147, v158
	v_dot4c_i32_i8 v2, v148, v162
	v_cvt_f32_i32_e32 v2, v2
	v_fma_mix_f32 v2, v2, v3, v3 op_sel:[0,0,1] op_sel_hi:[0,1,1]
	v_pk_mul_f16 v3, v130, v5
	v_add_f32_e32 v22, v22, v2
	v_mov_b32_e32 v2, 0
	v_dot4c_i32_i8 v2, v131, v155
	v_dot4c_i32_i8 v2, v132, v159
	v_dot4c_i32_i8 v2, v133, v156
	v_dot4c_i32_i8 v2, v134, v160
	v_dot4c_i32_i8 v2, v135, v157
	v_dot4c_i32_i8 v2, v136, v161
	v_dot4c_i32_i8 v2, v137, v158
	v_dot4c_i32_i8 v2, v138, v162
	v_cvt_f32_i32_e32 v2, v2
	v_fma_mix_f32 v2, v2, v3, v3 op_sel:[0,0,1] op_sel_hi:[0,1,1]
	v_pk_mul_f16 v3, v121, v5
	v_add_f32_e32 v21, v21, v2
	v_mov_b32_e32 v2, 0
	v_dot4c_i32_i8 v2, v122, v155
	;; [unrolled: 13-line block ×3, first 2 shown]
	v_dot4c_i32_i8 v2, v150, v159
	v_dot4c_i32_i8 v2, v151, v156
	;; [unrolled: 1-line block ×7, first 2 shown]
	v_cvt_f32_i32_e32 v2, v2
	v_fma_mix_f32 v2, v2, v3, v3 op_sel:[0,0,1] op_sel_hi:[0,1,1]
	v_add_f32_e32 v19, v19, v2
	ds_read_b128 v[155:158], v114 offset:7168
	ds_read_b128 v[2:5], v114 offset:7184
	v_add_nc_u32_e32 v114, 32, v114
	s_waitcnt lgkmcnt(1)
	v_dot4c_i32_i8 v9, v141, v155
	s_waitcnt lgkmcnt(0)
	v_dot4c_i32_i8 v9, v142, v2
	v_dot4c_i32_i8 v9, v143, v156
	;; [unrolled: 1-line block ×7, first 2 shown]
	v_cvt_f32_i32_e32 v9, v9
	v_fma_mix_f32 v9, v9, v13, v13 op_sel:[0,0,1] op_sel_hi:[0,1,1]
	v_pk_mul_f16 v13, v130, v6
	v_add_f32_e32 v18, v18, v9
	v_mov_b32_e32 v9, 0
	v_dot4c_i32_i8 v9, v131, v155
	v_dot4c_i32_i8 v9, v132, v2
	;; [unrolled: 1-line block ×8, first 2 shown]
	v_cvt_f32_i32_e32 v9, v9
	v_fma_mix_f32 v9, v9, v13, v13 op_sel:[0,0,1] op_sel_hi:[0,1,1]
	v_pk_mul_f16 v13, v121, v6
	v_add_f32_e32 v17, v17, v9
	v_mov_b32_e32 v9, 0
	v_dot4c_i32_i8 v9, v122, v155
	v_dot4c_i32_i8 v9, v123, v2
	;; [unrolled: 1-line block ×8, first 2 shown]
	v_cvt_f32_i32_e32 v9, v9
	v_fma_mix_f32 v9, v9, v13, v13 op_sel:[0,0,1] op_sel_hi:[0,1,1]
	v_add_f32_e32 v16, v16, v9
	v_mov_b32_e32 v9, 0
	v_dot4c_i32_i8 v9, v152, v155
	v_dot4c_i32_i8 v9, v150, v2
	v_pk_mul_f16 v2, v140, v6
	v_dot4c_i32_i8 v9, v151, v156
	v_dot4c_i32_i8 v9, v149, v3
	;; [unrolled: 1-line block ×6, first 2 shown]
	v_cvt_f32_i32_e32 v3, v9
	v_fma_mix_f32 v2, v3, v2, v2 op_sel:[0,0,1] op_sel_hi:[0,1,1]
	v_add_f32_e32 v15, v15, v2
	s_cbranch_scc1 .LBB119_8
; %bb.9:                                ;   in Loop: Header=BB119_6 Depth=1
	s_and_b32 s0, s11, -4
	s_cmp_eq_u32 s0, 4
	s_barrier
	buffer_gl0_inv
	s_cbranch_scc1 .LBB119_5
; %bb.10:                               ;   in Loop: Header=BB119_6 Depth=1
	v_add_nc_u32_e32 v115, s14, v89
	v_add_nc_u32_e32 v113, 4, v113
	s_mov_b32 s0, 12
	v_add_nc_u32_e32 v2, v115, v80
	v_add_nc_u32_e32 v4, v115, v81
	;; [unrolled: 1-line block ×5, first 2 shown]
	v_mad_u64_u32 v[113:114], null, v113, 36, s[2:3]
	v_mad_i64_i32 v[2:3], null, v2, 36, v[11:12]
	v_add_nc_u32_e32 v116, v115, v85
	v_mad_i64_i32 v[4:5], null, v4, 36, v[11:12]
	v_add_nc_u32_e32 v117, v115, v86
	;; [unrolled: 2-line block ×3, first 2 shown]
	v_mad_i64_i32 v[8:9], null, v8, 36, v[11:12]
	v_mad_i64_i32 v[13:14], null, v13, 36, v[11:12]
	;; [unrolled: 1-line block ×5, first 2 shown]
	s_clause 0x8
	global_load_dword v121, v[113:114], off
	global_load_dword v2, v[2:3], off offset:4
	global_load_dword v3, v[4:5], off offset:4
	;; [unrolled: 1-line block ×8, first 2 shown]
	v_mov_b32_e32 v113, v94
	v_mov_b32_e32 v114, v95
	;; [unrolled: 1-line block ×7, first 2 shown]
	s_waitcnt vmcnt(8)
	ds_write_b32 v79, v121
	s_waitcnt vmcnt(7)
	ds_write_b32 v105, v2
	;; [unrolled: 2-line block ×9, first 2 shown]
	s_waitcnt lgkmcnt(0)
	s_barrier
	buffer_gl0_inv
.LBB119_11:                             ;   Parent Loop BB119_6 Depth=1
                                        ; =>  This Inner Loop Header: Depth=2
	ds_read_b128 v[2:5], v114
	ds_read_b128 v[6:9], v114 offset:16
	ds_read2_b32 v[13:14], v113 offset1:32
	ds_read_b32 v139, v115
	ds_read2_b32 v[120:121], v119 offset1:1
	v_mov_b32_e32 v122, 0
	v_add_nc_u32_e32 v125, 0x2108, v119
	v_mov_b32_e32 v136, 0
	v_mov_b32_e32 v153, 0
	v_add_nc_u32_e32 v115, 4, v115
	s_add_i32 s0, s0, 4
	s_cmp_lt_u32 s0, 28
	s_waitcnt lgkmcnt(0)
	v_and_b32_e32 v140, 0xf0f0f0f, v120
	v_lshrrev_b32_e32 v120, 4, v120
	v_and_b32_e32 v142, 0xf0f0f0f, v121
	v_dot4c_i32_i8 v122, v140, v2
	v_and_b32_e32 v141, 0xf0f0f0f, v120
	v_lshrrev_b32_e32 v120, 4, v121
	v_dot4c_i32_i8 v122, v141, v6
	v_and_b32_e32 v143, 0xf0f0f0f, v120
	ds_read2_b32 v[120:121], v119 offset0:2 offset1:3
	v_dot4c_i32_i8 v122, v142, v3
	v_dot4c_i32_i8 v122, v143, v7
	s_waitcnt lgkmcnt(0)
	v_and_b32_e32 v144, 0xf0f0f0f, v120
	v_lshrrev_b32_e32 v120, 4, v120
	v_and_b32_e32 v146, 0xf0f0f0f, v121
	v_dot4c_i32_i8 v122, v144, v4
	v_and_b32_e32 v145, 0xf0f0f0f, v120
	v_lshrrev_b32_e32 v120, 4, v121
	v_dot4c_i32_i8 v122, v145, v8
	v_and_b32_e32 v147, 0xf0f0f0f, v120
	v_pk_mul_f16 v120, v13, v139
	v_dot4c_i32_i8 v122, v146, v5
	v_dot4c_i32_i8 v122, v147, v9
	v_cvt_f32_i32_e32 v121, v122
	v_mov_b32_e32 v122, 0
	v_fma_mix_f32 v120, v120, v121, v120 op_sel:[0,0,1] op_sel_hi:[1,0,1]
	v_add_f32_e32 v30, v30, v120
	v_add_nc_u32_e32 v120, 0x1080, v119
	ds_read_b32 v129, v116
	ds_read2_b32 v[120:121], v120 offset1:1
	v_add_nc_u32_e32 v116, 4, v116
	s_waitcnt lgkmcnt(0)
	v_and_b32_e32 v130, 0xf0f0f0f, v120
	v_lshrrev_b32_e32 v120, 4, v120
	v_and_b32_e32 v132, 0xf0f0f0f, v121
	v_dot4c_i32_i8 v122, v130, v2
	v_and_b32_e32 v131, 0xf0f0f0f, v120
	v_lshrrev_b32_e32 v120, 4, v121
	v_dot4c_i32_i8 v122, v131, v6
	v_and_b32_e32 v133, 0xf0f0f0f, v120
	v_add_nc_u32_e32 v120, 0x1088, v119
	v_dot4c_i32_i8 v122, v132, v3
	ds_read2_b32 v[120:121], v120 offset1:1
	v_dot4c_i32_i8 v122, v133, v7
	s_waitcnt lgkmcnt(0)
	v_and_b32_e32 v134, 0xf0f0f0f, v120
	v_lshrrev_b32_e32 v120, 4, v120
	v_and_b32_e32 v137, 0xf0f0f0f, v121
	v_dot4c_i32_i8 v122, v134, v4
	v_and_b32_e32 v135, 0xf0f0f0f, v120
	v_lshrrev_b32_e32 v120, 4, v121
	v_dot4c_i32_i8 v122, v135, v8
	v_and_b32_e32 v138, 0xf0f0f0f, v120
	v_pk_mul_f16 v120, v13, v129
	v_dot4c_i32_i8 v122, v137, v5
	v_dot4c_i32_i8 v122, v138, v9
	v_cvt_f32_i32_e32 v121, v122
	v_fma_mix_f32 v120, v120, v121, v120 op_sel:[0,0,1] op_sel_hi:[1,0,1]
	v_add_nc_u32_e32 v121, 0x2100, v119
	v_add_f32_e32 v66, v66, v120
	ds_read_b32 v120, v117
	ds_read2_b32 v[123:124], v121 offset1:1
	ds_read2_b32 v[127:128], v125 offset1:1
	v_add_nc_u32_e32 v117, 4, v117
	s_waitcnt lgkmcnt(2)
	v_pk_mul_f16 v148, v13, v120
	s_waitcnt lgkmcnt(1)
	v_and_b32_e32 v121, 0xf0f0f0f, v123
	v_lshrrev_b32_e32 v122, 4, v123
	v_and_b32_e32 v123, 0xf0f0f0f, v124
	v_lshrrev_b32_e32 v124, 4, v124
	s_waitcnt lgkmcnt(0)
	v_and_b32_e32 v125, 0xf0f0f0f, v127
	v_dot4c_i32_i8 v136, v121, v2
	v_and_b32_e32 v122, 0xf0f0f0f, v122
	v_lshrrev_b32_e32 v126, 4, v127
	v_and_b32_e32 v124, 0xf0f0f0f, v124
	v_and_b32_e32 v127, 0xf0f0f0f, v128
	v_lshrrev_b32_e32 v128, 4, v128
	v_dot4c_i32_i8 v136, v122, v6
	v_and_b32_e32 v126, 0xf0f0f0f, v126
	v_and_b32_e32 v128, 0xf0f0f0f, v128
	v_dot4c_i32_i8 v136, v123, v3
	v_dot4c_i32_i8 v136, v124, v7
	;; [unrolled: 1-line block ×6, first 2 shown]
	v_cvt_f32_i32_e32 v136, v136
	v_fma_mix_f32 v136, v148, v136, v148 op_sel:[0,0,1] op_sel_hi:[1,0,1]
	v_add_nc_u32_e32 v148, 0x3180, v119
	v_add_f32_e32 v57, v57, v136
	ds_read_b32 v136, v118
	ds_read2_b32 v[151:152], v148 offset1:1
	v_add_nc_u32_e32 v118, 4, v118
	s_waitcnt lgkmcnt(0)
	v_and_b32_e32 v150, 0xf0f0f0f, v151
	v_lshrrev_b32_e32 v148, 4, v151
	v_dot4c_i32_i8 v153, v150, v2
	v_and_b32_e32 v149, 0xf0f0f0f, v148
	v_lshrrev_b32_e32 v2, 4, v152
	v_and_b32_e32 v148, 0xf0f0f0f, v152
	v_dot4c_i32_i8 v153, v149, v6
	v_and_b32_e32 v6, 0xf0f0f0f, v2
	v_add_nc_u32_e32 v2, 0x3188, v119
	v_add_nc_u32_e32 v119, 16, v119
	v_dot4c_i32_i8 v153, v148, v3
	ds_read2_b32 v[2:3], v2 offset1:1
	v_dot4c_i32_i8 v153, v6, v7
	s_waitcnt lgkmcnt(0)
	v_and_b32_e32 v7, 0xf0f0f0f, v2
	v_lshrrev_b32_e32 v2, 4, v2
	v_dot4c_i32_i8 v153, v7, v4
	v_and_b32_e32 v151, 0xf0f0f0f, v2
	v_lshrrev_b32_e32 v2, 4, v3
	v_dot4c_i32_i8 v153, v151, v8
	v_and_b32_e32 v8, 0xf0f0f0f, v3
	v_and_b32_e32 v4, 0xf0f0f0f, v2
	v_pk_mul_f16 v2, v13, v136
	v_dot4c_i32_i8 v153, v8, v5
	v_mov_b32_e32 v5, 0
	v_dot4c_i32_i8 v153, v4, v9
	v_cvt_f32_i32_e32 v3, v153
	ds_read_b128 v[152:155], v114 offset:1024
	ds_read_b128 v[156:159], v114 offset:1040
	v_fma_mix_f32 v2, v2, v3, v2 op_sel:[0,0,1] op_sel_hi:[1,0,1]
	v_pk_mul_f16 v3, v139, v14
	v_add_f32_e32 v56, v56, v2
	v_mov_b32_e32 v2, 0
	s_waitcnt lgkmcnt(1)
	v_dot4c_i32_i8 v2, v140, v152
	s_waitcnt lgkmcnt(0)
	v_dot4c_i32_i8 v2, v141, v156
	v_dot4c_i32_i8 v2, v142, v153
	v_dot4c_i32_i8 v2, v143, v157
	v_dot4c_i32_i8 v2, v144, v154
	v_dot4c_i32_i8 v2, v145, v158
	v_dot4c_i32_i8 v2, v146, v155
	v_dot4c_i32_i8 v2, v147, v159
	v_cvt_f32_i32_e32 v2, v2
	v_fma_mix_f32 v2, v2, v3, v3 op_sel:[0,0,1] op_sel_hi:[0,1,1]
	v_pk_mul_f16 v3, v129, v14
	v_add_f32_e32 v54, v54, v2
	v_mov_b32_e32 v2, 0
	v_dot4c_i32_i8 v2, v130, v152
	v_dot4c_i32_i8 v2, v131, v156
	v_dot4c_i32_i8 v2, v132, v153
	v_dot4c_i32_i8 v2, v133, v157
	v_dot4c_i32_i8 v2, v134, v154
	v_dot4c_i32_i8 v2, v135, v158
	v_dot4c_i32_i8 v2, v137, v155
	v_dot4c_i32_i8 v2, v138, v159
	v_cvt_f32_i32_e32 v2, v2
	v_fma_mix_f32 v2, v2, v3, v3 op_sel:[0,0,1] op_sel_hi:[0,1,1]
	v_pk_mul_f16 v3, v120, v14
	v_add_f32_e32 v49, v49, v2
	v_mov_b32_e32 v2, 0
	v_dot4c_i32_i8 v2, v121, v152
	;; [unrolled: 13-line block ×3, first 2 shown]
	v_dot4c_i32_i8 v2, v149, v156
	v_dot4c_i32_i8 v2, v148, v153
	;; [unrolled: 1-line block ×7, first 2 shown]
	v_cvt_f32_i32_e32 v2, v2
	v_fma_mix_f32 v2, v2, v3, v3 op_sel:[0,0,1] op_sel_hi:[0,1,1]
	v_add_f32_e32 v45, v45, v2
	ds_read_b128 v[152:155], v114 offset:2048
	ds_read_b128 v[156:159], v114 offset:2064
	ds_read2_b32 v[2:3], v113 offset0:64 offset1:96
	s_waitcnt lgkmcnt(2)
	v_dot4c_i32_i8 v5, v140, v152
	s_waitcnt lgkmcnt(0)
	v_pk_mul_f16 v9, v139, v2
	v_dot4c_i32_i8 v5, v141, v156
	v_dot4c_i32_i8 v5, v142, v153
	;; [unrolled: 1-line block ×7, first 2 shown]
	v_cvt_f32_i32_e32 v5, v5
	v_fma_mix_f32 v5, v5, v9, v9 op_sel:[0,0,1] op_sel_hi:[0,1,1]
	v_pk_mul_f16 v9, v129, v2
	v_add_f32_e32 v43, v43, v5
	v_mov_b32_e32 v5, 0
	v_dot4c_i32_i8 v5, v130, v152
	v_dot4c_i32_i8 v5, v131, v156
	v_dot4c_i32_i8 v5, v132, v153
	v_dot4c_i32_i8 v5, v133, v157
	v_dot4c_i32_i8 v5, v134, v154
	v_dot4c_i32_i8 v5, v135, v158
	v_dot4c_i32_i8 v5, v137, v155
	v_dot4c_i32_i8 v5, v138, v159
	v_cvt_f32_i32_e32 v5, v5
	v_fma_mix_f32 v5, v5, v9, v9 op_sel:[0,0,1] op_sel_hi:[0,1,1]
	v_pk_mul_f16 v9, v120, v2
	v_pk_mul_f16 v2, v136, v2
	v_add_f32_e32 v42, v42, v5
	v_mov_b32_e32 v5, 0
	v_dot4c_i32_i8 v5, v121, v152
	v_dot4c_i32_i8 v5, v122, v156
	;; [unrolled: 1-line block ×8, first 2 shown]
	v_cvt_f32_i32_e32 v5, v5
	v_fma_mix_f32 v5, v5, v9, v9 op_sel:[0,0,1] op_sel_hi:[0,1,1]
	v_add_f32_e32 v39, v39, v5
	v_mov_b32_e32 v5, 0
	v_dot4c_i32_i8 v5, v150, v152
	v_dot4c_i32_i8 v5, v149, v156
	v_dot4c_i32_i8 v5, v148, v153
	v_dot4c_i32_i8 v5, v6, v157
	v_dot4c_i32_i8 v5, v7, v154
	v_dot4c_i32_i8 v5, v151, v158
	v_dot4c_i32_i8 v5, v8, v155
	v_dot4c_i32_i8 v5, v4, v159
	ds_read_b128 v[152:155], v114 offset:3072
	ds_read_b128 v[156:159], v114 offset:3088
	v_cvt_f32_i32_e32 v5, v5
	v_fma_mix_f32 v2, v5, v2, v2 op_sel:[0,0,1] op_sel_hi:[0,1,1]
	v_pk_mul_f16 v5, v139, v3
	v_add_f32_e32 v38, v38, v2
	v_mov_b32_e32 v2, 0
	s_waitcnt lgkmcnt(1)
	v_dot4c_i32_i8 v2, v140, v152
	s_waitcnt lgkmcnt(0)
	v_dot4c_i32_i8 v2, v141, v156
	v_dot4c_i32_i8 v2, v142, v153
	v_dot4c_i32_i8 v2, v143, v157
	v_dot4c_i32_i8 v2, v144, v154
	v_dot4c_i32_i8 v2, v145, v158
	v_dot4c_i32_i8 v2, v146, v155
	v_dot4c_i32_i8 v2, v147, v159
	v_cvt_f32_i32_e32 v2, v2
	v_fma_mix_f32 v2, v2, v5, v5 op_sel:[0,0,1] op_sel_hi:[0,1,1]
	v_pk_mul_f16 v5, v129, v3
	v_add_f32_e32 v37, v37, v2
	v_mov_b32_e32 v2, 0
	v_dot4c_i32_i8 v2, v130, v152
	v_dot4c_i32_i8 v2, v131, v156
	;; [unrolled: 1-line block ×8, first 2 shown]
	v_cvt_f32_i32_e32 v2, v2
	v_fma_mix_f32 v2, v2, v5, v5 op_sel:[0,0,1] op_sel_hi:[0,1,1]
	v_pk_mul_f16 v5, v120, v3
	v_pk_mul_f16 v3, v136, v3
	v_add_f32_e32 v35, v35, v2
	v_mov_b32_e32 v2, 0
	v_dot4c_i32_i8 v2, v121, v152
	v_dot4c_i32_i8 v2, v122, v156
	;; [unrolled: 1-line block ×8, first 2 shown]
	v_cvt_f32_i32_e32 v2, v2
	v_fma_mix_f32 v2, v2, v5, v5 op_sel:[0,0,1] op_sel_hi:[0,1,1]
	v_mov_b32_e32 v5, 0
	v_add_f32_e32 v34, v34, v2
	v_mov_b32_e32 v2, 0
	v_dot4c_i32_i8 v2, v150, v152
	v_dot4c_i32_i8 v2, v149, v156
	;; [unrolled: 1-line block ×8, first 2 shown]
	v_cvt_f32_i32_e32 v2, v2
	v_fma_mix_f32 v2, v2, v3, v3 op_sel:[0,0,1] op_sel_hi:[0,1,1]
	v_add_f32_e32 v33, v33, v2
	ds_read_b128 v[152:155], v114 offset:4096
	ds_read_b128 v[156:159], v114 offset:4112
	ds_read2_b32 v[2:3], v113 offset0:128 offset1:160
	s_waitcnt lgkmcnt(2)
	v_dot4c_i32_i8 v5, v140, v152
	s_waitcnt lgkmcnt(0)
	v_pk_mul_f16 v9, v139, v2
	v_dot4c_i32_i8 v5, v141, v156
	v_dot4c_i32_i8 v5, v142, v153
	v_dot4c_i32_i8 v5, v143, v157
	v_dot4c_i32_i8 v5, v144, v154
	v_dot4c_i32_i8 v5, v145, v158
	v_dot4c_i32_i8 v5, v146, v155
	v_dot4c_i32_i8 v5, v147, v159
	v_cvt_f32_i32_e32 v5, v5
	v_fma_mix_f32 v5, v5, v9, v9 op_sel:[0,0,1] op_sel_hi:[0,1,1]
	v_pk_mul_f16 v9, v129, v2
	v_add_f32_e32 v32, v32, v5
	v_mov_b32_e32 v5, 0
	v_dot4c_i32_i8 v5, v130, v152
	v_dot4c_i32_i8 v5, v131, v156
	;; [unrolled: 1-line block ×8, first 2 shown]
	v_cvt_f32_i32_e32 v5, v5
	v_fma_mix_f32 v5, v5, v9, v9 op_sel:[0,0,1] op_sel_hi:[0,1,1]
	v_pk_mul_f16 v9, v120, v2
	v_pk_mul_f16 v2, v136, v2
	v_add_f32_e32 v31, v31, v5
	v_mov_b32_e32 v5, 0
	v_dot4c_i32_i8 v5, v121, v152
	v_dot4c_i32_i8 v5, v122, v156
	;; [unrolled: 1-line block ×8, first 2 shown]
	v_cvt_f32_i32_e32 v5, v5
	v_fma_mix_f32 v5, v5, v9, v9 op_sel:[0,0,1] op_sel_hi:[0,1,1]
	v_add_f32_e32 v29, v29, v5
	v_mov_b32_e32 v5, 0
	v_dot4c_i32_i8 v5, v150, v152
	v_dot4c_i32_i8 v5, v149, v156
	v_dot4c_i32_i8 v5, v148, v153
	v_dot4c_i32_i8 v5, v6, v157
	v_dot4c_i32_i8 v5, v7, v154
	v_dot4c_i32_i8 v5, v151, v158
	v_dot4c_i32_i8 v5, v8, v155
	v_dot4c_i32_i8 v5, v4, v159
	ds_read_b128 v[152:155], v114 offset:5120
	ds_read_b128 v[156:159], v114 offset:5136
	v_cvt_f32_i32_e32 v5, v5
	v_fma_mix_f32 v2, v5, v2, v2 op_sel:[0,0,1] op_sel_hi:[0,1,1]
	v_pk_mul_f16 v5, v139, v3
	v_add_f32_e32 v27, v27, v2
	v_mov_b32_e32 v2, 0
	s_waitcnt lgkmcnt(1)
	v_dot4c_i32_i8 v2, v140, v152
	s_waitcnt lgkmcnt(0)
	v_dot4c_i32_i8 v2, v141, v156
	v_dot4c_i32_i8 v2, v142, v153
	;; [unrolled: 1-line block ×7, first 2 shown]
	v_cvt_f32_i32_e32 v2, v2
	v_fma_mix_f32 v2, v2, v5, v5 op_sel:[0,0,1] op_sel_hi:[0,1,1]
	v_pk_mul_f16 v5, v129, v3
	v_add_f32_e32 v26, v26, v2
	v_mov_b32_e32 v2, 0
	v_dot4c_i32_i8 v2, v130, v152
	v_dot4c_i32_i8 v2, v131, v156
	;; [unrolled: 1-line block ×8, first 2 shown]
	v_cvt_f32_i32_e32 v2, v2
	v_fma_mix_f32 v2, v2, v5, v5 op_sel:[0,0,1] op_sel_hi:[0,1,1]
	v_pk_mul_f16 v5, v120, v3
	v_pk_mul_f16 v3, v136, v3
	v_add_f32_e32 v25, v25, v2
	v_mov_b32_e32 v2, 0
	v_dot4c_i32_i8 v2, v121, v152
	v_dot4c_i32_i8 v2, v122, v156
	;; [unrolled: 1-line block ×8, first 2 shown]
	v_cvt_f32_i32_e32 v2, v2
	v_fma_mix_f32 v2, v2, v5, v5 op_sel:[0,0,1] op_sel_hi:[0,1,1]
	v_mov_b32_e32 v5, 0
	v_add_f32_e32 v24, v24, v2
	v_mov_b32_e32 v2, 0
	v_dot4c_i32_i8 v2, v150, v152
	v_dot4c_i32_i8 v2, v149, v156
	;; [unrolled: 1-line block ×8, first 2 shown]
	v_cvt_f32_i32_e32 v2, v2
	v_fma_mix_f32 v2, v2, v3, v3 op_sel:[0,0,1] op_sel_hi:[0,1,1]
	v_add_f32_e32 v23, v23, v2
	ds_read_b128 v[152:155], v114 offset:6144
	ds_read_b128 v[156:159], v114 offset:6160
	ds_read2_b32 v[2:3], v113 offset0:192 offset1:224
	v_add_nc_u32_e32 v113, 4, v113
	s_waitcnt lgkmcnt(2)
	v_dot4c_i32_i8 v5, v140, v152
	s_waitcnt lgkmcnt(0)
	v_pk_mul_f16 v9, v139, v2
	v_dot4c_i32_i8 v5, v141, v156
	v_dot4c_i32_i8 v5, v142, v153
	;; [unrolled: 1-line block ×7, first 2 shown]
	v_cvt_f32_i32_e32 v5, v5
	v_fma_mix_f32 v5, v5, v9, v9 op_sel:[0,0,1] op_sel_hi:[0,1,1]
	v_pk_mul_f16 v9, v129, v2
	v_add_f32_e32 v22, v22, v5
	v_mov_b32_e32 v5, 0
	v_dot4c_i32_i8 v5, v130, v152
	v_dot4c_i32_i8 v5, v131, v156
	v_dot4c_i32_i8 v5, v132, v153
	v_dot4c_i32_i8 v5, v133, v157
	v_dot4c_i32_i8 v5, v134, v154
	v_dot4c_i32_i8 v5, v135, v158
	v_dot4c_i32_i8 v5, v137, v155
	v_dot4c_i32_i8 v5, v138, v159
	v_cvt_f32_i32_e32 v5, v5
	v_fma_mix_f32 v5, v5, v9, v9 op_sel:[0,0,1] op_sel_hi:[0,1,1]
	v_pk_mul_f16 v9, v120, v2
	v_pk_mul_f16 v2, v136, v2
	v_add_f32_e32 v21, v21, v5
	v_mov_b32_e32 v5, 0
	v_dot4c_i32_i8 v5, v121, v152
	v_dot4c_i32_i8 v5, v122, v156
	v_dot4c_i32_i8 v5, v123, v153
	v_dot4c_i32_i8 v5, v124, v157
	v_dot4c_i32_i8 v5, v125, v154
	v_dot4c_i32_i8 v5, v126, v158
	v_dot4c_i32_i8 v5, v127, v155
	v_dot4c_i32_i8 v5, v128, v159
	v_cvt_f32_i32_e32 v5, v5
	v_fma_mix_f32 v5, v5, v9, v9 op_sel:[0,0,1] op_sel_hi:[0,1,1]
	v_add_f32_e32 v20, v20, v5
	v_mov_b32_e32 v5, 0
	v_dot4c_i32_i8 v5, v150, v152
	v_dot4c_i32_i8 v5, v149, v156
	;; [unrolled: 1-line block ×8, first 2 shown]
	ds_read_b128 v[152:155], v114 offset:7168
	ds_read_b128 v[156:159], v114 offset:7184
	v_add_nc_u32_e32 v114, 32, v114
	v_cvt_f32_i32_e32 v5, v5
	v_fma_mix_f32 v2, v5, v2, v2 op_sel:[0,0,1] op_sel_hi:[0,1,1]
	v_pk_mul_f16 v5, v139, v3
	v_add_f32_e32 v19, v19, v2
	v_mov_b32_e32 v2, 0
	s_waitcnt lgkmcnt(1)
	v_dot4c_i32_i8 v2, v140, v152
	s_waitcnt lgkmcnt(0)
	v_dot4c_i32_i8 v2, v141, v156
	v_dot4c_i32_i8 v2, v142, v153
	;; [unrolled: 1-line block ×7, first 2 shown]
	v_cvt_f32_i32_e32 v2, v2
	v_fma_mix_f32 v2, v2, v5, v5 op_sel:[0,0,1] op_sel_hi:[0,1,1]
	v_pk_mul_f16 v5, v129, v3
	v_add_f32_e32 v18, v18, v2
	v_mov_b32_e32 v2, 0
	v_dot4c_i32_i8 v2, v130, v152
	v_dot4c_i32_i8 v2, v131, v156
	;; [unrolled: 1-line block ×8, first 2 shown]
	v_cvt_f32_i32_e32 v2, v2
	v_fma_mix_f32 v2, v2, v5, v5 op_sel:[0,0,1] op_sel_hi:[0,1,1]
	v_pk_mul_f16 v5, v120, v3
	v_pk_mul_f16 v3, v136, v3
	v_add_f32_e32 v17, v17, v2
	v_mov_b32_e32 v2, 0
	v_dot4c_i32_i8 v2, v121, v152
	v_dot4c_i32_i8 v2, v122, v156
	;; [unrolled: 1-line block ×8, first 2 shown]
	v_cvt_f32_i32_e32 v2, v2
	v_fma_mix_f32 v2, v2, v5, v5 op_sel:[0,0,1] op_sel_hi:[0,1,1]
	v_add_f32_e32 v16, v16, v2
	v_mov_b32_e32 v2, 0
	v_dot4c_i32_i8 v2, v150, v152
	v_dot4c_i32_i8 v2, v149, v156
	;; [unrolled: 1-line block ×8, first 2 shown]
	v_cvt_f32_i32_e32 v2, v2
	v_fma_mix_f32 v2, v2, v3, v3 op_sel:[0,0,1] op_sel_hi:[0,1,1]
	v_add_f32_e32 v15, v15, v2
	s_cbranch_scc1 .LBB119_11
; %bb.12:                               ;   in Loop: Header=BB119_6 Depth=1
	s_barrier
	buffer_gl0_inv
	s_branch .LBB119_5
.LBB119_13:
	v_mov_b32_e32 v2, v28
.LBB119_14:
	s_mov_b32 s0, exec_lo
	v_cmpx_gt_u32_e64 s8, v2
	s_cbranch_execz .LBB119_65
; %bb.15:
	v_add_nc_u32_e32 v0, s6, v0
	v_mul_lo_u32 v5, v2, s10
	v_cmp_gt_u32_e32 vcc_lo, s10, v0
	s_and_saveexec_b32 s1, vcc_lo
	s_cbranch_execz .LBB119_17
; %bb.16:
	v_add_nc_u32_e32 v2, v0, v5
	v_mov_b32_e32 v3, 0
	v_lshlrev_b64 v[2:3], 2, v[2:3]
	s_waitcnt lgkmcnt(0)
	v_add_co_u32 v2, s0, s12, v2
	v_add_co_ci_u32_e64 v3, null, s13, v3, s0
	global_store_dword v[2:3], v30, off
.LBB119_17:
	s_or_b32 exec_lo, exec_lo, s1
	v_add_nc_u32_e32 v2, 32, v0
	v_cmp_gt_u32_e64 s0, s10, v2
	s_and_saveexec_b32 s2, s0
	s_cbranch_execz .LBB119_19
; %bb.18:
	v_add_nc_u32_e32 v3, v2, v5
	v_mov_b32_e32 v4, 0
	v_lshlrev_b64 v[3:4], 2, v[3:4]
	s_waitcnt lgkmcnt(0)
	v_add_co_u32 v3, s1, s12, v3
	v_add_co_ci_u32_e64 v4, null, s13, v4, s1
	global_store_dword v[3:4], v66, off
.LBB119_19:
	s_or_b32 exec_lo, exec_lo, s2
	v_add_nc_u32_e32 v3, 64, v0
	v_cmp_gt_u32_e64 s1, s10, v3
	s_and_saveexec_b32 s3, s1
	;; [unrolled: 14-line block ×3, first 2 shown]
	s_cbranch_execz .LBB119_23
; %bb.22:
	v_add_nc_u32_e32 v5, v4, v5
	v_mov_b32_e32 v6, 0
	v_lshlrev_b64 v[5:6], 2, v[5:6]
	s_waitcnt lgkmcnt(0)
	v_add_co_u32 v5, s3, s12, v5
	v_add_co_ci_u32_e64 v6, null, s13, v6, s3
	global_store_dword v[5:6], v56, off
.LBB119_23:
	s_or_b32 exec_lo, exec_lo, s4
	v_add3_u32 v5, v1, s7, 8
	v_cmp_gt_u32_e64 s3, s8, v5
	s_and_b32 exec_lo, exec_lo, s3
	s_cbranch_execz .LBB119_65
; %bb.24:
	v_mul_lo_u32 v5, v5, s10
	s_and_saveexec_b32 s4, vcc_lo
	s_cbranch_execnz .LBB119_66
; %bb.25:
	s_or_b32 exec_lo, exec_lo, s4
	s_and_saveexec_b32 s4, s0
	s_cbranch_execnz .LBB119_67
.LBB119_26:
	s_or_b32 exec_lo, exec_lo, s4
	s_and_saveexec_b32 s4, s1
	s_cbranch_execnz .LBB119_68
.LBB119_27:
	s_or_b32 exec_lo, exec_lo, s4
	s_and_saveexec_b32 s4, s2
	s_cbranch_execz .LBB119_29
.LBB119_28:
	v_add_nc_u32_e32 v5, v5, v4
	v_mov_b32_e32 v6, 0
	v_lshlrev_b64 v[5:6], 2, v[5:6]
	s_waitcnt lgkmcnt(0)
	v_add_co_u32 v5, s3, s12, v5
	v_add_co_ci_u32_e64 v6, null, s13, v6, s3
	global_store_dword v[5:6], v45, off
.LBB119_29:
	s_or_b32 exec_lo, exec_lo, s4
	v_add3_u32 v5, v1, s7, 16
	v_cmp_gt_u32_e64 s3, s8, v5
	s_and_b32 exec_lo, exec_lo, s3
	s_cbranch_execz .LBB119_65
; %bb.30:
	v_mul_lo_u32 v5, v5, s10
	s_and_saveexec_b32 s4, vcc_lo
	s_cbranch_execnz .LBB119_69
; %bb.31:
	s_or_b32 exec_lo, exec_lo, s4
	s_and_saveexec_b32 s4, s0
	s_cbranch_execnz .LBB119_70
.LBB119_32:
	s_or_b32 exec_lo, exec_lo, s4
	s_and_saveexec_b32 s4, s1
	s_cbranch_execnz .LBB119_71
.LBB119_33:
	s_or_b32 exec_lo, exec_lo, s4
	s_and_saveexec_b32 s4, s2
	s_cbranch_execz .LBB119_35
.LBB119_34:
	v_add_nc_u32_e32 v5, v5, v4
	v_mov_b32_e32 v6, 0
	v_lshlrev_b64 v[5:6], 2, v[5:6]
	s_waitcnt lgkmcnt(0)
	v_add_co_u32 v5, s3, s12, v5
	v_add_co_ci_u32_e64 v6, null, s13, v6, s3
	global_store_dword v[5:6], v38, off
.LBB119_35:
	s_or_b32 exec_lo, exec_lo, s4
	v_add3_u32 v5, v1, s7, 24
	v_cmp_gt_u32_e64 s3, s8, v5
	s_and_b32 exec_lo, exec_lo, s3
	s_cbranch_execz .LBB119_65
; %bb.36:
	v_mul_lo_u32 v5, v5, s10
	s_and_saveexec_b32 s4, vcc_lo
	s_cbranch_execnz .LBB119_72
; %bb.37:
	s_or_b32 exec_lo, exec_lo, s4
	s_and_saveexec_b32 s4, s0
	s_cbranch_execnz .LBB119_73
.LBB119_38:
	s_or_b32 exec_lo, exec_lo, s4
	s_and_saveexec_b32 s4, s1
	s_cbranch_execnz .LBB119_74
.LBB119_39:
	s_or_b32 exec_lo, exec_lo, s4
	s_and_saveexec_b32 s4, s2
	s_cbranch_execz .LBB119_41
.LBB119_40:
	v_add_nc_u32_e32 v5, v5, v4
	v_mov_b32_e32 v6, 0
	v_lshlrev_b64 v[5:6], 2, v[5:6]
	s_waitcnt lgkmcnt(0)
	v_add_co_u32 v5, s3, s12, v5
	v_add_co_ci_u32_e64 v6, null, s13, v6, s3
	global_store_dword v[5:6], v33, off
.LBB119_41:
	s_or_b32 exec_lo, exec_lo, s4
	v_add3_u32 v5, v1, s7, 32
	v_cmp_gt_u32_e64 s3, s8, v5
	s_and_b32 exec_lo, exec_lo, s3
	s_cbranch_execz .LBB119_65
; %bb.42:
	v_mul_lo_u32 v5, v5, s10
	s_and_saveexec_b32 s4, vcc_lo
	s_cbranch_execnz .LBB119_75
; %bb.43:
	s_or_b32 exec_lo, exec_lo, s4
	s_and_saveexec_b32 s4, s0
	s_cbranch_execnz .LBB119_76
.LBB119_44:
	s_or_b32 exec_lo, exec_lo, s4
	s_and_saveexec_b32 s4, s1
	s_cbranch_execnz .LBB119_77
.LBB119_45:
	s_or_b32 exec_lo, exec_lo, s4
	s_and_saveexec_b32 s4, s2
	s_cbranch_execz .LBB119_47
.LBB119_46:
	v_add_nc_u32_e32 v5, v5, v4
	v_mov_b32_e32 v6, 0
	v_lshlrev_b64 v[5:6], 2, v[5:6]
	s_waitcnt lgkmcnt(0)
	v_add_co_u32 v5, s3, s12, v5
	v_add_co_ci_u32_e64 v6, null, s13, v6, s3
	global_store_dword v[5:6], v27, off
.LBB119_47:
	s_or_b32 exec_lo, exec_lo, s4
	v_add3_u32 v5, v1, s7, 40
	v_cmp_gt_u32_e64 s3, s8, v5
	s_and_b32 exec_lo, exec_lo, s3
	s_cbranch_execz .LBB119_65
; %bb.48:
	v_mul_lo_u32 v5, v5, s10
	s_and_saveexec_b32 s4, vcc_lo
	s_cbranch_execnz .LBB119_78
; %bb.49:
	s_or_b32 exec_lo, exec_lo, s4
	s_and_saveexec_b32 s4, s0
	s_cbranch_execnz .LBB119_79
.LBB119_50:
	s_or_b32 exec_lo, exec_lo, s4
	s_and_saveexec_b32 s4, s1
	s_cbranch_execnz .LBB119_80
.LBB119_51:
	s_or_b32 exec_lo, exec_lo, s4
	s_and_saveexec_b32 s4, s2
	s_cbranch_execz .LBB119_53
.LBB119_52:
	v_add_nc_u32_e32 v5, v5, v4
	v_mov_b32_e32 v6, 0
	v_lshlrev_b64 v[5:6], 2, v[5:6]
	s_waitcnt lgkmcnt(0)
	v_add_co_u32 v5, s3, s12, v5
	v_add_co_ci_u32_e64 v6, null, s13, v6, s3
	global_store_dword v[5:6], v23, off
.LBB119_53:
	s_or_b32 exec_lo, exec_lo, s4
	v_add3_u32 v5, v1, s7, 48
	v_cmp_gt_u32_e64 s3, s8, v5
	s_and_b32 exec_lo, exec_lo, s3
	s_cbranch_execz .LBB119_65
; %bb.54:
	v_mul_lo_u32 v5, v5, s10
	s_and_saveexec_b32 s4, vcc_lo
	s_cbranch_execnz .LBB119_81
; %bb.55:
	s_or_b32 exec_lo, exec_lo, s4
	s_and_saveexec_b32 s4, s0
	s_cbranch_execnz .LBB119_82
.LBB119_56:
	s_or_b32 exec_lo, exec_lo, s4
	s_and_saveexec_b32 s4, s1
	s_cbranch_execnz .LBB119_83
.LBB119_57:
	s_or_b32 exec_lo, exec_lo, s4
	s_and_saveexec_b32 s4, s2
	s_cbranch_execz .LBB119_59
.LBB119_58:
	v_add_nc_u32_e32 v5, v5, v4
	v_mov_b32_e32 v6, 0
	v_lshlrev_b64 v[5:6], 2, v[5:6]
	s_waitcnt lgkmcnt(0)
	v_add_co_u32 v5, s3, s12, v5
	v_add_co_ci_u32_e64 v6, null, s13, v6, s3
	global_store_dword v[5:6], v19, off
.LBB119_59:
	s_or_b32 exec_lo, exec_lo, s4
	v_add3_u32 v1, v1, s7, 56
	v_cmp_gt_u32_e64 s3, s8, v1
	s_and_b32 exec_lo, exec_lo, s3
	s_cbranch_execz .LBB119_65
; %bb.60:
	v_mul_lo_u32 v1, v1, s10
	s_and_saveexec_b32 s3, vcc_lo
	s_cbranch_execnz .LBB119_84
; %bb.61:
	s_or_b32 exec_lo, exec_lo, s3
	s_and_saveexec_b32 s3, s0
	s_cbranch_execnz .LBB119_85
.LBB119_62:
	s_or_b32 exec_lo, exec_lo, s3
	s_and_saveexec_b32 s0, s1
	s_cbranch_execnz .LBB119_86
.LBB119_63:
	s_or_b32 exec_lo, exec_lo, s0
	s_and_b32 exec_lo, exec_lo, s2
	s_cbranch_execz .LBB119_65
.LBB119_64:
	v_add_nc_u32_e32 v0, v1, v4
	v_mov_b32_e32 v1, 0
	v_lshlrev_b64 v[0:1], 2, v[0:1]
	s_waitcnt lgkmcnt(0)
	v_add_co_u32 v0, vcc_lo, s12, v0
	v_add_co_ci_u32_e64 v1, null, s13, v1, vcc_lo
	global_store_dword v[0:1], v15, off
.LBB119_65:
	s_endpgm
.LBB119_66:
	v_add_nc_u32_e32 v6, v5, v0
	v_mov_b32_e32 v7, 0
	v_lshlrev_b64 v[6:7], 2, v[6:7]
	s_waitcnt lgkmcnt(0)
	v_add_co_u32 v6, s3, s12, v6
	v_add_co_ci_u32_e64 v7, null, s13, v7, s3
	global_store_dword v[6:7], v54, off
	s_or_b32 exec_lo, exec_lo, s4
	s_and_saveexec_b32 s4, s0
	s_cbranch_execz .LBB119_26
.LBB119_67:
	v_add_nc_u32_e32 v6, v5, v2
	v_mov_b32_e32 v7, 0
	v_lshlrev_b64 v[6:7], 2, v[6:7]
	s_waitcnt lgkmcnt(0)
	v_add_co_u32 v6, s3, s12, v6
	v_add_co_ci_u32_e64 v7, null, s13, v7, s3
	global_store_dword v[6:7], v49, off
	s_or_b32 exec_lo, exec_lo, s4
	s_and_saveexec_b32 s4, s1
	s_cbranch_execz .LBB119_27
.LBB119_68:
	v_add_nc_u32_e32 v6, v5, v3
	v_mov_b32_e32 v7, 0
	v_lshlrev_b64 v[6:7], 2, v[6:7]
	s_waitcnt lgkmcnt(0)
	v_add_co_u32 v6, s3, s12, v6
	v_add_co_ci_u32_e64 v7, null, s13, v7, s3
	global_store_dword v[6:7], v47, off
	s_or_b32 exec_lo, exec_lo, s4
	s_and_saveexec_b32 s4, s2
	s_cbranch_execnz .LBB119_28
	s_branch .LBB119_29
.LBB119_69:
	v_add_nc_u32_e32 v6, v5, v0
	v_mov_b32_e32 v7, 0
	v_lshlrev_b64 v[6:7], 2, v[6:7]
	s_waitcnt lgkmcnt(0)
	v_add_co_u32 v6, s3, s12, v6
	v_add_co_ci_u32_e64 v7, null, s13, v7, s3
	global_store_dword v[6:7], v43, off
	s_or_b32 exec_lo, exec_lo, s4
	s_and_saveexec_b32 s4, s0
	s_cbranch_execz .LBB119_32
.LBB119_70:
	v_add_nc_u32_e32 v6, v5, v2
	v_mov_b32_e32 v7, 0
	v_lshlrev_b64 v[6:7], 2, v[6:7]
	s_waitcnt lgkmcnt(0)
	v_add_co_u32 v6, s3, s12, v6
	v_add_co_ci_u32_e64 v7, null, s13, v7, s3
	global_store_dword v[6:7], v42, off
	s_or_b32 exec_lo, exec_lo, s4
	s_and_saveexec_b32 s4, s1
	s_cbranch_execz .LBB119_33
.LBB119_71:
	v_add_nc_u32_e32 v6, v5, v3
	v_mov_b32_e32 v7, 0
	v_lshlrev_b64 v[6:7], 2, v[6:7]
	s_waitcnt lgkmcnt(0)
	v_add_co_u32 v6, s3, s12, v6
	v_add_co_ci_u32_e64 v7, null, s13, v7, s3
	global_store_dword v[6:7], v39, off
	s_or_b32 exec_lo, exec_lo, s4
	s_and_saveexec_b32 s4, s2
	s_cbranch_execnz .LBB119_34
	s_branch .LBB119_35
.LBB119_72:
	v_add_nc_u32_e32 v6, v5, v0
	v_mov_b32_e32 v7, 0
	v_lshlrev_b64 v[6:7], 2, v[6:7]
	s_waitcnt lgkmcnt(0)
	v_add_co_u32 v6, s3, s12, v6
	v_add_co_ci_u32_e64 v7, null, s13, v7, s3
	global_store_dword v[6:7], v37, off
	s_or_b32 exec_lo, exec_lo, s4
	s_and_saveexec_b32 s4, s0
	s_cbranch_execz .LBB119_38
.LBB119_73:
	v_add_nc_u32_e32 v6, v5, v2
	v_mov_b32_e32 v7, 0
	v_lshlrev_b64 v[6:7], 2, v[6:7]
	s_waitcnt lgkmcnt(0)
	v_add_co_u32 v6, s3, s12, v6
	v_add_co_ci_u32_e64 v7, null, s13, v7, s3
	global_store_dword v[6:7], v35, off
	s_or_b32 exec_lo, exec_lo, s4
	s_and_saveexec_b32 s4, s1
	s_cbranch_execz .LBB119_39
.LBB119_74:
	v_add_nc_u32_e32 v6, v5, v3
	v_mov_b32_e32 v7, 0
	v_lshlrev_b64 v[6:7], 2, v[6:7]
	s_waitcnt lgkmcnt(0)
	v_add_co_u32 v6, s3, s12, v6
	v_add_co_ci_u32_e64 v7, null, s13, v7, s3
	global_store_dword v[6:7], v34, off
	s_or_b32 exec_lo, exec_lo, s4
	s_and_saveexec_b32 s4, s2
	s_cbranch_execnz .LBB119_40
	s_branch .LBB119_41
.LBB119_75:
	v_add_nc_u32_e32 v6, v5, v0
	v_mov_b32_e32 v7, 0
	v_lshlrev_b64 v[6:7], 2, v[6:7]
	s_waitcnt lgkmcnt(0)
	v_add_co_u32 v6, s3, s12, v6
	v_add_co_ci_u32_e64 v7, null, s13, v7, s3
	global_store_dword v[6:7], v32, off
	s_or_b32 exec_lo, exec_lo, s4
	s_and_saveexec_b32 s4, s0
	s_cbranch_execz .LBB119_44
.LBB119_76:
	v_add_nc_u32_e32 v6, v5, v2
	v_mov_b32_e32 v7, 0
	v_lshlrev_b64 v[6:7], 2, v[6:7]
	s_waitcnt lgkmcnt(0)
	v_add_co_u32 v6, s3, s12, v6
	v_add_co_ci_u32_e64 v7, null, s13, v7, s3
	global_store_dword v[6:7], v31, off
	s_or_b32 exec_lo, exec_lo, s4
	s_and_saveexec_b32 s4, s1
	s_cbranch_execz .LBB119_45
.LBB119_77:
	v_add_nc_u32_e32 v6, v5, v3
	v_mov_b32_e32 v7, 0
	v_lshlrev_b64 v[6:7], 2, v[6:7]
	s_waitcnt lgkmcnt(0)
	v_add_co_u32 v6, s3, s12, v6
	v_add_co_ci_u32_e64 v7, null, s13, v7, s3
	global_store_dword v[6:7], v29, off
	s_or_b32 exec_lo, exec_lo, s4
	s_and_saveexec_b32 s4, s2
	s_cbranch_execnz .LBB119_46
	s_branch .LBB119_47
.LBB119_78:
	v_add_nc_u32_e32 v6, v5, v0
	v_mov_b32_e32 v7, 0
	v_lshlrev_b64 v[6:7], 2, v[6:7]
	s_waitcnt lgkmcnt(0)
	v_add_co_u32 v6, s3, s12, v6
	v_add_co_ci_u32_e64 v7, null, s13, v7, s3
	global_store_dword v[6:7], v26, off
	s_or_b32 exec_lo, exec_lo, s4
	s_and_saveexec_b32 s4, s0
	s_cbranch_execz .LBB119_50
.LBB119_79:
	v_add_nc_u32_e32 v6, v5, v2
	v_mov_b32_e32 v7, 0
	v_lshlrev_b64 v[6:7], 2, v[6:7]
	s_waitcnt lgkmcnt(0)
	v_add_co_u32 v6, s3, s12, v6
	v_add_co_ci_u32_e64 v7, null, s13, v7, s3
	global_store_dword v[6:7], v25, off
	s_or_b32 exec_lo, exec_lo, s4
	s_and_saveexec_b32 s4, s1
	s_cbranch_execz .LBB119_51
.LBB119_80:
	v_add_nc_u32_e32 v6, v5, v3
	v_mov_b32_e32 v7, 0
	v_lshlrev_b64 v[6:7], 2, v[6:7]
	s_waitcnt lgkmcnt(0)
	v_add_co_u32 v6, s3, s12, v6
	v_add_co_ci_u32_e64 v7, null, s13, v7, s3
	global_store_dword v[6:7], v24, off
	s_or_b32 exec_lo, exec_lo, s4
	s_and_saveexec_b32 s4, s2
	s_cbranch_execnz .LBB119_52
	s_branch .LBB119_53
.LBB119_81:
	v_add_nc_u32_e32 v6, v5, v0
	v_mov_b32_e32 v7, 0
	v_lshlrev_b64 v[6:7], 2, v[6:7]
	s_waitcnt lgkmcnt(0)
	v_add_co_u32 v6, s3, s12, v6
	v_add_co_ci_u32_e64 v7, null, s13, v7, s3
	global_store_dword v[6:7], v22, off
	s_or_b32 exec_lo, exec_lo, s4
	s_and_saveexec_b32 s4, s0
	s_cbranch_execz .LBB119_56
.LBB119_82:
	v_add_nc_u32_e32 v6, v5, v2
	v_mov_b32_e32 v7, 0
	v_lshlrev_b64 v[6:7], 2, v[6:7]
	s_waitcnt lgkmcnt(0)
	v_add_co_u32 v6, s3, s12, v6
	v_add_co_ci_u32_e64 v7, null, s13, v7, s3
	global_store_dword v[6:7], v21, off
	s_or_b32 exec_lo, exec_lo, s4
	s_and_saveexec_b32 s4, s1
	s_cbranch_execz .LBB119_57
.LBB119_83:
	v_add_nc_u32_e32 v6, v5, v3
	v_mov_b32_e32 v7, 0
	v_lshlrev_b64 v[6:7], 2, v[6:7]
	s_waitcnt lgkmcnt(0)
	v_add_co_u32 v6, s3, s12, v6
	v_add_co_ci_u32_e64 v7, null, s13, v7, s3
	global_store_dword v[6:7], v20, off
	s_or_b32 exec_lo, exec_lo, s4
	s_and_saveexec_b32 s4, s2
	s_cbranch_execnz .LBB119_58
	s_branch .LBB119_59
.LBB119_84:
	v_add_nc_u32_e32 v5, v1, v0
	v_mov_b32_e32 v6, 0
	v_lshlrev_b64 v[5:6], 2, v[5:6]
	s_waitcnt lgkmcnt(0)
	v_add_co_u32 v5, vcc_lo, s12, v5
	v_add_co_ci_u32_e64 v6, null, s13, v6, vcc_lo
	global_store_dword v[5:6], v18, off
	s_or_b32 exec_lo, exec_lo, s3
	s_and_saveexec_b32 s3, s0
	s_cbranch_execz .LBB119_62
.LBB119_85:
	v_add_nc_u32_e32 v5, v1, v2
	v_mov_b32_e32 v6, 0
	v_lshlrev_b64 v[5:6], 2, v[5:6]
	s_waitcnt lgkmcnt(0)
	v_add_co_u32 v5, vcc_lo, s12, v5
	v_add_co_ci_u32_e64 v6, null, s13, v6, vcc_lo
	global_store_dword v[5:6], v17, off
	s_or_b32 exec_lo, exec_lo, s3
	s_and_saveexec_b32 s0, s1
	s_cbranch_execz .LBB119_63
.LBB119_86:
	v_add_nc_u32_e32 v2, v1, v3
	v_mov_b32_e32 v3, 0
	v_lshlrev_b64 v[2:3], 2, v[2:3]
	s_waitcnt lgkmcnt(0)
	v_add_co_u32 v2, vcc_lo, s12, v2
	v_add_co_ci_u32_e64 v3, null, s13, v3, vcc_lo
	global_store_dword v[2:3], v16, off
	s_or_b32 exec_lo, exec_lo, s0
	s_and_b32 exec_lo, exec_lo, s2
	s_cbranch_execnz .LBB119_64
	s_branch .LBB119_65
	.section	.rodata,"a",@progbits
	.p2align	6, 0x0
	.amdhsa_kernel _ZL12mul_mat_q4_1IfLb0EEvPKvS1_PT_iiiii
		.amdhsa_group_segment_fixed_size 30336
		.amdhsa_private_segment_fixed_size 0
		.amdhsa_kernarg_size 44
		.amdhsa_user_sgpr_count 6
		.amdhsa_user_sgpr_private_segment_buffer 1
		.amdhsa_user_sgpr_dispatch_ptr 0
		.amdhsa_user_sgpr_queue_ptr 0
		.amdhsa_user_sgpr_kernarg_segment_ptr 1
		.amdhsa_user_sgpr_dispatch_id 0
		.amdhsa_user_sgpr_flat_scratch_init 0
		.amdhsa_user_sgpr_private_segment_size 0
		.amdhsa_wavefront_size32 1
		.amdhsa_uses_dynamic_stack 0
		.amdhsa_system_sgpr_private_segment_wavefront_offset 0
		.amdhsa_system_sgpr_workgroup_id_x 1
		.amdhsa_system_sgpr_workgroup_id_y 1
		.amdhsa_system_sgpr_workgroup_id_z 0
		.amdhsa_system_sgpr_workgroup_info 0
		.amdhsa_system_vgpr_workitem_id 1
		.amdhsa_next_free_vgpr 163
		.amdhsa_next_free_sgpr 15
		.amdhsa_reserve_vcc 1
		.amdhsa_reserve_flat_scratch 0
		.amdhsa_float_round_mode_32 0
		.amdhsa_float_round_mode_16_64 0
		.amdhsa_float_denorm_mode_32 3
		.amdhsa_float_denorm_mode_16_64 3
		.amdhsa_dx10_clamp 1
		.amdhsa_ieee_mode 1
		.amdhsa_fp16_overflow 0
		.amdhsa_workgroup_processor_mode 1
		.amdhsa_memory_ordered 1
		.amdhsa_forward_progress 1
		.amdhsa_shared_vgpr_count 0
		.amdhsa_exception_fp_ieee_invalid_op 0
		.amdhsa_exception_fp_denorm_src 0
		.amdhsa_exception_fp_ieee_div_zero 0
		.amdhsa_exception_fp_ieee_overflow 0
		.amdhsa_exception_fp_ieee_underflow 0
		.amdhsa_exception_fp_ieee_inexact 0
		.amdhsa_exception_int_div_zero 0
	.end_amdhsa_kernel
	.section	.text._ZL12mul_mat_q4_1IfLb0EEvPKvS1_PT_iiiii,"axG",@progbits,_ZL12mul_mat_q4_1IfLb0EEvPKvS1_PT_iiiii,comdat
.Lfunc_end119:
	.size	_ZL12mul_mat_q4_1IfLb0EEvPKvS1_PT_iiiii, .Lfunc_end119-_ZL12mul_mat_q4_1IfLb0EEvPKvS1_PT_iiiii
                                        ; -- End function
	.set _ZL12mul_mat_q4_1IfLb0EEvPKvS1_PT_iiiii.num_vgpr, 163
	.set _ZL12mul_mat_q4_1IfLb0EEvPKvS1_PT_iiiii.num_agpr, 0
	.set _ZL12mul_mat_q4_1IfLb0EEvPKvS1_PT_iiiii.numbered_sgpr, 15
	.set _ZL12mul_mat_q4_1IfLb0EEvPKvS1_PT_iiiii.num_named_barrier, 0
	.set _ZL12mul_mat_q4_1IfLb0EEvPKvS1_PT_iiiii.private_seg_size, 0
	.set _ZL12mul_mat_q4_1IfLb0EEvPKvS1_PT_iiiii.uses_vcc, 1
	.set _ZL12mul_mat_q4_1IfLb0EEvPKvS1_PT_iiiii.uses_flat_scratch, 0
	.set _ZL12mul_mat_q4_1IfLb0EEvPKvS1_PT_iiiii.has_dyn_sized_stack, 0
	.set _ZL12mul_mat_q4_1IfLb0EEvPKvS1_PT_iiiii.has_recursion, 0
	.set _ZL12mul_mat_q4_1IfLb0EEvPKvS1_PT_iiiii.has_indirect_call, 0
	.section	.AMDGPU.csdata,"",@progbits
; Kernel info:
; codeLenInByte = 10712
; TotalNumSgprs: 17
; NumVgprs: 163
; ScratchSize: 0
; MemoryBound: 0
; FloatMode: 240
; IeeeMode: 1
; LDSByteSize: 30336 bytes/workgroup (compile time only)
; SGPRBlocks: 0
; VGPRBlocks: 20
; NumSGPRsForWavesPerEU: 17
; NumVGPRsForWavesPerEU: 163
; Occupancy: 5
; WaveLimiterHint : 0
; COMPUTE_PGM_RSRC2:SCRATCH_EN: 0
; COMPUTE_PGM_RSRC2:USER_SGPR: 6
; COMPUTE_PGM_RSRC2:TRAP_HANDLER: 0
; COMPUTE_PGM_RSRC2:TGID_X_EN: 1
; COMPUTE_PGM_RSRC2:TGID_Y_EN: 1
; COMPUTE_PGM_RSRC2:TGID_Z_EN: 0
; COMPUTE_PGM_RSRC2:TIDIG_COMP_CNT: 1
	.section	.text._ZL12mul_mat_q4_1IfLb1EEvPKvS1_PT_iiiii,"axG",@progbits,_ZL12mul_mat_q4_1IfLb1EEvPKvS1_PT_iiiii,comdat
	.globl	_ZL12mul_mat_q4_1IfLb1EEvPKvS1_PT_iiiii ; -- Begin function _ZL12mul_mat_q4_1IfLb1EEvPKvS1_PT_iiiii
	.p2align	8
	.type	_ZL12mul_mat_q4_1IfLb1EEvPKvS1_PT_iiiii,@function
_ZL12mul_mat_q4_1IfLb1EEvPKvS1_PT_iiiii: ; @_ZL12mul_mat_q4_1IfLb1EEvPKvS1_PT_iiiii
; %bb.0:
	s_clause 0x1
	s_load_dwordx4 s[8:11], s[4:5], 0x18
	s_load_dword s14, s[4:5], 0x28
	s_lshl_b32 s7, s7, 6
	v_add_nc_u32_e32 v42, s7, v1
	s_waitcnt lgkmcnt(0)
	s_cmp_gt_i32 s8, 31
	s_cbranch_scc1 .LBB120_2
; %bb.1:
	v_add_nc_u32_e32 v2, s7, v1
	s_mov_b32 s0, 0
	s_branch .LBB120_3
.LBB120_2:
	s_mov_b32 s0, -1
                                        ; implicit-def: $vgpr2
.LBB120_3:
	s_load_dwordx2 s[12:13], s[4:5], 0x10
	v_mov_b32_e32 v31, 0
	v_mov_b32_e32 v35, 0
	;; [unrolled: 1-line block ×32, first 2 shown]
	s_andn2_b32 vcc_lo, exec_lo, s0
	s_lshl_b32 s6, s6, 7
	s_cbranch_vccnz .LBB120_14
; %bb.4:
	s_load_dwordx4 s[0:3], s[4:5], 0x0
	s_ashr_i32 s4, s8, 31
	s_ashr_i32 s5, s11, 31
	s_lshr_b32 s4, s4, 27
	s_lshr_b32 s5, s5, 27
	s_add_i32 s4, s8, s4
	s_add_i32 s5, s11, s5
	s_ashr_i32 s4, s4, 5
	s_ashr_i32 s11, s5, 5
	s_mul_i32 s8, s4, s6
	v_add_nc_u32_e32 v9, 8, v1
	s_mul_i32 s5, s8, 20
	s_mul_hi_i32 s8, s8, 20
	v_lshlrev_b32_e32 v2, 2, v0
	v_add_nc_u32_e32 v38, 16, v1
	v_add_nc_u32_e32 v39, 24, v1
	;; [unrolled: 1-line block ×6, first 2 shown]
	s_waitcnt lgkmcnt(0)
	s_add_u32 s5, s0, s5
	s_addc_u32 s8, s1, s8
	s_not_b32 s0, s6
	v_lshrrev_b32_e32 v69, 3, v0
	s_add_i32 s0, s9, s0
	v_add_nc_u32_e32 v28, 24, v42
	v_min_i32_e32 v3, s0, v1
	v_min_i32_e32 v4, s0, v9
	;; [unrolled: 1-line block ×3, first 2 shown]
	v_lshl_add_u32 v34, v1, 2, v69
	v_add_nc_u32_e32 v30, 32, v42
	v_mad_u64_u32 v[10:11], null, 0x84, v3, v[2:3]
	v_mul_lo_u32 v54, v3, s4
	v_mad_u64_u32 v[11:12], null, 0x84, v4, v[2:3]
	v_min_i32_e32 v3, s0, v39
	v_mul_lo_u32 v56, v4, s4
	v_min_i32_e32 v4, s0, v40
	v_mul_lo_u32 v57, v5, s4
	v_min_i32_e32 v46, s0, v34
	v_mad_u64_u32 v[12:13], null, 0x84, v5, v[2:3]
	v_mul_lo_u32 v58, v3, s4
	v_mad_u64_u32 v[13:14], null, 0x84, v3, v[2:3]
	v_min_i32_e32 v3, s0, v41
	v_mul_lo_u32 v59, v4, s4
	v_add_nc_u32_e32 v5, 64, v1
	v_ashrrev_i32_e32 v6, 31, v46
	v_add_nc_u32_e32 v32, 40, v42
	v_mad_u64_u32 v[14:15], null, 0x84, v4, v[2:3]
	v_min_i32_e32 v4, s0, v43
	v_mul_lo_u32 v61, v3, s4
	v_mad_u64_u32 v[15:16], null, 0x84, v3, v[2:3]
	v_min_i32_e32 v3, s0, v45
	v_mul_lo_u32 v62, v4, s4
	v_min_i32_e32 v5, s0, v5
	v_lshrrev_b32_e32 v6, 30, v6
	s_add_i32 s1, s10, -1
	v_mad_u64_u32 v[16:17], null, 0x84, v4, v[2:3]
	v_add_nc_u32_e32 v4, 0x48, v1
	v_mul_lo_u32 v63, v3, s4
	v_mad_u64_u32 v[17:18], null, 0x84, v3, v[2:3]
	v_mul_lo_u32 v65, v5, s4
	v_min_i32_e32 v3, s0, v4
	v_add_nc_u32_e32 v4, 0x50, v1
	v_cvt_f64_u32_e32 v[28:29], v28
	v_add_nc_u32_e32 v35, 48, v42
	v_cvt_f64_u32_e32 v[30:31], v30
	v_mad_u64_u32 v[18:19], null, 0x84, v5, v[2:3]
	v_add_nc_u32_e32 v5, 0x58, v1
	v_mul_lo_u32 v66, v3, s4
	v_min_i32_e32 v4, s0, v4
	v_mad_u64_u32 v[19:20], null, 0x84, v3, v[2:3]
	v_min_i32_e32 v3, s0, v5
	v_add_nc_u32_e32 v5, 0x60, v1
	v_mul_lo_u32 v70, v4, s4
	v_cvt_f64_u32_e32 v[32:33], v32
	v_add_nc_u32_e32 v7, 8, v42
	v_mad_u64_u32 v[20:21], null, 0x84, v4, v[2:3]
	v_min_i32_e32 v4, s0, v5
	v_add_nc_u32_e32 v5, 0x68, v1
	v_mul_lo_u32 v71, v3, s4
	v_mad_u64_u32 v[21:22], null, 0x84, v3, v[2:3]
	v_mul_lo_u32 v72, v4, s4
	v_min_i32_e32 v3, s0, v5
	v_add_nc_u32_e32 v5, 0x70, v1
	v_add_nc_u32_e32 v37, 56, v42
	;; [unrolled: 1-line block ×3, first 2 shown]
	v_cvt_f64_u32_e32 v[7:8], v7
	v_mad_u64_u32 v[22:23], null, 0x84, v4, v[2:3]
	v_min_i32_e32 v4, s0, v5
	v_add_nc_u32_e32 v5, 0x78, v1
	v_mul_lo_u32 v73, v3, s4
	v_mad_u64_u32 v[23:24], null, 0x84, v3, v[2:3]
	v_mul_lo_u32 v75, v4, s4
	v_min_i32_e32 v3, s0, v5
	v_add_nc_u32_e32 v5, v46, v6
	v_add_nc_u32_e32 v6, 32, v34
	v_min_i32_e32 v52, s0, v52
	v_and_b32_e32 v76, 7, v0
	v_mad_u64_u32 v[24:25], null, 0x84, v4, v[2:3]
	v_add_nc_u32_e32 v4, 64, v34
	v_mul_lo_u32 v77, v3, s4
	v_and_b32_e32 v47, -4, v5
	v_min_i32_e32 v49, s0, v6
	v_mad_u64_u32 v[25:26], null, 0x84, v3, v[2:3]
	v_min_i32_e32 v51, s0, v4
	v_cvt_f64_i32_e32 v[3:4], s1
	v_cvt_f64_u32_e32 v[5:6], v42
	v_ashrrev_i32_e32 v36, 31, v49
	v_add_nc_u32_e32 v26, 16, v42
	v_cvt_f64_u32_e32 v[34:35], v35
	v_ashrrev_i32_e32 v60, 31, v51
	v_ashrrev_i32_e32 v64, 31, v52
	v_lshrrev_b32_e32 v55, 30, v36
	v_cvt_f64_u32_e32 v[26:27], v26
	v_cvt_f64_u32_e32 v[36:37], v37
	v_lshrrev_b32_e32 v60, 30, v60
	v_lshrrev_b32_e32 v50, 2, v0
	v_lshlrev_b32_e32 v48, 2, v76
	v_lshrrev_b32_e32 v64, 30, v64
	v_add_nc_u32_e32 v55, v49, v55
	v_add_nc_u32_e32 v60, v51, v60
	v_mul_lo_u32 v85, v49, s4
	v_add3_u32 v47, v47, v48, 0x6200
	v_add_nc_u32_e32 v64, v52, v64
	v_and_b32_e32 v55, -4, v55
	v_and_b32_e32 v60, -4, v60
	v_and_b32_e32 v53, 12, v2
	v_min_f64 v[28:29], v[28:29], v[3:4]
	v_min_f64 v[5:6], v[5:6], v[3:4]
	;; [unrolled: 1-line block ×6, first 2 shown]
	v_add3_u32 v55, v55, v48, 0x6200
	v_and_b32_e32 v2, 28, v2
	v_min_f64 v[26:27], v[26:27], v[3:4]
	v_min_f64 v[3:4], v[36:37], v[3:4]
	v_lshlrev_b32_e32 v36, 5, v49
	v_add3_u32 v49, v60, v48, 0x6200
	v_lshl_add_u32 v60, v1, 3, v50
	v_and_b32_e32 v37, -4, v64
	v_mul_lo_u32 v79, v46, s4
	v_lshlrev_b32_e32 v46, 5, v46
	v_mul_lo_u32 v86, v51, s4
	v_lshlrev_b32_e32 v51, 5, v51
	v_add3_u32 v37, v37, v48, 0x6200
	v_mul_lo_u32 v87, v52, s4
	v_mov_b32_e32 v44, 0
	v_mul_u32_u24_e32 v97, 0x84, v0
	v_cvt_i32_f64_e32 v28, v[28:29]
	v_cvt_i32_f64_e32 v6, v[5:6]
	;; [unrolled: 1-line block ×6, first 2 shown]
	v_and_b32_e32 v8, 63, v60
	v_and_b32_e32 v5, 3, v0
	v_cvt_i32_f64_e32 v48, v[26:27]
	v_cvt_i32_f64_e32 v3, v[3:4]
	v_and_b32_e32 v33, 31, v0
	v_or_b32_e32 v26, s7, v8
	v_lshlrev_b32_e32 v27, 2, v5
	v_and_b32_e32 v35, 0xfc, v0
	v_lshlrev_b32_e32 v29, 5, v52
	v_lshl_or_b32 v33, v33, 2, 0x4200
	v_min_i32_e32 v4, s1, v26
	v_lshl_or_b32 v8, v8, 4, v27
	v_lshl_add_u32 v103, v1, 4, 0x7280
	v_mad_u32_u24 v105, 0x84, v0, 64
	v_add_nc_u32_e32 v110, v47, v46
	v_add_nc_u32_e32 v111, v55, v36
	v_mul_lo_u32 v92, s11, v28
	v_mad_u64_u32 v[26:27], null, v4, s11, v[5:6]
	v_mul_lo_u32 v94, s11, v31
	v_add_nc_u32_e32 v27, 0x60, v0
	v_add_nc_u32_e32 v28, 64, v0
	;; [unrolled: 1-line block ×3, first 2 shown]
	v_mul_lo_u32 v95, s11, v32
	v_lshlrev_b32_e32 v32, 5, v0
	v_and_b32_e32 v27, 0x1fc, v27
	v_and_b32_e32 v28, 0x1fc, v28
	;; [unrolled: 1-line block ×3, first 2 shown]
	v_add_nc_u32_e32 v88, 0x7280, v8
	v_mul_lo_u32 v89, s11, v6
	v_lshlrev_b32_e32 v4, 7, v1
	v_mul_lo_u32 v90, s11, v7
	v_lshlrev_b32_e32 v5, 7, v9
	v_lshlrev_b32_e32 v6, 7, v38
	;; [unrolled: 1-line block ×3, first 2 shown]
	v_mul_lo_u32 v93, s11, v30
	v_lshlrev_b32_e32 v8, 7, v40
	v_lshlrev_b32_e32 v9, 7, v41
	;; [unrolled: 1-line block ×3, first 2 shown]
	v_mul_lo_u32 v96, s11, v3
	v_lshlrev_b32_e32 v3, 7, v45
	v_lshrrev_b32_e32 v98, 3, v31
	v_add_nc_u32_e32 v31, v32, v27
	v_add_nc_u32_e32 v38, v32, v28
	;; [unrolled: 1-line block ×4, first 2 shown]
	v_mul_lo_u32 v91, s11, v48
	v_add_co_u32 v27, s0, s2, v2
	v_add_co_ci_u32_e64 v28, null, s3, 0, s0
	v_add_nc_u32_e32 v99, 0x6e00, v31
	v_add_nc_u32_e32 v100, 0x6a00, v38
	;; [unrolled: 1-line block ×19, first 2 shown]
	v_mov_b32_e32 v81, 0
	v_mov_b32_e32 v68, 0
	;; [unrolled: 1-line block ×31, first 2 shown]
	s_add_i32 s9, s4, 3
	s_mov_b32 s11, 0
	s_branch .LBB120_6
.LBB120_5:                              ;   in Loop: Header=BB120_6 Depth=1
	s_add_i32 s11, s11, 8
	s_add_i32 s9, s9, -8
	s_cmp_ge_i32 s11, s4
	s_cbranch_scc1 .LBB120_13
.LBB120_6:                              ; =>This Loop Header: Depth=1
                                        ;     Child Loop BB120_8 Depth 2
                                        ;     Child Loop BB120_11 Depth 2
	s_mul_i32 s0, s11, 20
	s_mul_hi_u32 s1, s11, 20
	s_add_u32 s0, s5, s0
	s_addc_u32 s1, s8, s1
	s_cmp_gt_u32 s9, 3
	v_mad_u64_u32 v[2:3], null, v50, 20, s[0:1]
	v_mad_i64_i32 v[4:5], null, v54, 20, v[2:3]
	v_add_co_u32 v4, vcc_lo, v4, v53
	v_add_co_ci_u32_e64 v5, null, 0, v5, vcc_lo
	global_load_dword v4, v[4:5], off offset:4
	s_waitcnt vmcnt(0)
	ds_write_b32 v10, v4
	v_mad_i64_i32 v[4:5], null, v56, 20, v[2:3]
	v_add_co_u32 v4, vcc_lo, v4, v53
	v_add_co_ci_u32_e64 v5, null, 0, v5, vcc_lo
	global_load_dword v4, v[4:5], off offset:4
	s_waitcnt vmcnt(0)
	ds_write_b32 v11, v4
	;; [unrolled: 6-line block ×14, first 2 shown]
	v_mad_i64_i32 v[4:5], null, v75, 20, v[2:3]
	v_mad_i64_i32 v[2:3], null, v77, 20, v[2:3]
	v_add_co_u32 v4, vcc_lo, v4, v53
	v_add_co_ci_u32_e64 v5, null, 0, v5, vcc_lo
	v_add_co_u32 v2, vcc_lo, v2, v53
	v_add_co_ci_u32_e64 v3, null, 0, v3, vcc_lo
	s_clause 0x1
	global_load_dword v4, v[4:5], off offset:4
	global_load_dword v2, v[2:3], off offset:4
	s_waitcnt vmcnt(1)
	ds_write_b32 v24, v4
	s_waitcnt vmcnt(0)
	ds_write_b32 v25, v2
	v_mad_u64_u32 v[2:3], null, v76, 20, s[0:1]
	v_mad_i64_i32 v[4:5], null, v79, 20, v[2:3]
	global_load_dword v4, v[4:5], off
	s_waitcnt vmcnt(0)
	ds_write_b32 v110, v4
	v_mad_i64_i32 v[4:5], null, v85, 20, v[2:3]
	global_load_dword v4, v[4:5], off
	s_waitcnt vmcnt(0)
	ds_write_b32 v111, v4
	v_mad_i64_i32 v[4:5], null, v86, 20, v[2:3]
	v_mad_i64_i32 v[2:3], null, v87, 20, v[2:3]
	s_clause 0x1
	global_load_dword v4, v[4:5], off
	global_load_dword v2, v[2:3], off
	s_waitcnt vmcnt(1)
	ds_write_b32 v112, v4
	s_waitcnt vmcnt(0)
	ds_write_b32 v113, v2
	s_cbranch_scc0 .LBB120_5
; %bb.7:                                ;   in Loop: Header=BB120_6 Depth=1
	v_add_nc_u32_e32 v5, s11, v69
	v_add_nc_u32_e32 v4, s11, v26
	v_mov_b32_e32 v6, v103
	v_mov_b32_e32 v7, v102
	;; [unrolled: 1-line block ×3, first 2 shown]
	v_add_nc_u32_e32 v2, v5, v89
	v_mov_b32_e32 v9, v100
	v_mov_b32_e32 v29, v99
	;; [unrolled: 1-line block ×3, first 2 shown]
	s_mov_b32 s0, -4
	v_mad_i64_i32 v[2:3], null, v2, 36, v[27:28]
	global_load_dword v2, v[2:3], off offset:4
	s_waitcnt vmcnt(0)
	ds_write_b32 v114, v2
	v_add_nc_u32_e32 v2, v5, v90
	v_mad_i64_i32 v[2:3], null, v2, 36, v[27:28]
	global_load_dword v2, v[2:3], off offset:4
	s_waitcnt vmcnt(0)
	ds_write_b32 v115, v2
	v_add_nc_u32_e32 v2, v5, v91
	;; [unrolled: 5-line block ×7, first 2 shown]
	v_mov_b32_e32 v5, v104
	v_mad_i64_i32 v[2:3], null, v2, 36, v[27:28]
	global_load_dword v2, v[2:3], off offset:4
	s_waitcnt vmcnt(0)
	ds_write_b32 v121, v2
	v_mad_u64_u32 v[2:3], null, v4, 36, s[2:3]
	global_load_dword v2, v[2:3], off
	s_waitcnt vmcnt(0)
	ds_write_b32 v88, v2
	s_waitcnt lgkmcnt(0)
	s_barrier
	buffer_gl0_inv
.LBB120_8:                              ;   Parent Loop BB120_6 Depth=1
                                        ; =>  This Inner Loop Header: Depth=2
	ds_read_b128 v[155:158], v5
	ds_read_b128 v[159:162], v5 offset:16
	ds_read2_b32 v[2:3], v6 offset1:32
	ds_read_b32 v122, v7
	ds_read2_b32 v[123:124], v30 offset1:1
	v_mov_b32_e32 v127, 0
	v_add_nc_u32_e32 v146, 0x2108, v30
	v_mov_b32_e32 v163, 0
	v_add_nc_u32_e32 v154, 0x3188, v30
	v_add_nc_u32_e32 v7, 4, v7
	s_add_i32 s0, s0, 4
	s_cmp_lt_u32 s0, 12
	s_waitcnt lgkmcnt(1)
	v_pk_mul_f16 v166, v122, v3
	s_waitcnt lgkmcnt(0)
	v_and_b32_e32 v125, 0xf0f0f0f, v123
	v_lshrrev_b32_e32 v123, 4, v123
	v_and_b32_e32 v130, 0xf0f0f0f, v124
	v_dot4c_i32_i8 v127, v125, v155
	v_and_b32_e32 v126, 0xf0f0f0f, v123
	v_lshrrev_b32_e32 v123, 4, v124
	v_dot4c_i32_i8 v127, v126, v159
	v_and_b32_e32 v131, 0xf0f0f0f, v123
	ds_read2_b32 v[123:124], v30 offset0:2 offset1:3
	v_dot4c_i32_i8 v127, v130, v156
	v_dot4c_i32_i8 v127, v131, v160
	s_waitcnt lgkmcnt(0)
	v_and_b32_e32 v134, 0xf0f0f0f, v123
	v_lshrrev_b32_e32 v123, 4, v123
	v_and_b32_e32 v136, 0xf0f0f0f, v124
	v_dot4c_i32_i8 v127, v134, v157
	v_and_b32_e32 v135, 0xf0f0f0f, v123
	v_lshrrev_b32_e32 v123, 4, v124
	v_dot4c_i32_i8 v127, v135, v161
	v_and_b32_e32 v137, 0xf0f0f0f, v123
	v_pk_mul_f16 v123, v2, v122
	v_dot4c_i32_i8 v127, v136, v158
	v_dot4c_i32_i8 v127, v137, v162
	v_cvt_f32_i32_e32 v124, v127
	v_fma_mix_f32 v123, v123, v124, v123 op_sel:[0,0,1] op_sel_hi:[1,0,1]
	v_add_nc_u32_e32 v124, 0x1080, v30
	v_add_f32_e32 v44, v44, v123
	ds_read_b32 v123, v8
	ds_read2_b32 v[128:129], v124 offset1:1
	v_add_nc_u32_e32 v8, 4, v8
	s_waitcnt lgkmcnt(0)
	v_and_b32_e32 v132, 0xf0f0f0f, v129
	v_lshrrev_b32_e32 v129, 4, v129
	v_lshrrev_b32_e32 v124, 4, v128
	v_and_b32_e32 v127, 0xf0f0f0f, v128
	v_and_b32_e32 v133, 0xf0f0f0f, v129
	v_add_nc_u32_e32 v129, 0x1088, v30
	v_and_b32_e32 v128, 0xf0f0f0f, v124
	v_mov_b32_e32 v124, 0
	ds_read2_b32 v[140:141], v129 offset1:1
	v_dot4c_i32_i8 v124, v127, v155
	v_dot4c_i32_i8 v124, v128, v159
	;; [unrolled: 1-line block ×4, first 2 shown]
	s_waitcnt lgkmcnt(0)
	v_and_b32_e32 v138, 0xf0f0f0f, v140
	v_lshrrev_b32_e32 v129, 4, v140
	v_and_b32_e32 v140, 0xf0f0f0f, v141
	v_dot4c_i32_i8 v124, v138, v157
	v_and_b32_e32 v139, 0xf0f0f0f, v129
	v_lshrrev_b32_e32 v129, 4, v141
	v_dot4c_i32_i8 v124, v139, v161
	v_and_b32_e32 v141, 0xf0f0f0f, v129
	v_pk_mul_f16 v129, v2, v123
	v_dot4c_i32_i8 v124, v140, v158
	v_dot4c_i32_i8 v124, v141, v162
	v_cvt_f32_i32_e32 v124, v124
	v_fma_mix_f32 v124, v129, v124, v129 op_sel:[0,0,1] op_sel_hi:[1,0,1]
	v_add_f32_e32 v84, v84, v124
	v_add_nc_u32_e32 v124, 0x2100, v30
	ds_read_b32 v129, v9
	ds_read2_b32 v[144:145], v124 offset1:1
	ds_read2_b32 v[148:149], v146 offset1:1
	v_add_nc_u32_e32 v9, 4, v9
	s_waitcnt lgkmcnt(2)
	v_pk_mul_f16 v150, v2, v129
	s_waitcnt lgkmcnt(1)
	v_lshrrev_b32_e32 v124, 4, v144
	v_and_b32_e32 v142, 0xf0f0f0f, v144
	v_and_b32_e32 v144, 0xf0f0f0f, v145
	v_lshrrev_b32_e32 v145, 4, v145
	s_waitcnt lgkmcnt(0)
	v_and_b32_e32 v146, 0xf0f0f0f, v148
	v_and_b32_e32 v143, 0xf0f0f0f, v124
	v_mov_b32_e32 v124, 0
	v_lshrrev_b32_e32 v147, 4, v148
	v_and_b32_e32 v145, 0xf0f0f0f, v145
	v_and_b32_e32 v148, 0xf0f0f0f, v149
	v_lshrrev_b32_e32 v149, 4, v149
	v_dot4c_i32_i8 v124, v142, v155
	v_and_b32_e32 v147, 0xf0f0f0f, v147
	v_and_b32_e32 v149, 0xf0f0f0f, v149
	v_dot4c_i32_i8 v124, v143, v159
	v_dot4c_i32_i8 v124, v144, v156
	;; [unrolled: 1-line block ×7, first 2 shown]
	v_cvt_f32_i32_e32 v124, v124
	v_fma_mix_f32 v124, v150, v124, v150 op_sel:[0,0,1] op_sel_hi:[1,0,1]
	v_add_nc_u32_e32 v150, 0x3180, v30
	v_add_nc_u32_e32 v30, 16, v30
	v_add_f32_e32 v83, v83, v124
	ds_read_b32 v124, v29
	ds_read2_b32 v[152:153], v150 offset1:1
	v_add_nc_u32_e32 v29, 4, v29
	s_waitcnt lgkmcnt(1)
	v_pk_mul_f16 v2, v2, v124
	s_waitcnt lgkmcnt(0)
	v_and_b32_e32 v150, 0xf0f0f0f, v152
	v_lshrrev_b32_e32 v151, 4, v152
	v_and_b32_e32 v152, 0xf0f0f0f, v153
	v_lshrrev_b32_e32 v153, 4, v153
	v_dot4c_i32_i8 v163, v150, v155
	v_and_b32_e32 v151, 0xf0f0f0f, v151
	v_and_b32_e32 v153, 0xf0f0f0f, v153
	v_dot4c_i32_i8 v163, v151, v159
	v_dot4c_i32_i8 v163, v152, v156
	;; [unrolled: 1-line block ×3, first 2 shown]
	ds_read2_b32 v[159:160], v154 offset1:1
	s_waitcnt lgkmcnt(0)
	v_and_b32_e32 v154, 0xf0f0f0f, v159
	v_lshrrev_b32_e32 v155, 4, v159
	v_and_b32_e32 v156, 0xf0f0f0f, v160
	v_dot4c_i32_i8 v163, v154, v157
	v_and_b32_e32 v155, 0xf0f0f0f, v155
	v_lshrrev_b32_e32 v157, 4, v160
	v_dot4c_i32_i8 v163, v155, v161
	v_and_b32_e32 v157, 0xf0f0f0f, v157
	v_dot4c_i32_i8 v163, v156, v158
	v_dot4c_i32_i8 v163, v157, v162
	v_cvt_f32_i32_e32 v158, v163
	v_fma_mix_f32 v2, v2, v158, v2 op_sel:[0,0,1] op_sel_hi:[1,0,1]
	ds_read_b128 v[158:161], v5 offset:1024
	ds_read_b128 v[162:165], v5 offset:1040
	v_add_f32_e32 v82, v82, v2
	v_mov_b32_e32 v2, 0
	s_waitcnt lgkmcnt(1)
	v_dot4c_i32_i8 v2, v125, v158
	s_waitcnt lgkmcnt(0)
	v_dot4c_i32_i8 v2, v126, v162
	v_dot4c_i32_i8 v2, v130, v159
	;; [unrolled: 1-line block ×7, first 2 shown]
	v_cvt_f32_i32_e32 v2, v2
	v_fma_mix_f32 v2, v2, v166, v166 op_sel:[0,0,1] op_sel_hi:[0,1,1]
	v_pk_mul_f16 v166, v123, v3
	v_add_f32_e32 v81, v81, v2
	v_mov_b32_e32 v2, 0
	v_dot4c_i32_i8 v2, v127, v158
	v_dot4c_i32_i8 v2, v128, v162
	v_dot4c_i32_i8 v2, v132, v159
	v_dot4c_i32_i8 v2, v133, v163
	v_dot4c_i32_i8 v2, v138, v160
	v_dot4c_i32_i8 v2, v139, v164
	v_dot4c_i32_i8 v2, v140, v161
	v_dot4c_i32_i8 v2, v141, v165
	v_cvt_f32_i32_e32 v2, v2
	v_fma_mix_f32 v2, v2, v166, v166 op_sel:[0,0,1] op_sel_hi:[0,1,1]
	v_pk_mul_f16 v166, v129, v3
	v_pk_mul_f16 v3, v124, v3
	v_add_f32_e32 v80, v80, v2
	v_mov_b32_e32 v2, 0
	v_dot4c_i32_i8 v2, v142, v158
	v_dot4c_i32_i8 v2, v143, v162
	;; [unrolled: 1-line block ×8, first 2 shown]
	v_cvt_f32_i32_e32 v2, v2
	v_fma_mix_f32 v2, v2, v166, v166 op_sel:[0,0,1] op_sel_hi:[0,1,1]
	v_mov_b32_e32 v166, 0
	v_add_f32_e32 v78, v78, v2
	v_mov_b32_e32 v2, 0
	v_dot4c_i32_i8 v2, v150, v158
	v_dot4c_i32_i8 v2, v151, v162
	;; [unrolled: 1-line block ×8, first 2 shown]
	v_cvt_f32_i32_e32 v2, v2
	v_fma_mix_f32 v2, v2, v3, v3 op_sel:[0,0,1] op_sel_hi:[0,1,1]
	v_add_f32_e32 v74, v74, v2
	ds_read_b128 v[158:161], v5 offset:2048
	ds_read_b128 v[162:165], v5 offset:2064
	ds_read2_b32 v[2:3], v6 offset0:64 offset1:96
	s_waitcnt lgkmcnt(2)
	v_dot4c_i32_i8 v166, v125, v158
	s_waitcnt lgkmcnt(0)
	v_pk_mul_f16 v167, v122, v2
	v_dot4c_i32_i8 v166, v126, v162
	v_dot4c_i32_i8 v166, v130, v159
	v_dot4c_i32_i8 v166, v131, v163
	v_dot4c_i32_i8 v166, v134, v160
	v_dot4c_i32_i8 v166, v135, v164
	v_dot4c_i32_i8 v166, v136, v161
	v_dot4c_i32_i8 v166, v137, v165
	v_cvt_f32_i32_e32 v166, v166
	v_fma_mix_f32 v166, v166, v167, v167 op_sel:[0,0,1] op_sel_hi:[0,1,1]
	v_pk_mul_f16 v167, v123, v2
	v_add_f32_e32 v68, v68, v166
	v_mov_b32_e32 v166, 0
	v_dot4c_i32_i8 v166, v127, v158
	v_dot4c_i32_i8 v166, v128, v162
	;; [unrolled: 1-line block ×8, first 2 shown]
	v_cvt_f32_i32_e32 v166, v166
	v_fma_mix_f32 v166, v166, v167, v167 op_sel:[0,0,1] op_sel_hi:[0,1,1]
	v_pk_mul_f16 v167, v129, v2
	v_pk_mul_f16 v2, v124, v2
	v_add_f32_e32 v67, v67, v166
	v_mov_b32_e32 v166, 0
	v_dot4c_i32_i8 v166, v142, v158
	v_dot4c_i32_i8 v166, v143, v162
	;; [unrolled: 1-line block ×8, first 2 shown]
	v_cvt_f32_i32_e32 v166, v166
	v_fma_mix_f32 v166, v166, v167, v167 op_sel:[0,0,1] op_sel_hi:[0,1,1]
	v_add_f32_e32 v64, v64, v166
	v_mov_b32_e32 v166, 0
	v_dot4c_i32_i8 v166, v150, v158
	v_dot4c_i32_i8 v166, v151, v162
	v_dot4c_i32_i8 v166, v152, v159
	v_dot4c_i32_i8 v166, v153, v163
	v_dot4c_i32_i8 v166, v154, v160
	v_dot4c_i32_i8 v166, v155, v164
	v_dot4c_i32_i8 v166, v156, v161
	v_dot4c_i32_i8 v166, v157, v165
	v_cvt_f32_i32_e32 v158, v166
	v_pk_mul_f16 v166, v122, v3
	v_fma_mix_f32 v2, v158, v2, v2 op_sel:[0,0,1] op_sel_hi:[0,1,1]
	ds_read_b128 v[158:161], v5 offset:3072
	ds_read_b128 v[162:165], v5 offset:3088
	v_add_f32_e32 v60, v60, v2
	v_mov_b32_e32 v2, 0
	s_waitcnt lgkmcnt(1)
	v_dot4c_i32_i8 v2, v125, v158
	s_waitcnt lgkmcnt(0)
	v_dot4c_i32_i8 v2, v126, v162
	v_dot4c_i32_i8 v2, v130, v159
	;; [unrolled: 1-line block ×7, first 2 shown]
	v_cvt_f32_i32_e32 v2, v2
	v_fma_mix_f32 v2, v2, v166, v166 op_sel:[0,0,1] op_sel_hi:[0,1,1]
	v_pk_mul_f16 v166, v123, v3
	v_add_f32_e32 v55, v55, v2
	v_mov_b32_e32 v2, 0
	v_dot4c_i32_i8 v2, v127, v158
	v_dot4c_i32_i8 v2, v128, v162
	;; [unrolled: 1-line block ×8, first 2 shown]
	v_cvt_f32_i32_e32 v2, v2
	v_fma_mix_f32 v2, v2, v166, v166 op_sel:[0,0,1] op_sel_hi:[0,1,1]
	v_pk_mul_f16 v166, v129, v3
	v_pk_mul_f16 v3, v124, v3
	v_add_f32_e32 v52, v52, v2
	v_mov_b32_e32 v2, 0
	v_dot4c_i32_i8 v2, v142, v158
	v_dot4c_i32_i8 v2, v143, v162
	;; [unrolled: 1-line block ×8, first 2 shown]
	v_cvt_f32_i32_e32 v2, v2
	v_fma_mix_f32 v2, v2, v166, v166 op_sel:[0,0,1] op_sel_hi:[0,1,1]
	v_mov_b32_e32 v166, 0
	v_add_f32_e32 v51, v51, v2
	v_mov_b32_e32 v2, 0
	v_dot4c_i32_i8 v2, v150, v158
	v_dot4c_i32_i8 v2, v151, v162
	;; [unrolled: 1-line block ×8, first 2 shown]
	v_cvt_f32_i32_e32 v2, v2
	v_fma_mix_f32 v2, v2, v3, v3 op_sel:[0,0,1] op_sel_hi:[0,1,1]
	v_add_f32_e32 v49, v49, v2
	ds_read_b128 v[158:161], v5 offset:4096
	ds_read_b128 v[162:165], v5 offset:4112
	ds_read2_b32 v[2:3], v6 offset0:128 offset1:160
	s_waitcnt lgkmcnt(2)
	v_dot4c_i32_i8 v166, v125, v158
	s_waitcnt lgkmcnt(0)
	v_pk_mul_f16 v167, v122, v2
	v_dot4c_i32_i8 v166, v126, v162
	v_dot4c_i32_i8 v166, v130, v159
	;; [unrolled: 1-line block ×7, first 2 shown]
	v_cvt_f32_i32_e32 v166, v166
	v_fma_mix_f32 v166, v166, v167, v167 op_sel:[0,0,1] op_sel_hi:[0,1,1]
	v_pk_mul_f16 v167, v123, v2
	v_add_f32_e32 v48, v48, v166
	v_mov_b32_e32 v166, 0
	v_dot4c_i32_i8 v166, v127, v158
	v_dot4c_i32_i8 v166, v128, v162
	;; [unrolled: 1-line block ×8, first 2 shown]
	v_cvt_f32_i32_e32 v166, v166
	v_fma_mix_f32 v166, v166, v167, v167 op_sel:[0,0,1] op_sel_hi:[0,1,1]
	v_pk_mul_f16 v167, v129, v2
	v_pk_mul_f16 v2, v124, v2
	v_add_f32_e32 v47, v47, v166
	v_mov_b32_e32 v166, 0
	v_dot4c_i32_i8 v166, v142, v158
	v_dot4c_i32_i8 v166, v143, v162
	v_dot4c_i32_i8 v166, v144, v159
	v_dot4c_i32_i8 v166, v145, v163
	v_dot4c_i32_i8 v166, v146, v160
	v_dot4c_i32_i8 v166, v147, v164
	v_dot4c_i32_i8 v166, v148, v161
	v_dot4c_i32_i8 v166, v149, v165
	v_cvt_f32_i32_e32 v166, v166
	v_fma_mix_f32 v166, v166, v167, v167 op_sel:[0,0,1] op_sel_hi:[0,1,1]
	v_add_f32_e32 v46, v46, v166
	v_mov_b32_e32 v166, 0
	v_dot4c_i32_i8 v166, v150, v158
	v_dot4c_i32_i8 v166, v151, v162
	;; [unrolled: 1-line block ×8, first 2 shown]
	v_cvt_f32_i32_e32 v158, v166
	v_pk_mul_f16 v166, v122, v3
	v_fma_mix_f32 v2, v158, v2, v2 op_sel:[0,0,1] op_sel_hi:[0,1,1]
	ds_read_b128 v[158:161], v5 offset:5120
	ds_read_b128 v[162:165], v5 offset:5136
	v_add_f32_e32 v45, v45, v2
	v_mov_b32_e32 v2, 0
	s_waitcnt lgkmcnt(1)
	v_dot4c_i32_i8 v2, v125, v158
	s_waitcnt lgkmcnt(0)
	v_dot4c_i32_i8 v2, v126, v162
	v_dot4c_i32_i8 v2, v130, v159
	;; [unrolled: 1-line block ×7, first 2 shown]
	v_cvt_f32_i32_e32 v2, v2
	v_fma_mix_f32 v2, v2, v166, v166 op_sel:[0,0,1] op_sel_hi:[0,1,1]
	v_pk_mul_f16 v166, v123, v3
	v_add_f32_e32 v43, v43, v2
	v_mov_b32_e32 v2, 0
	v_dot4c_i32_i8 v2, v127, v158
	v_dot4c_i32_i8 v2, v128, v162
	v_dot4c_i32_i8 v2, v132, v159
	v_dot4c_i32_i8 v2, v133, v163
	v_dot4c_i32_i8 v2, v138, v160
	v_dot4c_i32_i8 v2, v139, v164
	v_dot4c_i32_i8 v2, v140, v161
	v_dot4c_i32_i8 v2, v141, v165
	v_cvt_f32_i32_e32 v2, v2
	v_fma_mix_f32 v2, v2, v166, v166 op_sel:[0,0,1] op_sel_hi:[0,1,1]
	v_pk_mul_f16 v166, v129, v3
	v_pk_mul_f16 v3, v124, v3
	v_add_f32_e32 v41, v41, v2
	v_mov_b32_e32 v2, 0
	v_dot4c_i32_i8 v2, v142, v158
	v_dot4c_i32_i8 v2, v143, v162
	;; [unrolled: 1-line block ×8, first 2 shown]
	v_cvt_f32_i32_e32 v2, v2
	v_fma_mix_f32 v2, v2, v166, v166 op_sel:[0,0,1] op_sel_hi:[0,1,1]
	v_mov_b32_e32 v166, 0
	v_add_f32_e32 v40, v40, v2
	v_mov_b32_e32 v2, 0
	v_dot4c_i32_i8 v2, v150, v158
	v_dot4c_i32_i8 v2, v151, v162
	;; [unrolled: 1-line block ×8, first 2 shown]
	v_cvt_f32_i32_e32 v2, v2
	v_fma_mix_f32 v2, v2, v3, v3 op_sel:[0,0,1] op_sel_hi:[0,1,1]
	v_add_f32_e32 v39, v39, v2
	ds_read_b128 v[158:161], v5 offset:6144
	ds_read_b128 v[162:165], v5 offset:6160
	ds_read2_b32 v[2:3], v6 offset0:192 offset1:224
	v_add_nc_u32_e32 v6, 4, v6
	s_waitcnt lgkmcnt(2)
	v_dot4c_i32_i8 v166, v125, v158
	s_waitcnt lgkmcnt(0)
	v_pk_mul_f16 v167, v122, v2
	v_pk_mul_f16 v122, v122, v3
	v_dot4c_i32_i8 v166, v126, v162
	v_dot4c_i32_i8 v166, v130, v159
	;; [unrolled: 1-line block ×7, first 2 shown]
	v_cvt_f32_i32_e32 v166, v166
	v_fma_mix_f32 v166, v166, v167, v167 op_sel:[0,0,1] op_sel_hi:[0,1,1]
	v_pk_mul_f16 v167, v123, v2
	v_add_f32_e32 v38, v38, v166
	v_mov_b32_e32 v166, 0
	v_dot4c_i32_i8 v166, v127, v158
	v_dot4c_i32_i8 v166, v128, v162
	;; [unrolled: 1-line block ×8, first 2 shown]
	v_cvt_f32_i32_e32 v166, v166
	v_fma_mix_f32 v166, v166, v167, v167 op_sel:[0,0,1] op_sel_hi:[0,1,1]
	v_pk_mul_f16 v167, v129, v2
	v_pk_mul_f16 v2, v124, v2
	v_add_f32_e32 v37, v37, v166
	v_mov_b32_e32 v166, 0
	v_dot4c_i32_i8 v166, v142, v158
	v_dot4c_i32_i8 v166, v143, v162
	;; [unrolled: 1-line block ×8, first 2 shown]
	v_cvt_f32_i32_e32 v166, v166
	v_fma_mix_f32 v166, v166, v167, v167 op_sel:[0,0,1] op_sel_hi:[0,1,1]
	v_add_f32_e32 v36, v36, v166
	v_mov_b32_e32 v166, 0
	v_dot4c_i32_i8 v166, v150, v158
	v_dot4c_i32_i8 v166, v151, v162
	;; [unrolled: 1-line block ×8, first 2 shown]
	v_cvt_f32_i32_e32 v158, v166
	v_fma_mix_f32 v2, v158, v2, v2 op_sel:[0,0,1] op_sel_hi:[0,1,1]
	ds_read_b128 v[158:161], v5 offset:7168
	ds_read_b128 v[162:165], v5 offset:7184
	v_add_nc_u32_e32 v5, 32, v5
	v_add_f32_e32 v35, v35, v2
	v_mov_b32_e32 v2, 0
	s_waitcnt lgkmcnt(1)
	v_dot4c_i32_i8 v2, v125, v158
	s_waitcnt lgkmcnt(0)
	v_dot4c_i32_i8 v2, v126, v162
	v_dot4c_i32_i8 v2, v130, v159
	;; [unrolled: 1-line block ×7, first 2 shown]
	v_cvt_f32_i32_e32 v2, v2
	v_fma_mix_f32 v2, v2, v122, v122 op_sel:[0,0,1] op_sel_hi:[0,1,1]
	v_pk_mul_f16 v122, v123, v3
	v_add_f32_e32 v34, v34, v2
	v_mov_b32_e32 v2, 0
	v_dot4c_i32_i8 v2, v127, v158
	v_dot4c_i32_i8 v2, v128, v162
	;; [unrolled: 1-line block ×8, first 2 shown]
	v_cvt_f32_i32_e32 v2, v2
	v_fma_mix_f32 v2, v2, v122, v122 op_sel:[0,0,1] op_sel_hi:[0,1,1]
	v_pk_mul_f16 v122, v129, v3
	v_pk_mul_f16 v3, v124, v3
	v_add_f32_e32 v33, v33, v2
	v_mov_b32_e32 v2, 0
	v_dot4c_i32_i8 v2, v142, v158
	v_dot4c_i32_i8 v2, v143, v162
	;; [unrolled: 1-line block ×8, first 2 shown]
	v_cvt_f32_i32_e32 v2, v2
	v_fma_mix_f32 v2, v2, v122, v122 op_sel:[0,0,1] op_sel_hi:[0,1,1]
	v_add_f32_e32 v32, v32, v2
	v_mov_b32_e32 v2, 0
	v_dot4c_i32_i8 v2, v150, v158
	v_dot4c_i32_i8 v2, v151, v162
	;; [unrolled: 1-line block ×8, first 2 shown]
	v_cvt_f32_i32_e32 v2, v2
	v_fma_mix_f32 v2, v2, v3, v3 op_sel:[0,0,1] op_sel_hi:[0,1,1]
	v_add_f32_e32 v31, v31, v2
	s_cbranch_scc1 .LBB120_8
; %bb.9:                                ;   in Loop: Header=BB120_6 Depth=1
	s_and_b32 s0, s9, -4
	s_cmp_eq_u32 s0, 4
	s_barrier
	buffer_gl0_inv
	s_cbranch_scc1 .LBB120_5
; %bb.10:                               ;   in Loop: Header=BB120_6 Depth=1
	v_add_nc_u32_e32 v9, s11, v98
	v_add_nc_u32_e32 v4, 4, v4
	s_mov_b32 s0, 12
	v_add_nc_u32_e32 v2, v9, v89
	v_add_nc_u32_e32 v5, v9, v90
	;; [unrolled: 1-line block ×5, first 2 shown]
	v_mad_u64_u32 v[124:125], null, v4, 36, s[2:3]
	v_mad_i64_i32 v[2:3], null, v2, 36, v[27:28]
	v_add_nc_u32_e32 v126, v9, v94
	v_mad_i64_i32 v[5:6], null, v5, 36, v[27:28]
	v_add_nc_u32_e32 v128, v9, v95
	v_mad_i64_i32 v[7:8], null, v7, 36, v[27:28]
	v_add_nc_u32_e32 v4, v9, v96
	v_mad_i64_i32 v[29:30], null, v29, 36, v[27:28]
	v_mad_i64_i32 v[122:123], null, v122, 36, v[27:28]
	;; [unrolled: 1-line block ×5, first 2 shown]
	s_clause 0x8
	global_load_dword v4, v[124:125], off
	global_load_dword v2, v[2:3], off offset:4
	global_load_dword v3, v[5:6], off offset:4
	;; [unrolled: 1-line block ×8, first 2 shown]
	v_mov_b32_e32 v122, v103
	v_mov_b32_e32 v123, v104
	;; [unrolled: 1-line block ×7, first 2 shown]
	s_waitcnt vmcnt(8)
	ds_write_b32 v88, v4
	s_waitcnt vmcnt(7)
	ds_write_b32 v114, v2
	s_waitcnt vmcnt(6)
	ds_write_b32 v115, v3
	s_waitcnt vmcnt(5)
	ds_write_b32 v116, v5
	s_waitcnt vmcnt(4)
	ds_write_b32 v117, v6
	s_waitcnt vmcnt(3)
	ds_write_b32 v118, v7
	s_waitcnt vmcnt(2)
	ds_write_b32 v119, v8
	s_waitcnt vmcnt(1)
	ds_write_b32 v120, v9
	s_waitcnt vmcnt(0)
	ds_write_b32 v121, v29
	s_waitcnt lgkmcnt(0)
	s_barrier
	buffer_gl0_inv
.LBB120_11:                             ;   Parent Loop BB120_6 Depth=1
                                        ; =>  This Inner Loop Header: Depth=2
	ds_read_b128 v[2:5], v123
	ds_read_b128 v[6:9], v123 offset:16
	ds_read2_b32 v[29:30], v122 offset1:32
	ds_read_b32 v144, v124
	ds_read2_b32 v[129:130], v128 offset1:1
	v_mov_b32_e32 v131, 0
	v_add_nc_u32_e32 v134, 0x2108, v128
	v_mov_b32_e32 v138, 0
	v_mov_b32_e32 v162, 0
	v_add_nc_u32_e32 v124, 4, v124
	s_add_i32 s0, s0, 4
	s_cmp_lt_u32 s0, 28
	s_waitcnt lgkmcnt(0)
	v_and_b32_e32 v149, 0xf0f0f0f, v129
	v_lshrrev_b32_e32 v129, 4, v129
	v_and_b32_e32 v151, 0xf0f0f0f, v130
	v_dot4c_i32_i8 v131, v149, v2
	v_and_b32_e32 v150, 0xf0f0f0f, v129
	v_lshrrev_b32_e32 v129, 4, v130
	v_dot4c_i32_i8 v131, v150, v6
	v_and_b32_e32 v152, 0xf0f0f0f, v129
	ds_read2_b32 v[129:130], v128 offset0:2 offset1:3
	v_dot4c_i32_i8 v131, v151, v3
	v_dot4c_i32_i8 v131, v152, v7
	s_waitcnt lgkmcnt(0)
	v_and_b32_e32 v153, 0xf0f0f0f, v129
	v_lshrrev_b32_e32 v129, 4, v129
	v_and_b32_e32 v155, 0xf0f0f0f, v130
	v_dot4c_i32_i8 v131, v153, v4
	v_and_b32_e32 v154, 0xf0f0f0f, v129
	v_lshrrev_b32_e32 v129, 4, v130
	v_dot4c_i32_i8 v131, v154, v8
	v_and_b32_e32 v156, 0xf0f0f0f, v129
	v_pk_mul_f16 v129, v29, v144
	v_dot4c_i32_i8 v131, v155, v5
	v_dot4c_i32_i8 v131, v156, v9
	v_cvt_f32_i32_e32 v130, v131
	v_mov_b32_e32 v131, 0
	v_fma_mix_f32 v129, v129, v130, v129 op_sel:[0,0,1] op_sel_hi:[1,0,1]
	v_add_f32_e32 v44, v44, v129
	v_add_nc_u32_e32 v129, 0x1080, v128
	ds_read_b32 v139, v125
	ds_read2_b32 v[129:130], v129 offset1:1
	v_add_nc_u32_e32 v125, 4, v125
	s_waitcnt lgkmcnt(0)
	v_and_b32_e32 v140, 0xf0f0f0f, v129
	v_lshrrev_b32_e32 v129, 4, v129
	v_and_b32_e32 v142, 0xf0f0f0f, v130
	v_dot4c_i32_i8 v131, v140, v2
	v_and_b32_e32 v141, 0xf0f0f0f, v129
	v_lshrrev_b32_e32 v129, 4, v130
	v_dot4c_i32_i8 v131, v141, v6
	v_and_b32_e32 v143, 0xf0f0f0f, v129
	v_add_nc_u32_e32 v129, 0x1088, v128
	v_dot4c_i32_i8 v131, v142, v3
	ds_read2_b32 v[129:130], v129 offset1:1
	v_dot4c_i32_i8 v131, v143, v7
	s_waitcnt lgkmcnt(0)
	v_and_b32_e32 v145, 0xf0f0f0f, v129
	v_lshrrev_b32_e32 v129, 4, v129
	v_and_b32_e32 v147, 0xf0f0f0f, v130
	v_dot4c_i32_i8 v131, v145, v4
	v_and_b32_e32 v146, 0xf0f0f0f, v129
	v_lshrrev_b32_e32 v129, 4, v130
	v_dot4c_i32_i8 v131, v146, v8
	v_and_b32_e32 v148, 0xf0f0f0f, v129
	v_pk_mul_f16 v129, v29, v139
	v_dot4c_i32_i8 v131, v147, v5
	v_dot4c_i32_i8 v131, v148, v9
	v_cvt_f32_i32_e32 v130, v131
	v_fma_mix_f32 v129, v129, v130, v129 op_sel:[0,0,1] op_sel_hi:[1,0,1]
	v_add_nc_u32_e32 v130, 0x2100, v128
	v_add_f32_e32 v84, v84, v129
	ds_read_b32 v129, v126
	ds_read2_b32 v[132:133], v130 offset1:1
	ds_read2_b32 v[136:137], v134 offset1:1
	v_add_nc_u32_e32 v126, 4, v126
	s_waitcnt lgkmcnt(2)
	v_pk_mul_f16 v157, v29, v129
	s_waitcnt lgkmcnt(1)
	v_and_b32_e32 v130, 0xf0f0f0f, v132
	v_lshrrev_b32_e32 v131, 4, v132
	v_and_b32_e32 v132, 0xf0f0f0f, v133
	v_lshrrev_b32_e32 v133, 4, v133
	s_waitcnt lgkmcnt(0)
	v_and_b32_e32 v134, 0xf0f0f0f, v136
	v_dot4c_i32_i8 v138, v130, v2
	v_and_b32_e32 v131, 0xf0f0f0f, v131
	v_lshrrev_b32_e32 v135, 4, v136
	v_and_b32_e32 v133, 0xf0f0f0f, v133
	v_and_b32_e32 v136, 0xf0f0f0f, v137
	v_lshrrev_b32_e32 v137, 4, v137
	v_dot4c_i32_i8 v138, v131, v6
	v_and_b32_e32 v135, 0xf0f0f0f, v135
	v_and_b32_e32 v137, 0xf0f0f0f, v137
	v_dot4c_i32_i8 v138, v132, v3
	v_dot4c_i32_i8 v138, v133, v7
	;; [unrolled: 1-line block ×6, first 2 shown]
	v_cvt_f32_i32_e32 v138, v138
	v_fma_mix_f32 v138, v157, v138, v157 op_sel:[0,0,1] op_sel_hi:[1,0,1]
	v_add_nc_u32_e32 v157, 0x3180, v128
	v_add_f32_e32 v83, v83, v138
	ds_read_b32 v138, v127
	ds_read2_b32 v[160:161], v157 offset1:1
	v_add_nc_u32_e32 v127, 4, v127
	s_waitcnt lgkmcnt(0)
	v_and_b32_e32 v159, 0xf0f0f0f, v160
	v_lshrrev_b32_e32 v157, 4, v160
	v_dot4c_i32_i8 v162, v159, v2
	v_and_b32_e32 v158, 0xf0f0f0f, v157
	v_lshrrev_b32_e32 v2, 4, v161
	v_and_b32_e32 v157, 0xf0f0f0f, v161
	v_dot4c_i32_i8 v162, v158, v6
	v_and_b32_e32 v6, 0xf0f0f0f, v2
	v_add_nc_u32_e32 v2, 0x3188, v128
	v_add_nc_u32_e32 v128, 16, v128
	v_dot4c_i32_i8 v162, v157, v3
	ds_read2_b32 v[2:3], v2 offset1:1
	v_dot4c_i32_i8 v162, v6, v7
	s_waitcnt lgkmcnt(0)
	v_and_b32_e32 v7, 0xf0f0f0f, v2
	v_lshrrev_b32_e32 v2, 4, v2
	v_dot4c_i32_i8 v162, v7, v4
	v_and_b32_e32 v160, 0xf0f0f0f, v2
	v_lshrrev_b32_e32 v2, 4, v3
	v_dot4c_i32_i8 v162, v160, v8
	v_and_b32_e32 v8, 0xf0f0f0f, v3
	v_and_b32_e32 v4, 0xf0f0f0f, v2
	v_pk_mul_f16 v2, v29, v138
	v_dot4c_i32_i8 v162, v8, v5
	v_mov_b32_e32 v5, 0
	v_dot4c_i32_i8 v162, v4, v9
	v_cvt_f32_i32_e32 v3, v162
	ds_read_b128 v[161:164], v123 offset:1024
	ds_read_b128 v[165:168], v123 offset:1040
	v_fma_mix_f32 v2, v2, v3, v2 op_sel:[0,0,1] op_sel_hi:[1,0,1]
	v_pk_mul_f16 v3, v144, v30
	v_add_f32_e32 v82, v82, v2
	v_mov_b32_e32 v2, 0
	s_waitcnt lgkmcnt(1)
	v_dot4c_i32_i8 v2, v149, v161
	s_waitcnt lgkmcnt(0)
	v_dot4c_i32_i8 v2, v150, v165
	v_dot4c_i32_i8 v2, v151, v162
	v_dot4c_i32_i8 v2, v152, v166
	v_dot4c_i32_i8 v2, v153, v163
	v_dot4c_i32_i8 v2, v154, v167
	v_dot4c_i32_i8 v2, v155, v164
	v_dot4c_i32_i8 v2, v156, v168
	v_cvt_f32_i32_e32 v2, v2
	v_fma_mix_f32 v2, v2, v3, v3 op_sel:[0,0,1] op_sel_hi:[0,1,1]
	v_pk_mul_f16 v3, v139, v30
	v_add_f32_e32 v81, v81, v2
	v_mov_b32_e32 v2, 0
	v_dot4c_i32_i8 v2, v140, v161
	v_dot4c_i32_i8 v2, v141, v165
	v_dot4c_i32_i8 v2, v142, v162
	v_dot4c_i32_i8 v2, v143, v166
	v_dot4c_i32_i8 v2, v145, v163
	v_dot4c_i32_i8 v2, v146, v167
	v_dot4c_i32_i8 v2, v147, v164
	v_dot4c_i32_i8 v2, v148, v168
	v_cvt_f32_i32_e32 v2, v2
	v_fma_mix_f32 v2, v2, v3, v3 op_sel:[0,0,1] op_sel_hi:[0,1,1]
	v_pk_mul_f16 v3, v129, v30
	v_add_f32_e32 v80, v80, v2
	v_mov_b32_e32 v2, 0
	v_dot4c_i32_i8 v2, v130, v161
	;; [unrolled: 13-line block ×3, first 2 shown]
	v_dot4c_i32_i8 v2, v158, v165
	v_dot4c_i32_i8 v2, v157, v162
	;; [unrolled: 1-line block ×7, first 2 shown]
	v_cvt_f32_i32_e32 v2, v2
	v_fma_mix_f32 v2, v2, v3, v3 op_sel:[0,0,1] op_sel_hi:[0,1,1]
	v_add_f32_e32 v74, v74, v2
	ds_read_b128 v[161:164], v123 offset:2048
	ds_read_b128 v[165:168], v123 offset:2064
	ds_read2_b32 v[2:3], v122 offset0:64 offset1:96
	s_waitcnt lgkmcnt(2)
	v_dot4c_i32_i8 v5, v149, v161
	s_waitcnt lgkmcnt(0)
	v_pk_mul_f16 v9, v144, v2
	v_dot4c_i32_i8 v5, v150, v165
	v_dot4c_i32_i8 v5, v151, v162
	;; [unrolled: 1-line block ×7, first 2 shown]
	v_cvt_f32_i32_e32 v5, v5
	v_fma_mix_f32 v5, v5, v9, v9 op_sel:[0,0,1] op_sel_hi:[0,1,1]
	v_pk_mul_f16 v9, v139, v2
	v_add_f32_e32 v68, v68, v5
	v_mov_b32_e32 v5, 0
	v_dot4c_i32_i8 v5, v140, v161
	v_dot4c_i32_i8 v5, v141, v165
	;; [unrolled: 1-line block ×8, first 2 shown]
	v_cvt_f32_i32_e32 v5, v5
	v_fma_mix_f32 v5, v5, v9, v9 op_sel:[0,0,1] op_sel_hi:[0,1,1]
	v_pk_mul_f16 v9, v129, v2
	v_pk_mul_f16 v2, v138, v2
	v_add_f32_e32 v67, v67, v5
	v_mov_b32_e32 v5, 0
	v_dot4c_i32_i8 v5, v130, v161
	v_dot4c_i32_i8 v5, v131, v165
	;; [unrolled: 1-line block ×8, first 2 shown]
	v_cvt_f32_i32_e32 v5, v5
	v_fma_mix_f32 v5, v5, v9, v9 op_sel:[0,0,1] op_sel_hi:[0,1,1]
	v_add_f32_e32 v64, v64, v5
	v_mov_b32_e32 v5, 0
	v_dot4c_i32_i8 v5, v159, v161
	v_dot4c_i32_i8 v5, v158, v165
	;; [unrolled: 1-line block ×8, first 2 shown]
	ds_read_b128 v[161:164], v123 offset:3072
	ds_read_b128 v[165:168], v123 offset:3088
	v_cvt_f32_i32_e32 v5, v5
	v_fma_mix_f32 v2, v5, v2, v2 op_sel:[0,0,1] op_sel_hi:[0,1,1]
	v_pk_mul_f16 v5, v144, v3
	v_add_f32_e32 v60, v60, v2
	v_mov_b32_e32 v2, 0
	s_waitcnt lgkmcnt(1)
	v_dot4c_i32_i8 v2, v149, v161
	s_waitcnt lgkmcnt(0)
	v_dot4c_i32_i8 v2, v150, v165
	v_dot4c_i32_i8 v2, v151, v162
	v_dot4c_i32_i8 v2, v152, v166
	v_dot4c_i32_i8 v2, v153, v163
	v_dot4c_i32_i8 v2, v154, v167
	v_dot4c_i32_i8 v2, v155, v164
	v_dot4c_i32_i8 v2, v156, v168
	v_cvt_f32_i32_e32 v2, v2
	v_fma_mix_f32 v2, v2, v5, v5 op_sel:[0,0,1] op_sel_hi:[0,1,1]
	v_pk_mul_f16 v5, v139, v3
	v_add_f32_e32 v55, v55, v2
	v_mov_b32_e32 v2, 0
	v_dot4c_i32_i8 v2, v140, v161
	v_dot4c_i32_i8 v2, v141, v165
	;; [unrolled: 1-line block ×8, first 2 shown]
	v_cvt_f32_i32_e32 v2, v2
	v_fma_mix_f32 v2, v2, v5, v5 op_sel:[0,0,1] op_sel_hi:[0,1,1]
	v_pk_mul_f16 v5, v129, v3
	v_pk_mul_f16 v3, v138, v3
	v_add_f32_e32 v52, v52, v2
	v_mov_b32_e32 v2, 0
	v_dot4c_i32_i8 v2, v130, v161
	v_dot4c_i32_i8 v2, v131, v165
	;; [unrolled: 1-line block ×8, first 2 shown]
	v_cvt_f32_i32_e32 v2, v2
	v_fma_mix_f32 v2, v2, v5, v5 op_sel:[0,0,1] op_sel_hi:[0,1,1]
	v_mov_b32_e32 v5, 0
	v_add_f32_e32 v51, v51, v2
	v_mov_b32_e32 v2, 0
	v_dot4c_i32_i8 v2, v159, v161
	v_dot4c_i32_i8 v2, v158, v165
	;; [unrolled: 1-line block ×8, first 2 shown]
	v_cvt_f32_i32_e32 v2, v2
	v_fma_mix_f32 v2, v2, v3, v3 op_sel:[0,0,1] op_sel_hi:[0,1,1]
	v_add_f32_e32 v49, v49, v2
	ds_read_b128 v[161:164], v123 offset:4096
	ds_read_b128 v[165:168], v123 offset:4112
	ds_read2_b32 v[2:3], v122 offset0:128 offset1:160
	s_waitcnt lgkmcnt(2)
	v_dot4c_i32_i8 v5, v149, v161
	s_waitcnt lgkmcnt(0)
	v_pk_mul_f16 v9, v144, v2
	v_dot4c_i32_i8 v5, v150, v165
	v_dot4c_i32_i8 v5, v151, v162
	;; [unrolled: 1-line block ×7, first 2 shown]
	v_cvt_f32_i32_e32 v5, v5
	v_fma_mix_f32 v5, v5, v9, v9 op_sel:[0,0,1] op_sel_hi:[0,1,1]
	v_pk_mul_f16 v9, v139, v2
	v_add_f32_e32 v48, v48, v5
	v_mov_b32_e32 v5, 0
	v_dot4c_i32_i8 v5, v140, v161
	v_dot4c_i32_i8 v5, v141, v165
	;; [unrolled: 1-line block ×8, first 2 shown]
	v_cvt_f32_i32_e32 v5, v5
	v_fma_mix_f32 v5, v5, v9, v9 op_sel:[0,0,1] op_sel_hi:[0,1,1]
	v_pk_mul_f16 v9, v129, v2
	v_pk_mul_f16 v2, v138, v2
	v_add_f32_e32 v47, v47, v5
	v_mov_b32_e32 v5, 0
	v_dot4c_i32_i8 v5, v130, v161
	v_dot4c_i32_i8 v5, v131, v165
	;; [unrolled: 1-line block ×8, first 2 shown]
	v_cvt_f32_i32_e32 v5, v5
	v_fma_mix_f32 v5, v5, v9, v9 op_sel:[0,0,1] op_sel_hi:[0,1,1]
	v_add_f32_e32 v46, v46, v5
	v_mov_b32_e32 v5, 0
	v_dot4c_i32_i8 v5, v159, v161
	v_dot4c_i32_i8 v5, v158, v165
	;; [unrolled: 1-line block ×8, first 2 shown]
	ds_read_b128 v[161:164], v123 offset:5120
	ds_read_b128 v[165:168], v123 offset:5136
	v_cvt_f32_i32_e32 v5, v5
	v_fma_mix_f32 v2, v5, v2, v2 op_sel:[0,0,1] op_sel_hi:[0,1,1]
	v_pk_mul_f16 v5, v144, v3
	v_add_f32_e32 v45, v45, v2
	v_mov_b32_e32 v2, 0
	s_waitcnt lgkmcnt(1)
	v_dot4c_i32_i8 v2, v149, v161
	s_waitcnt lgkmcnt(0)
	v_dot4c_i32_i8 v2, v150, v165
	v_dot4c_i32_i8 v2, v151, v162
	v_dot4c_i32_i8 v2, v152, v166
	v_dot4c_i32_i8 v2, v153, v163
	v_dot4c_i32_i8 v2, v154, v167
	v_dot4c_i32_i8 v2, v155, v164
	v_dot4c_i32_i8 v2, v156, v168
	v_cvt_f32_i32_e32 v2, v2
	v_fma_mix_f32 v2, v2, v5, v5 op_sel:[0,0,1] op_sel_hi:[0,1,1]
	v_pk_mul_f16 v5, v139, v3
	v_add_f32_e32 v43, v43, v2
	v_mov_b32_e32 v2, 0
	v_dot4c_i32_i8 v2, v140, v161
	v_dot4c_i32_i8 v2, v141, v165
	;; [unrolled: 1-line block ×8, first 2 shown]
	v_cvt_f32_i32_e32 v2, v2
	v_fma_mix_f32 v2, v2, v5, v5 op_sel:[0,0,1] op_sel_hi:[0,1,1]
	v_pk_mul_f16 v5, v129, v3
	v_pk_mul_f16 v3, v138, v3
	v_add_f32_e32 v41, v41, v2
	v_mov_b32_e32 v2, 0
	v_dot4c_i32_i8 v2, v130, v161
	v_dot4c_i32_i8 v2, v131, v165
	v_dot4c_i32_i8 v2, v132, v162
	v_dot4c_i32_i8 v2, v133, v166
	v_dot4c_i32_i8 v2, v134, v163
	v_dot4c_i32_i8 v2, v135, v167
	v_dot4c_i32_i8 v2, v136, v164
	v_dot4c_i32_i8 v2, v137, v168
	v_cvt_f32_i32_e32 v2, v2
	v_fma_mix_f32 v2, v2, v5, v5 op_sel:[0,0,1] op_sel_hi:[0,1,1]
	v_mov_b32_e32 v5, 0
	v_add_f32_e32 v40, v40, v2
	v_mov_b32_e32 v2, 0
	v_dot4c_i32_i8 v2, v159, v161
	v_dot4c_i32_i8 v2, v158, v165
	;; [unrolled: 1-line block ×8, first 2 shown]
	v_cvt_f32_i32_e32 v2, v2
	v_fma_mix_f32 v2, v2, v3, v3 op_sel:[0,0,1] op_sel_hi:[0,1,1]
	v_add_f32_e32 v39, v39, v2
	ds_read_b128 v[161:164], v123 offset:6144
	ds_read_b128 v[165:168], v123 offset:6160
	ds_read2_b32 v[2:3], v122 offset0:192 offset1:224
	v_add_nc_u32_e32 v122, 4, v122
	s_waitcnt lgkmcnt(2)
	v_dot4c_i32_i8 v5, v149, v161
	s_waitcnt lgkmcnt(0)
	v_pk_mul_f16 v9, v144, v2
	v_dot4c_i32_i8 v5, v150, v165
	v_dot4c_i32_i8 v5, v151, v162
	;; [unrolled: 1-line block ×7, first 2 shown]
	v_cvt_f32_i32_e32 v5, v5
	v_fma_mix_f32 v5, v5, v9, v9 op_sel:[0,0,1] op_sel_hi:[0,1,1]
	v_pk_mul_f16 v9, v139, v2
	v_add_f32_e32 v38, v38, v5
	v_mov_b32_e32 v5, 0
	v_dot4c_i32_i8 v5, v140, v161
	v_dot4c_i32_i8 v5, v141, v165
	;; [unrolled: 1-line block ×8, first 2 shown]
	v_cvt_f32_i32_e32 v5, v5
	v_fma_mix_f32 v5, v5, v9, v9 op_sel:[0,0,1] op_sel_hi:[0,1,1]
	v_pk_mul_f16 v9, v129, v2
	v_pk_mul_f16 v2, v138, v2
	v_add_f32_e32 v37, v37, v5
	v_mov_b32_e32 v5, 0
	v_dot4c_i32_i8 v5, v130, v161
	v_dot4c_i32_i8 v5, v131, v165
	;; [unrolled: 1-line block ×8, first 2 shown]
	v_cvt_f32_i32_e32 v5, v5
	v_fma_mix_f32 v5, v5, v9, v9 op_sel:[0,0,1] op_sel_hi:[0,1,1]
	v_add_f32_e32 v36, v36, v5
	v_mov_b32_e32 v5, 0
	v_dot4c_i32_i8 v5, v159, v161
	v_dot4c_i32_i8 v5, v158, v165
	;; [unrolled: 1-line block ×8, first 2 shown]
	ds_read_b128 v[161:164], v123 offset:7168
	ds_read_b128 v[165:168], v123 offset:7184
	v_add_nc_u32_e32 v123, 32, v123
	v_cvt_f32_i32_e32 v5, v5
	v_fma_mix_f32 v2, v5, v2, v2 op_sel:[0,0,1] op_sel_hi:[0,1,1]
	v_pk_mul_f16 v5, v144, v3
	v_add_f32_e32 v35, v35, v2
	v_mov_b32_e32 v2, 0
	s_waitcnt lgkmcnt(1)
	v_dot4c_i32_i8 v2, v149, v161
	s_waitcnt lgkmcnt(0)
	v_dot4c_i32_i8 v2, v150, v165
	v_dot4c_i32_i8 v2, v151, v162
	;; [unrolled: 1-line block ×7, first 2 shown]
	v_cvt_f32_i32_e32 v2, v2
	v_fma_mix_f32 v2, v2, v5, v5 op_sel:[0,0,1] op_sel_hi:[0,1,1]
	v_pk_mul_f16 v5, v139, v3
	v_add_f32_e32 v34, v34, v2
	v_mov_b32_e32 v2, 0
	v_dot4c_i32_i8 v2, v140, v161
	v_dot4c_i32_i8 v2, v141, v165
	;; [unrolled: 1-line block ×8, first 2 shown]
	v_cvt_f32_i32_e32 v2, v2
	v_fma_mix_f32 v2, v2, v5, v5 op_sel:[0,0,1] op_sel_hi:[0,1,1]
	v_pk_mul_f16 v5, v129, v3
	v_pk_mul_f16 v3, v138, v3
	v_add_f32_e32 v33, v33, v2
	v_mov_b32_e32 v2, 0
	v_dot4c_i32_i8 v2, v130, v161
	v_dot4c_i32_i8 v2, v131, v165
	;; [unrolled: 1-line block ×8, first 2 shown]
	v_cvt_f32_i32_e32 v2, v2
	v_fma_mix_f32 v2, v2, v5, v5 op_sel:[0,0,1] op_sel_hi:[0,1,1]
	v_add_f32_e32 v32, v32, v2
	v_mov_b32_e32 v2, 0
	v_dot4c_i32_i8 v2, v159, v161
	v_dot4c_i32_i8 v2, v158, v165
	;; [unrolled: 1-line block ×8, first 2 shown]
	v_cvt_f32_i32_e32 v2, v2
	v_fma_mix_f32 v2, v2, v3, v3 op_sel:[0,0,1] op_sel_hi:[0,1,1]
	v_add_f32_e32 v31, v31, v2
	s_cbranch_scc1 .LBB120_11
; %bb.12:                               ;   in Loop: Header=BB120_6 Depth=1
	s_barrier
	buffer_gl0_inv
	s_branch .LBB120_5
.LBB120_13:
	v_mov_b32_e32 v2, v42
.LBB120_14:
	s_mov_b32 s0, exec_lo
	v_cmpx_gt_u32_e64 s10, v2
	s_cbranch_execz .LBB120_65
; %bb.15:
	v_add_nc_u32_e32 v0, s6, v0
	v_mul_lo_u32 v5, v2, s14
	v_cmp_gt_u32_e32 vcc_lo, s14, v0
	s_and_saveexec_b32 s1, vcc_lo
	s_cbranch_execz .LBB120_17
; %bb.16:
	v_add_nc_u32_e32 v2, v0, v5
	v_mov_b32_e32 v3, 0
	v_lshlrev_b64 v[2:3], 2, v[2:3]
	s_waitcnt lgkmcnt(0)
	v_add_co_u32 v2, s0, s12, v2
	v_add_co_ci_u32_e64 v3, null, s13, v3, s0
	global_store_dword v[2:3], v44, off
.LBB120_17:
	s_or_b32 exec_lo, exec_lo, s1
	v_add_nc_u32_e32 v2, 32, v0
	v_cmp_gt_u32_e64 s0, s14, v2
	s_and_saveexec_b32 s2, s0
	s_cbranch_execz .LBB120_19
; %bb.18:
	v_add_nc_u32_e32 v3, v2, v5
	v_mov_b32_e32 v4, 0
	v_lshlrev_b64 v[3:4], 2, v[3:4]
	s_waitcnt lgkmcnt(0)
	v_add_co_u32 v3, s1, s12, v3
	v_add_co_ci_u32_e64 v4, null, s13, v4, s1
	global_store_dword v[3:4], v84, off
.LBB120_19:
	s_or_b32 exec_lo, exec_lo, s2
	v_add_nc_u32_e32 v3, 64, v0
	v_cmp_gt_u32_e64 s1, s14, v3
	s_and_saveexec_b32 s3, s1
	;; [unrolled: 14-line block ×3, first 2 shown]
	s_cbranch_execz .LBB120_23
; %bb.22:
	v_add_nc_u32_e32 v5, v4, v5
	v_mov_b32_e32 v6, 0
	v_lshlrev_b64 v[5:6], 2, v[5:6]
	s_waitcnt lgkmcnt(0)
	v_add_co_u32 v5, s3, s12, v5
	v_add_co_ci_u32_e64 v6, null, s13, v6, s3
	global_store_dword v[5:6], v82, off
.LBB120_23:
	s_or_b32 exec_lo, exec_lo, s4
	v_add3_u32 v5, v1, s7, 8
	v_cmp_gt_u32_e64 s3, s10, v5
	s_and_b32 exec_lo, exec_lo, s3
	s_cbranch_execz .LBB120_65
; %bb.24:
	v_mul_lo_u32 v5, v5, s14
	s_and_saveexec_b32 s4, vcc_lo
	s_cbranch_execnz .LBB120_66
; %bb.25:
	s_or_b32 exec_lo, exec_lo, s4
	s_and_saveexec_b32 s4, s0
	s_cbranch_execnz .LBB120_67
.LBB120_26:
	s_or_b32 exec_lo, exec_lo, s4
	s_and_saveexec_b32 s4, s1
	s_cbranch_execnz .LBB120_68
.LBB120_27:
	s_or_b32 exec_lo, exec_lo, s4
	s_and_saveexec_b32 s4, s2
	s_cbranch_execz .LBB120_29
.LBB120_28:
	v_add_nc_u32_e32 v5, v5, v4
	v_mov_b32_e32 v6, 0
	v_lshlrev_b64 v[5:6], 2, v[5:6]
	s_waitcnt lgkmcnt(0)
	v_add_co_u32 v5, s3, s12, v5
	v_add_co_ci_u32_e64 v6, null, s13, v6, s3
	global_store_dword v[5:6], v74, off
.LBB120_29:
	s_or_b32 exec_lo, exec_lo, s4
	v_add3_u32 v5, v1, s7, 16
	v_cmp_gt_u32_e64 s3, s10, v5
	s_and_b32 exec_lo, exec_lo, s3
	s_cbranch_execz .LBB120_65
; %bb.30:
	v_mul_lo_u32 v5, v5, s14
	s_and_saveexec_b32 s4, vcc_lo
	s_cbranch_execnz .LBB120_69
; %bb.31:
	s_or_b32 exec_lo, exec_lo, s4
	s_and_saveexec_b32 s4, s0
	s_cbranch_execnz .LBB120_70
.LBB120_32:
	s_or_b32 exec_lo, exec_lo, s4
	s_and_saveexec_b32 s4, s1
	s_cbranch_execnz .LBB120_71
.LBB120_33:
	s_or_b32 exec_lo, exec_lo, s4
	s_and_saveexec_b32 s4, s2
	s_cbranch_execz .LBB120_35
.LBB120_34:
	v_add_nc_u32_e32 v5, v5, v4
	v_mov_b32_e32 v6, 0
	v_lshlrev_b64 v[5:6], 2, v[5:6]
	s_waitcnt lgkmcnt(0)
	v_add_co_u32 v5, s3, s12, v5
	v_add_co_ci_u32_e64 v6, null, s13, v6, s3
	global_store_dword v[5:6], v60, off
.LBB120_35:
	s_or_b32 exec_lo, exec_lo, s4
	v_add3_u32 v5, v1, s7, 24
	v_cmp_gt_u32_e64 s3, s10, v5
	s_and_b32 exec_lo, exec_lo, s3
	s_cbranch_execz .LBB120_65
; %bb.36:
	v_mul_lo_u32 v5, v5, s14
	s_and_saveexec_b32 s4, vcc_lo
	s_cbranch_execnz .LBB120_72
; %bb.37:
	s_or_b32 exec_lo, exec_lo, s4
	s_and_saveexec_b32 s4, s0
	s_cbranch_execnz .LBB120_73
.LBB120_38:
	s_or_b32 exec_lo, exec_lo, s4
	s_and_saveexec_b32 s4, s1
	s_cbranch_execnz .LBB120_74
.LBB120_39:
	s_or_b32 exec_lo, exec_lo, s4
	s_and_saveexec_b32 s4, s2
	s_cbranch_execz .LBB120_41
.LBB120_40:
	v_add_nc_u32_e32 v5, v5, v4
	v_mov_b32_e32 v6, 0
	v_lshlrev_b64 v[5:6], 2, v[5:6]
	s_waitcnt lgkmcnt(0)
	v_add_co_u32 v5, s3, s12, v5
	v_add_co_ci_u32_e64 v6, null, s13, v6, s3
	global_store_dword v[5:6], v49, off
.LBB120_41:
	s_or_b32 exec_lo, exec_lo, s4
	v_add3_u32 v5, v1, s7, 32
	v_cmp_gt_u32_e64 s3, s10, v5
	s_and_b32 exec_lo, exec_lo, s3
	s_cbranch_execz .LBB120_65
; %bb.42:
	v_mul_lo_u32 v5, v5, s14
	s_and_saveexec_b32 s4, vcc_lo
	s_cbranch_execnz .LBB120_75
; %bb.43:
	s_or_b32 exec_lo, exec_lo, s4
	s_and_saveexec_b32 s4, s0
	s_cbranch_execnz .LBB120_76
.LBB120_44:
	s_or_b32 exec_lo, exec_lo, s4
	s_and_saveexec_b32 s4, s1
	s_cbranch_execnz .LBB120_77
.LBB120_45:
	s_or_b32 exec_lo, exec_lo, s4
	s_and_saveexec_b32 s4, s2
	s_cbranch_execz .LBB120_47
.LBB120_46:
	v_add_nc_u32_e32 v5, v5, v4
	v_mov_b32_e32 v6, 0
	v_lshlrev_b64 v[5:6], 2, v[5:6]
	s_waitcnt lgkmcnt(0)
	v_add_co_u32 v5, s3, s12, v5
	v_add_co_ci_u32_e64 v6, null, s13, v6, s3
	global_store_dword v[5:6], v45, off
.LBB120_47:
	s_or_b32 exec_lo, exec_lo, s4
	v_add3_u32 v5, v1, s7, 40
	v_cmp_gt_u32_e64 s3, s10, v5
	s_and_b32 exec_lo, exec_lo, s3
	s_cbranch_execz .LBB120_65
; %bb.48:
	v_mul_lo_u32 v5, v5, s14
	s_and_saveexec_b32 s4, vcc_lo
	s_cbranch_execnz .LBB120_78
; %bb.49:
	s_or_b32 exec_lo, exec_lo, s4
	s_and_saveexec_b32 s4, s0
	s_cbranch_execnz .LBB120_79
.LBB120_50:
	s_or_b32 exec_lo, exec_lo, s4
	s_and_saveexec_b32 s4, s1
	s_cbranch_execnz .LBB120_80
.LBB120_51:
	s_or_b32 exec_lo, exec_lo, s4
	s_and_saveexec_b32 s4, s2
	s_cbranch_execz .LBB120_53
.LBB120_52:
	v_add_nc_u32_e32 v5, v5, v4
	v_mov_b32_e32 v6, 0
	v_lshlrev_b64 v[5:6], 2, v[5:6]
	s_waitcnt lgkmcnt(0)
	v_add_co_u32 v5, s3, s12, v5
	v_add_co_ci_u32_e64 v6, null, s13, v6, s3
	global_store_dword v[5:6], v39, off
.LBB120_53:
	s_or_b32 exec_lo, exec_lo, s4
	v_add3_u32 v5, v1, s7, 48
	v_cmp_gt_u32_e64 s3, s10, v5
	s_and_b32 exec_lo, exec_lo, s3
	s_cbranch_execz .LBB120_65
; %bb.54:
	v_mul_lo_u32 v5, v5, s14
	s_and_saveexec_b32 s4, vcc_lo
	s_cbranch_execnz .LBB120_81
; %bb.55:
	s_or_b32 exec_lo, exec_lo, s4
	s_and_saveexec_b32 s4, s0
	s_cbranch_execnz .LBB120_82
.LBB120_56:
	s_or_b32 exec_lo, exec_lo, s4
	s_and_saveexec_b32 s4, s1
	s_cbranch_execnz .LBB120_83
.LBB120_57:
	s_or_b32 exec_lo, exec_lo, s4
	s_and_saveexec_b32 s4, s2
	s_cbranch_execz .LBB120_59
.LBB120_58:
	v_add_nc_u32_e32 v5, v5, v4
	v_mov_b32_e32 v6, 0
	v_lshlrev_b64 v[5:6], 2, v[5:6]
	s_waitcnt lgkmcnt(0)
	v_add_co_u32 v5, s3, s12, v5
	v_add_co_ci_u32_e64 v6, null, s13, v6, s3
	global_store_dword v[5:6], v35, off
.LBB120_59:
	s_or_b32 exec_lo, exec_lo, s4
	v_add3_u32 v1, v1, s7, 56
	v_cmp_gt_u32_e64 s3, s10, v1
	s_and_b32 exec_lo, exec_lo, s3
	s_cbranch_execz .LBB120_65
; %bb.60:
	v_mul_lo_u32 v1, v1, s14
	s_and_saveexec_b32 s3, vcc_lo
	s_cbranch_execnz .LBB120_84
; %bb.61:
	s_or_b32 exec_lo, exec_lo, s3
	s_and_saveexec_b32 s3, s0
	s_cbranch_execnz .LBB120_85
.LBB120_62:
	s_or_b32 exec_lo, exec_lo, s3
	s_and_saveexec_b32 s0, s1
	s_cbranch_execnz .LBB120_86
.LBB120_63:
	s_or_b32 exec_lo, exec_lo, s0
	s_and_b32 exec_lo, exec_lo, s2
	s_cbranch_execz .LBB120_65
.LBB120_64:
	v_add_nc_u32_e32 v0, v1, v4
	v_mov_b32_e32 v1, 0
	v_lshlrev_b64 v[0:1], 2, v[0:1]
	s_waitcnt lgkmcnt(0)
	v_add_co_u32 v0, vcc_lo, s12, v0
	v_add_co_ci_u32_e64 v1, null, s13, v1, vcc_lo
	global_store_dword v[0:1], v31, off
.LBB120_65:
	s_endpgm
.LBB120_66:
	v_add_nc_u32_e32 v6, v5, v0
	v_mov_b32_e32 v7, 0
	v_lshlrev_b64 v[6:7], 2, v[6:7]
	s_waitcnt lgkmcnt(0)
	v_add_co_u32 v6, s3, s12, v6
	v_add_co_ci_u32_e64 v7, null, s13, v7, s3
	global_store_dword v[6:7], v81, off
	s_or_b32 exec_lo, exec_lo, s4
	s_and_saveexec_b32 s4, s0
	s_cbranch_execz .LBB120_26
.LBB120_67:
	v_add_nc_u32_e32 v6, v5, v2
	v_mov_b32_e32 v7, 0
	v_lshlrev_b64 v[6:7], 2, v[6:7]
	s_waitcnt lgkmcnt(0)
	v_add_co_u32 v6, s3, s12, v6
	v_add_co_ci_u32_e64 v7, null, s13, v7, s3
	global_store_dword v[6:7], v80, off
	s_or_b32 exec_lo, exec_lo, s4
	s_and_saveexec_b32 s4, s1
	s_cbranch_execz .LBB120_27
.LBB120_68:
	v_add_nc_u32_e32 v6, v5, v3
	v_mov_b32_e32 v7, 0
	v_lshlrev_b64 v[6:7], 2, v[6:7]
	s_waitcnt lgkmcnt(0)
	v_add_co_u32 v6, s3, s12, v6
	v_add_co_ci_u32_e64 v7, null, s13, v7, s3
	global_store_dword v[6:7], v78, off
	s_or_b32 exec_lo, exec_lo, s4
	s_and_saveexec_b32 s4, s2
	s_cbranch_execnz .LBB120_28
	s_branch .LBB120_29
.LBB120_69:
	v_add_nc_u32_e32 v6, v5, v0
	v_mov_b32_e32 v7, 0
	v_lshlrev_b64 v[6:7], 2, v[6:7]
	s_waitcnt lgkmcnt(0)
	v_add_co_u32 v6, s3, s12, v6
	v_add_co_ci_u32_e64 v7, null, s13, v7, s3
	global_store_dword v[6:7], v68, off
	s_or_b32 exec_lo, exec_lo, s4
	s_and_saveexec_b32 s4, s0
	s_cbranch_execz .LBB120_32
.LBB120_70:
	v_add_nc_u32_e32 v6, v5, v2
	v_mov_b32_e32 v7, 0
	v_lshlrev_b64 v[6:7], 2, v[6:7]
	s_waitcnt lgkmcnt(0)
	v_add_co_u32 v6, s3, s12, v6
	v_add_co_ci_u32_e64 v7, null, s13, v7, s3
	global_store_dword v[6:7], v67, off
	s_or_b32 exec_lo, exec_lo, s4
	s_and_saveexec_b32 s4, s1
	s_cbranch_execz .LBB120_33
.LBB120_71:
	v_add_nc_u32_e32 v6, v5, v3
	v_mov_b32_e32 v7, 0
	v_lshlrev_b64 v[6:7], 2, v[6:7]
	s_waitcnt lgkmcnt(0)
	v_add_co_u32 v6, s3, s12, v6
	v_add_co_ci_u32_e64 v7, null, s13, v7, s3
	global_store_dword v[6:7], v64, off
	s_or_b32 exec_lo, exec_lo, s4
	s_and_saveexec_b32 s4, s2
	s_cbranch_execnz .LBB120_34
	s_branch .LBB120_35
.LBB120_72:
	v_add_nc_u32_e32 v6, v5, v0
	v_mov_b32_e32 v7, 0
	v_lshlrev_b64 v[6:7], 2, v[6:7]
	s_waitcnt lgkmcnt(0)
	v_add_co_u32 v6, s3, s12, v6
	v_add_co_ci_u32_e64 v7, null, s13, v7, s3
	global_store_dword v[6:7], v55, off
	s_or_b32 exec_lo, exec_lo, s4
	s_and_saveexec_b32 s4, s0
	s_cbranch_execz .LBB120_38
.LBB120_73:
	v_add_nc_u32_e32 v6, v5, v2
	v_mov_b32_e32 v7, 0
	v_lshlrev_b64 v[6:7], 2, v[6:7]
	s_waitcnt lgkmcnt(0)
	v_add_co_u32 v6, s3, s12, v6
	v_add_co_ci_u32_e64 v7, null, s13, v7, s3
	global_store_dword v[6:7], v52, off
	s_or_b32 exec_lo, exec_lo, s4
	s_and_saveexec_b32 s4, s1
	s_cbranch_execz .LBB120_39
.LBB120_74:
	v_add_nc_u32_e32 v6, v5, v3
	v_mov_b32_e32 v7, 0
	v_lshlrev_b64 v[6:7], 2, v[6:7]
	s_waitcnt lgkmcnt(0)
	v_add_co_u32 v6, s3, s12, v6
	v_add_co_ci_u32_e64 v7, null, s13, v7, s3
	global_store_dword v[6:7], v51, off
	s_or_b32 exec_lo, exec_lo, s4
	s_and_saveexec_b32 s4, s2
	s_cbranch_execnz .LBB120_40
	s_branch .LBB120_41
.LBB120_75:
	v_add_nc_u32_e32 v6, v5, v0
	v_mov_b32_e32 v7, 0
	v_lshlrev_b64 v[6:7], 2, v[6:7]
	s_waitcnt lgkmcnt(0)
	v_add_co_u32 v6, s3, s12, v6
	v_add_co_ci_u32_e64 v7, null, s13, v7, s3
	global_store_dword v[6:7], v48, off
	s_or_b32 exec_lo, exec_lo, s4
	s_and_saveexec_b32 s4, s0
	s_cbranch_execz .LBB120_44
.LBB120_76:
	v_add_nc_u32_e32 v6, v5, v2
	v_mov_b32_e32 v7, 0
	v_lshlrev_b64 v[6:7], 2, v[6:7]
	s_waitcnt lgkmcnt(0)
	v_add_co_u32 v6, s3, s12, v6
	v_add_co_ci_u32_e64 v7, null, s13, v7, s3
	global_store_dword v[6:7], v47, off
	s_or_b32 exec_lo, exec_lo, s4
	s_and_saveexec_b32 s4, s1
	s_cbranch_execz .LBB120_45
.LBB120_77:
	v_add_nc_u32_e32 v6, v5, v3
	v_mov_b32_e32 v7, 0
	v_lshlrev_b64 v[6:7], 2, v[6:7]
	s_waitcnt lgkmcnt(0)
	v_add_co_u32 v6, s3, s12, v6
	v_add_co_ci_u32_e64 v7, null, s13, v7, s3
	global_store_dword v[6:7], v46, off
	s_or_b32 exec_lo, exec_lo, s4
	s_and_saveexec_b32 s4, s2
	s_cbranch_execnz .LBB120_46
	s_branch .LBB120_47
.LBB120_78:
	v_add_nc_u32_e32 v6, v5, v0
	v_mov_b32_e32 v7, 0
	v_lshlrev_b64 v[6:7], 2, v[6:7]
	s_waitcnt lgkmcnt(0)
	v_add_co_u32 v6, s3, s12, v6
	v_add_co_ci_u32_e64 v7, null, s13, v7, s3
	global_store_dword v[6:7], v43, off
	s_or_b32 exec_lo, exec_lo, s4
	s_and_saveexec_b32 s4, s0
	s_cbranch_execz .LBB120_50
.LBB120_79:
	v_add_nc_u32_e32 v6, v5, v2
	v_mov_b32_e32 v7, 0
	v_lshlrev_b64 v[6:7], 2, v[6:7]
	s_waitcnt lgkmcnt(0)
	v_add_co_u32 v6, s3, s12, v6
	v_add_co_ci_u32_e64 v7, null, s13, v7, s3
	global_store_dword v[6:7], v41, off
	s_or_b32 exec_lo, exec_lo, s4
	s_and_saveexec_b32 s4, s1
	s_cbranch_execz .LBB120_51
.LBB120_80:
	v_add_nc_u32_e32 v6, v5, v3
	v_mov_b32_e32 v7, 0
	v_lshlrev_b64 v[6:7], 2, v[6:7]
	s_waitcnt lgkmcnt(0)
	v_add_co_u32 v6, s3, s12, v6
	v_add_co_ci_u32_e64 v7, null, s13, v7, s3
	global_store_dword v[6:7], v40, off
	s_or_b32 exec_lo, exec_lo, s4
	s_and_saveexec_b32 s4, s2
	s_cbranch_execnz .LBB120_52
	s_branch .LBB120_53
.LBB120_81:
	v_add_nc_u32_e32 v6, v5, v0
	v_mov_b32_e32 v7, 0
	v_lshlrev_b64 v[6:7], 2, v[6:7]
	s_waitcnt lgkmcnt(0)
	v_add_co_u32 v6, s3, s12, v6
	v_add_co_ci_u32_e64 v7, null, s13, v7, s3
	global_store_dword v[6:7], v38, off
	s_or_b32 exec_lo, exec_lo, s4
	s_and_saveexec_b32 s4, s0
	s_cbranch_execz .LBB120_56
.LBB120_82:
	v_add_nc_u32_e32 v6, v5, v2
	v_mov_b32_e32 v7, 0
	v_lshlrev_b64 v[6:7], 2, v[6:7]
	s_waitcnt lgkmcnt(0)
	v_add_co_u32 v6, s3, s12, v6
	v_add_co_ci_u32_e64 v7, null, s13, v7, s3
	global_store_dword v[6:7], v37, off
	s_or_b32 exec_lo, exec_lo, s4
	s_and_saveexec_b32 s4, s1
	s_cbranch_execz .LBB120_57
.LBB120_83:
	v_add_nc_u32_e32 v6, v5, v3
	v_mov_b32_e32 v7, 0
	v_lshlrev_b64 v[6:7], 2, v[6:7]
	s_waitcnt lgkmcnt(0)
	v_add_co_u32 v6, s3, s12, v6
	v_add_co_ci_u32_e64 v7, null, s13, v7, s3
	global_store_dword v[6:7], v36, off
	s_or_b32 exec_lo, exec_lo, s4
	s_and_saveexec_b32 s4, s2
	s_cbranch_execnz .LBB120_58
	s_branch .LBB120_59
.LBB120_84:
	v_add_nc_u32_e32 v5, v1, v0
	v_mov_b32_e32 v6, 0
	v_lshlrev_b64 v[5:6], 2, v[5:6]
	s_waitcnt lgkmcnt(0)
	v_add_co_u32 v5, vcc_lo, s12, v5
	v_add_co_ci_u32_e64 v6, null, s13, v6, vcc_lo
	global_store_dword v[5:6], v34, off
	s_or_b32 exec_lo, exec_lo, s3
	s_and_saveexec_b32 s3, s0
	s_cbranch_execz .LBB120_62
.LBB120_85:
	v_add_nc_u32_e32 v5, v1, v2
	v_mov_b32_e32 v6, 0
	v_lshlrev_b64 v[5:6], 2, v[5:6]
	s_waitcnt lgkmcnt(0)
	v_add_co_u32 v5, vcc_lo, s12, v5
	v_add_co_ci_u32_e64 v6, null, s13, v6, vcc_lo
	global_store_dword v[5:6], v33, off
	s_or_b32 exec_lo, exec_lo, s3
	s_and_saveexec_b32 s0, s1
	s_cbranch_execz .LBB120_63
.LBB120_86:
	v_add_nc_u32_e32 v2, v1, v3
	v_mov_b32_e32 v3, 0
	v_lshlrev_b64 v[2:3], 2, v[2:3]
	s_waitcnt lgkmcnt(0)
	v_add_co_u32 v2, vcc_lo, s12, v2
	v_add_co_ci_u32_e64 v3, null, s13, v3, vcc_lo
	global_store_dword v[2:3], v32, off
	s_or_b32 exec_lo, exec_lo, s0
	s_and_b32 exec_lo, exec_lo, s2
	s_cbranch_execnz .LBB120_64
	s_branch .LBB120_65
	.section	.rodata,"a",@progbits
	.p2align	6, 0x0
	.amdhsa_kernel _ZL12mul_mat_q4_1IfLb1EEvPKvS1_PT_iiiii
		.amdhsa_group_segment_fixed_size 30336
		.amdhsa_private_segment_fixed_size 0
		.amdhsa_kernarg_size 44
		.amdhsa_user_sgpr_count 6
		.amdhsa_user_sgpr_private_segment_buffer 1
		.amdhsa_user_sgpr_dispatch_ptr 0
		.amdhsa_user_sgpr_queue_ptr 0
		.amdhsa_user_sgpr_kernarg_segment_ptr 1
		.amdhsa_user_sgpr_dispatch_id 0
		.amdhsa_user_sgpr_flat_scratch_init 0
		.amdhsa_user_sgpr_private_segment_size 0
		.amdhsa_wavefront_size32 1
		.amdhsa_uses_dynamic_stack 0
		.amdhsa_system_sgpr_private_segment_wavefront_offset 0
		.amdhsa_system_sgpr_workgroup_id_x 1
		.amdhsa_system_sgpr_workgroup_id_y 1
		.amdhsa_system_sgpr_workgroup_id_z 0
		.amdhsa_system_sgpr_workgroup_info 0
		.amdhsa_system_vgpr_workitem_id 1
		.amdhsa_next_free_vgpr 169
		.amdhsa_next_free_sgpr 15
		.amdhsa_reserve_vcc 1
		.amdhsa_reserve_flat_scratch 0
		.amdhsa_float_round_mode_32 0
		.amdhsa_float_round_mode_16_64 0
		.amdhsa_float_denorm_mode_32 3
		.amdhsa_float_denorm_mode_16_64 3
		.amdhsa_dx10_clamp 1
		.amdhsa_ieee_mode 1
		.amdhsa_fp16_overflow 0
		.amdhsa_workgroup_processor_mode 1
		.amdhsa_memory_ordered 1
		.amdhsa_forward_progress 1
		.amdhsa_shared_vgpr_count 0
		.amdhsa_exception_fp_ieee_invalid_op 0
		.amdhsa_exception_fp_denorm_src 0
		.amdhsa_exception_fp_ieee_div_zero 0
		.amdhsa_exception_fp_ieee_overflow 0
		.amdhsa_exception_fp_ieee_underflow 0
		.amdhsa_exception_fp_ieee_inexact 0
		.amdhsa_exception_int_div_zero 0
	.end_amdhsa_kernel
	.section	.text._ZL12mul_mat_q4_1IfLb1EEvPKvS1_PT_iiiii,"axG",@progbits,_ZL12mul_mat_q4_1IfLb1EEvPKvS1_PT_iiiii,comdat
.Lfunc_end120:
	.size	_ZL12mul_mat_q4_1IfLb1EEvPKvS1_PT_iiiii, .Lfunc_end120-_ZL12mul_mat_q4_1IfLb1EEvPKvS1_PT_iiiii
                                        ; -- End function
	.set _ZL12mul_mat_q4_1IfLb1EEvPKvS1_PT_iiiii.num_vgpr, 169
	.set _ZL12mul_mat_q4_1IfLb1EEvPKvS1_PT_iiiii.num_agpr, 0
	.set _ZL12mul_mat_q4_1IfLb1EEvPKvS1_PT_iiiii.numbered_sgpr, 15
	.set _ZL12mul_mat_q4_1IfLb1EEvPKvS1_PT_iiiii.num_named_barrier, 0
	.set _ZL12mul_mat_q4_1IfLb1EEvPKvS1_PT_iiiii.private_seg_size, 0
	.set _ZL12mul_mat_q4_1IfLb1EEvPKvS1_PT_iiiii.uses_vcc, 1
	.set _ZL12mul_mat_q4_1IfLb1EEvPKvS1_PT_iiiii.uses_flat_scratch, 0
	.set _ZL12mul_mat_q4_1IfLb1EEvPKvS1_PT_iiiii.has_dyn_sized_stack, 0
	.set _ZL12mul_mat_q4_1IfLb1EEvPKvS1_PT_iiiii.has_recursion, 0
	.set _ZL12mul_mat_q4_1IfLb1EEvPKvS1_PT_iiiii.has_indirect_call, 0
	.section	.AMDGPU.csdata,"",@progbits
; Kernel info:
; codeLenInByte = 11020
; TotalNumSgprs: 17
; NumVgprs: 169
; ScratchSize: 0
; MemoryBound: 0
; FloatMode: 240
; IeeeMode: 1
; LDSByteSize: 30336 bytes/workgroup (compile time only)
; SGPRBlocks: 0
; VGPRBlocks: 21
; NumSGPRsForWavesPerEU: 17
; NumVGPRsForWavesPerEU: 169
; Occupancy: 5
; WaveLimiterHint : 0
; COMPUTE_PGM_RSRC2:SCRATCH_EN: 0
; COMPUTE_PGM_RSRC2:USER_SGPR: 6
; COMPUTE_PGM_RSRC2:TRAP_HANDLER: 0
; COMPUTE_PGM_RSRC2:TGID_X_EN: 1
; COMPUTE_PGM_RSRC2:TGID_Y_EN: 1
; COMPUTE_PGM_RSRC2:TGID_Z_EN: 0
; COMPUTE_PGM_RSRC2:TIDIG_COMP_CNT: 1
	.section	.text._ZL12mul_mat_q5_0IfLb0EEvPKvS1_PT_iiiii,"axG",@progbits,_ZL12mul_mat_q5_0IfLb0EEvPKvS1_PT_iiiii,comdat
	.globl	_ZL12mul_mat_q5_0IfLb0EEvPKvS1_PT_iiiii ; -- Begin function _ZL12mul_mat_q5_0IfLb0EEvPKvS1_PT_iiiii
	.p2align	8
	.type	_ZL12mul_mat_q5_0IfLb0EEvPKvS1_PT_iiiii,@function
_ZL12mul_mat_q5_0IfLb0EEvPKvS1_PT_iiiii: ; @_ZL12mul_mat_q5_0IfLb0EEvPKvS1_PT_iiiii
; %bb.0:
	s_clause 0x1
	s_load_dword s14, s[4:5], 0x18
	s_load_dwordx4 s[8:11], s[4:5], 0x20
	s_lshl_b32 s7, s7, 6
	v_add_nc_u32_e32 v67, s7, v1
	s_waitcnt lgkmcnt(0)
	s_cmp_gt_i32 s14, 31
	s_cbranch_scc1 .LBB121_2
; %bb.1:
	v_add_nc_u32_e32 v2, s7, v1
	s_mov_b32 s0, 0
	s_branch .LBB121_3
.LBB121_2:
	s_mov_b32 s0, -1
                                        ; implicit-def: $vgpr2
.LBB121_3:
	s_load_dwordx2 s[12:13], s[4:5], 0x10
	v_mov_b32_e32 v51, 0
	v_mov_b32_e32 v55, 0
	;; [unrolled: 1-line block ×32, first 2 shown]
	s_andn2_b32 vcc_lo, exec_lo, s0
	s_lshl_b32 s6, s6, 7
	s_cbranch_vccnz .LBB121_14
; %bb.4:
	s_load_dwordx4 s[0:3], s[4:5], 0x0
	s_ashr_i32 s4, s14, 31
	s_ashr_i32 s5, s9, 31
	s_lshr_b32 s4, s4, 27
	s_lshr_b32 s5, s5, 27
	s_add_i32 s11, s14, s4
	s_add_i32 s5, s9, s5
	s_ashr_i32 s4, s11, 5
	v_lshlrev_b32_e32 v5, 3, v0
	s_mul_i32 s9, s4, s6
	s_ashr_i32 s14, s5, 5
	s_mul_i32 s5, s9, 22
	v_add_nc_u32_e32 v6, 8, v67
	v_add_nc_u32_e32 v7, 16, v67
	;; [unrolled: 1-line block ×6, first 2 shown]
	s_mul_hi_i32 s9, s9, 22
	v_mul_lo_u32 v81, s4, v1
	s_waitcnt lgkmcnt(0)
	s_add_u32 s5, s0, s5
	s_addc_u32 s9, s1, s9
	s_add_i32 s1, s8, -1
	v_cvt_f64_u32_e32 v[3:4], v67
	v_add_nc_u32_e32 v17, 56, v67
	v_mad_u32_u24 v90, 0x104, v1, v5
	v_cvt_f64_u32_e32 v[5:6], v6
	v_cvt_f64_u32_e32 v[7:8], v7
	;; [unrolled: 1-line block ×6, first 2 shown]
	v_cvt_f64_i32_e32 v[19:20], s1
	s_lshl_b32 s0, s4, 3
	v_cvt_f64_u32_e32 v[17:18], v17
	v_add_nc_u32_e32 v84, s0, v81
	v_lshrrev_b32_e32 v75, 2, v0
	v_lshrrev_b32_e32 v79, 3, v0
	v_and_b32_e32 v78, 7, v0
	v_and_b32_e32 v2, 3, v0
	v_add_nc_u32_e32 v86, s0, v84
	s_andn2_b32 s11, s11, 31
	v_lshl_add_u32 v21, v1, 2, v79
	v_lshlrev_b32_e32 v22, 2, v78
	v_lshlrev_b32_e32 v88, 2, v2
	v_add_nc_u32_e32 v89, s0, v86
	v_lshlrev_b32_e32 v125, 7, v1
	v_mul_lo_u32 v114, s4, v21
	v_and_b32_e32 v23, 0x7fc, v21
	v_lshlrev_b32_e32 v24, 5, v21
	v_add_nc_u32_e32 v91, s0, v89
	v_add_nc_u32_e32 v25, 32, v21
	;; [unrolled: 1-line block ×4, first 2 shown]
	v_min_f64 v[3:4], v[3:4], v[19:20]
	v_min_f64 v[5:6], v[5:6], v[19:20]
	v_min_f64 v[7:8], v[7:8], v[19:20]
	v_min_f64 v[9:10], v[9:10], v[19:20]
	v_min_f64 v[11:12], v[11:12], v[19:20]
	v_min_f64 v[13:14], v[13:14], v[19:20]
	v_min_f64 v[15:16], v[15:16], v[19:20]
	v_add_nc_u32_e32 v93, s0, v91
	v_min_f64 v[17:18], v[17:18], v[19:20]
	v_lshl_add_u32 v20, v1, 3, v75
	v_and_b32_e32 v19, 0xffc, v21
	v_and_b32_e32 v27, 0xffc, v25
	v_add_nc_u32_e32 v96, s0, v93
	v_and_b32_e32 v28, 0xffc, v26
	v_add_nc_u32_e32 v119, s11, v114
	v_add3_u32 v23, v23, v22, 0xa200
	v_add3_u32 v27, v27, v22, 0xa200
	v_add_nc_u32_e32 v100, s0, v96
	v_lshlrev_b32_e32 v25, 5, v25
	v_add_nc_u32_e32 v121, s11, v119
	v_add3_u32 v28, v28, v22, 0xa200
	v_lshlrev_b32_e32 v26, 5, v26
	v_add_nc_u32_e32 v104, s0, v100
	v_cvt_i32_f64_e32 v3, v[3:4]
	v_cvt_i32_f64_e32 v4, v[5:6]
	;; [unrolled: 1-line block ×7, first 2 shown]
	v_add_nc_u32_e32 v110, s0, v104
	v_cvt_i32_f64_e32 v16, v[17:18]
	v_and_b32_e32 v7, 63, v20
	v_add3_u32 v5, v19, v22, 0xa200
	v_and_b32_e32 v15, 31, v0
	v_add_nc_u32_e32 v115, s0, v110
	v_lshlrev_b32_e32 v11, 2, v0
	v_or_b32_e32 v13, s7, v7
	v_lshl_or_b32 v7, v7, 4, v88
	v_lshl_or_b32 v124, v15, 2, 0x8200
	v_add_nc_u32_e32 v116, s0, v115
	v_lshlrev_b32_e32 v15, 5, v0
	v_min_i32_e32 v13, s1, v13
	v_and_b32_e32 v17, 0xfc, v0
	v_and_b32_e32 v11, 28, v11
	v_add_nc_u32_e32 v117, s0, v116
	v_lshlrev_b32_e32 v9, 5, v21
	v_mad_u64_u32 v[18:19], null, v13, s14, v[2:3]
	v_add_nc_u32_e32 v13, 64, v0
	v_mul_lo_u32 v132, s14, v12
	v_mul_lo_u32 v133, s14, v14
	v_add_nc_u32_e32 v12, 0x60, v0
	v_add_nc_u32_e32 v14, 32, v0
	;; [unrolled: 1-line block ×3, first 2 shown]
	v_mul_lo_u32 v134, s14, v16
	v_and_b32_e32 v13, 0x1fc, v13
	v_and_b32_e32 v12, 0x1fc, v12
	;; [unrolled: 1-line block ×3, first 2 shown]
	v_add_nc_u32_e32 v120, s0, v118
	v_add_nc_u32_e32 v126, 0xb280, v7
	v_mul_lo_u32 v127, s14, v3
	v_mul_lo_u32 v128, s14, v4
	v_add_nc_u32_e32 v2, 0x400, v125
	v_mul_lo_u32 v129, s14, v6
	v_add_nc_u32_e32 v3, 0x800, v125
	;; [unrolled: 2-line block ×4, first 2 shown]
	v_add_nc_u32_e32 v7, 0x1400, v125
	v_add_nc_u32_e32 v8, 0x1800, v125
	;; [unrolled: 1-line block ×3, first 2 shown]
	v_lshrrev_b32_e32 v136, 3, v14
	v_add_nc_u32_e32 v12, v15, v12
	v_add_nc_u32_e32 v13, v15, v13
	;; [unrolled: 1-line block ×5, first 2 shown]
	v_add_co_u32 v19, s0, s2, v11
	v_add_co_ci_u32_e64 v20, null, s3, 0, s0
	s_movk_i32 s0, 0x80
	v_mov_b32_e32 v68, 0
	v_add_nc_u32_e32 v94, 0x820, v90
	v_add_nc_u32_e32 v95, 0x1040, v90
	v_add_nc_u32_e32 v97, 0x1860, v90
	v_add_nc_u32_e32 v98, 0x2080, v90
	v_add_nc_u32_e32 v99, 0x28a0, v90
	v_add_nc_u32_e32 v101, 0x30c0, v90
	v_add_nc_u32_e32 v102, 0x38e0, v90
	v_add_nc_u32_e32 v103, 0x4100, v90
	v_add_nc_u32_e32 v105, 0x4920, v90
	v_add_nc_u32_e32 v106, 0x5140, v90
	v_add_nc_u32_e32 v107, 0x5960, v90
	v_add_nc_u32_e32 v109, 0x6180, v90
	v_add_nc_u32_e32 v111, 0x69a0, v90
	v_add_nc_u32_e32 v112, 0x71c0, v90
	v_add_nc_u32_e32 v113, 0x79e0, v90
	v_add_nc_u32_e32 v123, s11, v121
	v_mul_u32_u24_e32 v135, 0x104, v0
	v_add_nc_u32_e32 v137, 0xae00, v12
	v_add_nc_u32_e32 v138, 0xaa00, v13
	;; [unrolled: 1-line block ×4, first 2 shown]
	v_lshl_add_u32 v141, v1, 4, 0xb280
	v_add_nc_u32_e32 v142, 0x8200, v125
	v_add_nc_u32_e32 v143, 0xae10, v12
	;; [unrolled: 1-line block ×5, first 2 shown]
	v_mad_u32_u24 v147, 0x104, v0, s0
	v_add_nc_u32_e32 v148, v23, v24
	v_add_nc_u32_e32 v149, v27, v25
	;; [unrolled: 1-line block ×11, first 2 shown]
	v_mov_b32_e32 v85, 0
	v_mov_b32_e32 v77, 0
	;; [unrolled: 1-line block ×31, first 2 shown]
	s_add_i32 s11, s4, 3
	s_mov_b32 s14, 0
	s_branch .LBB121_6
.LBB121_5:                              ;   in Loop: Header=BB121_6 Depth=1
	s_add_i32 s14, s14, 8
	s_add_i32 s11, s11, -8
	s_cmp_ge_i32 s14, s4
	s_cbranch_scc1 .LBB121_13
.LBB121_6:                              ; =>This Loop Header: Depth=1
                                        ;     Child Loop BB121_8 Depth 2
                                        ;     Child Loop BB121_11 Depth 2
	s_mul_i32 s0, s14, 22
	s_mul_hi_u32 s1, s14, 22
	s_add_u32 s0, s5, s0
	s_addc_u32 s1, s9, s1
	s_cmp_gt_u32 s11, 3
	v_mad_u64_u32 v[2:3], null, v75, 22, s[0:1]
	v_mad_u64_u32 v[4:5], null, v81, 22, v[2:3]
	;; [unrolled: 1-line block ×5, first 2 shown]
	v_add_co_u32 v8, vcc_lo, v4, v88
	v_add_co_ci_u32_e64 v9, null, 0, v5, vcc_lo
	v_add_co_u32 v10, vcc_lo, v6, v88
	v_add_co_ci_u32_e64 v11, null, 0, v7, vcc_lo
	;; [unrolled: 2-line block ×4, first 2 shown]
	s_clause 0x7
	global_load_dword v12, v[8:9], off offset:6
	global_load_dword v10, v[10:11], off offset:6
	;; [unrolled: 1-line block ×8, first 2 shown]
	v_mad_u64_u32 v[16:17], null, v91, 22, v[2:3]
	v_mad_u64_u32 v[21:22], null, v93, 22, v[2:3]
	;; [unrolled: 1-line block ×4, first 2 shown]
	v_add_co_u32 v27, vcc_lo, v16, v88
	v_add_co_ci_u32_e64 v28, null, 0, v17, vcc_lo
	v_add_co_u32 v29, vcc_lo, v21, v88
	v_add_co_ci_u32_e64 v30, null, 0, v22, vcc_lo
	s_clause 0x5
	global_load_dword v5, v[25:26], off offset:2
	global_load_dword v7, v[23:24], off offset:2
	;; [unrolled: 1-line block ×6, first 2 shown]
	v_add_co_u32 v16, vcc_lo, v23, v88
	v_add_co_ci_u32_e64 v17, null, 0, v24, vcc_lo
	v_add_co_u32 v21, vcc_lo, v25, v88
	v_add_co_ci_u32_e64 v22, null, 0, v26, vcc_lo
	s_clause 0x1
	global_load_dword v6, v[16:17], off offset:6
	global_load_dword v4, v[21:22], off offset:6
	v_mad_u64_u32 v[21:22], null, v104, 22, v[2:3]
	v_mad_u64_u32 v[23:24], null, v110, 22, v[2:3]
	;; [unrolled: 1-line block ×8, first 2 shown]
	v_add_co_u32 v2, vcc_lo, v21, v88
	v_add_co_ci_u32_e64 v3, null, 0, v22, vcc_lo
	v_add_co_u32 v16, vcc_lo, v23, v88
	v_add_co_ci_u32_e64 v17, null, 0, v24, vcc_lo
	;; [unrolled: 2-line block ×4, first 2 shown]
	s_clause 0x7
	global_load_dword v47, v[2:3], off offset:6
	global_load_dword v48, v[16:17], off offset:6
	;; [unrolled: 1-line block ×8, first 2 shown]
	v_add_co_u32 v41, vcc_lo, v29, v88
	v_add_co_ci_u32_e64 v42, null, 0, v30, vcc_lo
	s_waitcnt vmcnt(23)
	v_and_b32_e32 v22, 0xf0f0f0f, v12
	v_lshrrev_b32_e32 v12, 4, v12
	s_waitcnt vmcnt(22)
	v_and_b32_e32 v24, 0xf0f0f0f, v10
	v_lshrrev_b32_e32 v10, 4, v10
	s_waitcnt vmcnt(19)
	v_ashrrev_i32_e32 v11, v88, v11
	s_waitcnt vmcnt(18)
	v_ashrrev_i32_e32 v13, v88, v13
	;; [unrolled: 2-line block ×4, first 2 shown]
	v_and_b32_e32 v25, 0xf0f0f0f, v8
	v_lshrrev_b32_e32 v8, 4, v8
	v_lshlrev_b32_e32 v167, 4, v13
	v_lshlrev_b32_e32 v160, 4, v14
	v_lshrrev_b32_e32 v49, 12, v15
	v_lshrrev_b32_e32 v50, 5, v15
	v_lshlrev_b32_e32 v159, 2, v15
	v_lshlrev_b32_e32 v161, 11, v14
	;; [unrolled: 1-line block ×4, first 2 shown]
	v_lshrrev_b32_e32 v164, 12, v14
	v_lshrrev_b32_e32 v165, 5, v14
	v_lshlrev_b32_e32 v166, 2, v14
	s_waitcnt vmcnt(13)
	v_ashrrev_i32_e32 v38, v88, v43
	s_waitcnt vmcnt(12)
	v_ashrrev_i32_e32 v27, v88, v44
	s_waitcnt vmcnt(11)
	v_and_b32_e32 v28, 0xf0f0f0f, v45
	v_lshrrev_b32_e32 v37, 4, v45
	s_waitcnt vmcnt(10)
	v_and_b32_e32 v39, 0xf0f0f0f, v46
	v_lshrrev_b32_e32 v40, 4, v46
	v_lshlrev_b32_e32 v43, 4, v15
	v_lshlrev_b32_e32 v44, 11, v15
	;; [unrolled: 1-line block ×9, first 2 shown]
	v_lshrrev_b32_e32 v171, 12, v13
	v_lshrrev_b32_e32 v172, 5, v13
	v_lshlrev_b32_e32 v173, 2, v13
	v_lshlrev_b32_e32 v13, 9, v13
	v_lshlrev_b32_e32 v174, 4, v11
	v_lshlrev_b32_e32 v175, 11, v11
	v_and_b32_e32 v12, 0xf0f0f0f, v12
	v_and_b32_e32 v43, 16, v43
	;; [unrolled: 1-line block ×19, first 2 shown]
	v_lshrrev_b32_e32 v9, 4, v9
	v_and_b32_e32 v8, 0xf0f0f0f, v8
	v_lshlrev_b32_e32 v176, 18, v11
	v_lshlrev_b32_e32 v177, 25, v11
	v_lshrrev_b32_e32 v178, 12, v11
	v_lshrrev_b32_e32 v179, 5, v11
	v_lshlrev_b32_e32 v180, 2, v11
	v_lshlrev_b32_e32 v11, 9, v11
	v_and_b32_e32 v171, 16, v171
	v_and_b32_e32 v172, 0x1000, v172
	;; [unrolled: 1-line block ×6, first 2 shown]
	v_lshlrev_b32_e32 v181, 4, v27
	v_lshlrev_b32_e32 v182, 11, v27
	v_or3_b32 v43, v43, v22, v44
	v_or3_b32 v22, v22, v45, v46
	;; [unrolled: 1-line block ×3, first 2 shown]
	v_and_b32_e32 v162, 0x100000, v162
	v_and_b32_e32 v163, 0x10000000, v163
	v_or3_b32 v12, v12, v159, v15
	v_or3_b32 v15, v160, v24, v161
	v_and_b32_e32 v169, 0x100000, v169
	v_and_b32_e32 v170, 0x10000000, v170
	v_or3_b32 v45, v164, v10, v165
	v_or3_b32 v10, v10, v166, v14
	;; [unrolled: 1-line block ×3, first 2 shown]
	v_and_b32_e32 v9, 0xf0f0f0f, v9
	v_and_b32_e32 v176, 0x100000, v176
	v_and_b32_e32 v177, 0x10000000, v177
	v_and_b32_e32 v178, 16, v178
	v_and_b32_e32 v179, 0x1000, v179
	v_and_b32_e32 v180, 0x100000, v180
	v_and_b32_e32 v11, 0x10000000, v11
	v_or3_b32 v46, v171, v8, v172
	v_or3_b32 v8, v8, v173, v13
	;; [unrolled: 1-line block ×3, first 2 shown]
	v_lshlrev_b32_e32 v183, 18, v27
	v_lshlrev_b32_e32 v184, 25, v27
	v_and_b32_e32 v181, 16, v181
	v_and_b32_e32 v182, 0x1000, v182
	v_lshrrev_b32_e32 v22, 16, v22
	v_and_b32_e32 v160, 0x1f00, v43
	v_lshlrev_b16 v43, 8, v43
	v_and_b32_e32 v161, 0x1f00, v44
	v_lshlrev_b16 v44, 8, v44
	v_or3_b32 v24, v24, v162, v163
	v_and_b32_e32 v162, 0x1f00, v15
	v_lshlrev_b16 v15, 8, v15
	v_or3_b32 v25, v25, v169, v170
	;; [unrolled: 3-line block ×3, first 2 shown]
	v_or3_b32 v49, v178, v9, v179
	v_or3_b32 v9, v9, v180, v11
	v_and_b32_e32 v166, 0x1f00, v13
	v_lshlrev_b16 v13, 8, v13
	v_and_b32_e32 v183, 0x100000, v183
	v_and_b32_e32 v184, 0x10000000, v184
	v_or3_b32 v11, v181, v28, v182
	v_lshrrev_b32_e32 v12, 16, v12
	v_add_nc_u16 v160, 0xf000, v160
	v_add_nc_u16 v43, 0xf000, v43
	v_and_b32_e32 v171, 0x1f00, v22
	v_lshlrev_b16 v22, 8, v22
	v_add_nc_u16 v44, 0xf000, v44
	v_lshrrev_b32_e32 v24, 16, v24
	v_lshrrev_b32_e32 v10, 16, v10
	v_add_nc_u16 v15, 0xf000, v15
	v_and_b32_e32 v163, 0x1f00, v45
	v_lshlrev_b16 v45, 8, v45
	v_lshrrev_b32_e32 v25, 16, v25
	v_lshrrev_b32_e32 v8, 16, v8
	v_add_nc_u16 v14, 0xf000, v14
	v_and_b32_e32 v165, 0x1f00, v46
	v_lshlrev_b16 v46, 8, v46
	v_lshrrev_b32_e32 v26, 16, v26
	v_lshrrev_b32_e32 v9, 16, v9
	v_add_nc_u16 v13, 0xf000, v13
	v_or3_b32 v28, v28, v183, v184
	v_and_b32_e32 v168, 0x1f00, v11
	v_lshlrev_b16 v11, 8, v11
	v_and_b32_e32 v172, 0x1f00, v12
	v_lshlrev_b16 v12, 8, v12
	v_perm_b32 v43, v43, v160, 0xc0c0105
	v_add_nc_u16 v160, 0xf000, v171
	v_add_nc_u16 v22, 0xf000, v22
	v_or_b32_sdwa v44, v161, v44 dst_sel:DWORD dst_unused:UNUSED_PAD src0_sel:DWORD src1_sel:BYTE_1
	v_and_b32_e32 v173, 0x1f00, v24
	v_lshlrev_b16 v24, 8, v24
	v_and_b32_e32 v174, 0x1f00, v10
	v_lshlrev_b16 v10, 8, v10
	v_or_b32_sdwa v15, v162, v15 dst_sel:DWORD dst_unused:UNUSED_PAD src0_sel:DWORD src1_sel:BYTE_1
	v_add_nc_u16 v163, 0xf000, v163
	v_add_nc_u16 v45, 0xf000, v45
	v_and_b32_e32 v175, 0x1f00, v25
	v_lshlrev_b16 v25, 8, v25
	v_and_b32_e32 v176, 0x1f00, v8
	v_lshlrev_b16 v8, 8, v8
	v_or_b32_sdwa v14, v164, v14 dst_sel:DWORD dst_unused:UNUSED_PAD src0_sel:DWORD src1_sel:BYTE_1
	v_and_b32_e32 v167, 0x1f00, v49
	v_lshlrev_b16 v49, 8, v49
	v_add_nc_u16 v165, 0xf000, v165
	v_add_nc_u16 v46, 0xf000, v46
	v_and_b32_e32 v177, 0x1f00, v26
	v_lshlrev_b16 v26, 8, v26
	v_and_b32_e32 v178, 0x1f00, v9
	v_lshlrev_b16 v9, 8, v9
	v_or_b32_sdwa v13, v166, v13 dst_sel:DWORD dst_unused:UNUSED_PAD src0_sel:DWORD src1_sel:BYTE_1
	v_lshrrev_b32_e32 v28, 16, v28
	v_add_nc_u16 v11, 0xf000, v11
	v_add_nc_u16 v171, 0xf000, v172
	;; [unrolled: 1-line block ×3, first 2 shown]
	v_perm_b32 v22, v22, v160, 0xc0c0105
	v_add_nc_u16 v44, 0xf000, v44
	v_add_nc_u16 v161, 0xf000, v173
	;; [unrolled: 1-line block ×6, first 2 shown]
	v_perm_b32 v45, v45, v163, 0xc0c0105
	v_add_nc_u16 v163, 0xf000, v175
	v_add_nc_u16 v25, 0xf000, v25
	;; [unrolled: 1-line block ×7, first 2 shown]
	v_perm_b32 v46, v46, v165, 0xc0c0105
	v_add_nc_u16 v165, 0xf000, v177
	v_add_nc_u16 v26, 0xf000, v26
	;; [unrolled: 1-line block ×5, first 2 shown]
	v_and_b32_e32 v179, 0x1f00, v28
	v_lshlrev_b16 v28, 8, v28
	v_or_b32_sdwa v11, v168, v11 dst_sel:DWORD dst_unused:UNUSED_PAD src0_sel:DWORD src1_sel:BYTE_1
	v_perm_b32 v12, v12, v171, 0xc0c0105
	v_lshl_or_b32 v22, v22, 16, v43
	v_and_b32_e32 v43, 0xffff, v44
	v_perm_b32 v24, v24, v161, 0xc0c0105
	v_perm_b32 v10, v10, v162, 0xc0c0105
	v_and_b32_e32 v15, 0xffff, v15
	v_lshrrev_b32_e32 v185, 12, v27
	v_lshrrev_b32_e32 v186, 5, v27
	v_lshlrev_b32_e32 v187, 2, v27
	v_lshlrev_b32_e32 v27, 9, v27
	v_perm_b32 v25, v25, v163, 0xc0c0105
	v_perm_b32 v8, v8, v164, 0xc0c0105
	v_and_b32_e32 v14, 0xffff, v14
	v_perm_b32 v49, v49, v167, 0xc0c0105
	v_perm_b32 v26, v26, v165, 0xc0c0105
	v_perm_b32 v9, v9, v166, 0xc0c0105
	v_and_b32_e32 v13, 0xffff, v13
	v_add_nc_u16 v167, 0xf000, v179
	v_add_nc_u16 v28, 0xf000, v28
	;; [unrolled: 1-line block ×3, first 2 shown]
	v_lshl_or_b32 v12, v12, 16, v43
	v_lshl_or_b32 v10, v10, 16, v45
	v_lshl_or_b32 v15, v24, 16, v15
	v_and_b32_e32 v37, 0xf0f0f0f, v37
	v_and_b32_e32 v187, 0x100000, v187
	;; [unrolled: 1-line block ×3, first 2 shown]
	v_lshl_or_b32 v8, v8, 16, v46
	v_lshl_or_b32 v14, v25, 16, v14
	;; [unrolled: 1-line block ×4, first 2 shown]
	v_perm_b32 v28, v28, v167, 0xc0c0105
	v_and_b32_e32 v11, 0xffff, v11
	ds_write2_b32 v90, v22, v12 offset1:1
	ds_write2_b32 v94, v15, v10 offset1:1
	;; [unrolled: 1-line block ×4, first 2 shown]
	v_add_co_u32 v8, vcc_lo, v31, v88
	v_and_b32_e32 v185, 16, v185
	v_and_b32_e32 v186, 0x1000, v186
	v_or3_b32 v27, v37, v187, v27
	v_add_co_ci_u32_e64 v9, null, 0, v32, vcc_lo
	v_add_co_u32 v10, vcc_lo, v33, v88
	v_lshl_or_b32 v24, v28, 16, v11
	v_add_co_ci_u32_e64 v11, null, 0, v34, vcc_lo
	v_add_co_u32 v12, vcc_lo, v35, v88
	v_add_co_ci_u32_e64 v13, null, 0, v36, vcc_lo
	v_lshlrev_b32_e32 v188, 4, v38
	v_lshlrev_b32_e32 v189, 11, v38
	v_or3_b32 v50, v185, v37, v186
	v_lshrrev_b32_e32 v27, 16, v27
	s_clause 0x7
	global_load_dword v15, v[41:42], off offset:6
	global_load_dword v22, v[8:9], off offset:6
	global_load_dword v25, v[10:11], off offset:6
	global_load_dword v8, v[12:13], off offset:6
	global_load_dword v9, v[35:36], off offset:2
	global_load_dword v26, v[33:34], off offset:2
	global_load_dword v28, v[31:32], off offset:2
	global_load_dword v29, v[29:30], off offset:2
	v_lshlrev_b32_e32 v190, 18, v38
	v_lshlrev_b32_e32 v191, 25, v38
	v_and_b32_e32 v188, 16, v188
	v_and_b32_e32 v189, 0x1000, v189
	;; [unrolled: 1-line block ×3, first 2 shown]
	v_lshlrev_b16 v50, 8, v50
	v_and_b32_e32 v180, 0x1f00, v27
	v_lshlrev_b16 v27, 8, v27
	v_lshrrev_b32_e32 v192, 12, v38
	v_lshrrev_b32_e32 v193, 5, v38
	v_lshlrev_b32_e32 v194, 2, v38
	v_lshlrev_b32_e32 v38, 9, v38
	v_and_b32_e32 v190, 0x100000, v190
	v_and_b32_e32 v191, 0x10000000, v191
	v_or3_b32 v37, v188, v39, v189
	v_add_nc_u16 v169, 0xf000, v169
	v_add_nc_u16 v50, 0xf000, v50
	v_add_nc_u16 v168, 0xf000, v180
	v_add_nc_u16 v27, 0xf000, v27
	v_and_b32_e32 v40, 0xf0f0f0f, v40
	v_and_b32_e32 v194, 0x100000, v194
	;; [unrolled: 1-line block ×3, first 2 shown]
	v_or3_b32 v39, v39, v190, v191
	v_and_b32_e32 v170, 0x1f00, v37
	v_lshlrev_b16 v37, 8, v37
	v_perm_b32 v50, v50, v169, 0xc0c0105
	v_perm_b32 v27, v27, v168, 0xc0c0105
	v_and_b32_e32 v192, 16, v192
	v_and_b32_e32 v193, 0x1000, v193
	v_lshrrev_b32_e32 v39, 16, v39
	v_add_nc_u16 v37, 0xf000, v37
	v_lshl_or_b32 v27, v27, 16, v50
	v_or3_b32 v14, v40, v194, v38
	v_ashrrev_i32_e32 v7, v88, v7
	v_or3_b32 v159, v192, v40, v193
	v_and_b32_e32 v181, 0x1f00, v39
	v_lshlrev_b16 v39, 8, v39
	v_or_b32_sdwa v37, v170, v37 dst_sel:DWORD dst_unused:UNUSED_PAD src0_sel:DWORD src1_sel:BYTE_1
	ds_write2_b32 v98, v24, v27 offset1:1
	v_lshrrev_b32_e32 v12, 16, v14
	v_lshlrev_b32_e32 v27, 4, v7
	v_lshlrev_b32_e32 v30, 18, v7
	;; [unrolled: 1-line block ×4, first 2 shown]
	v_add_nc_u16 v169, 0xf000, v181
	v_add_nc_u16 v39, 0xf000, v39
	v_add_nc_u16 v37, 0xf000, v37
	v_and_b32_e32 v10, 0x1f00, v159
	v_lshlrev_b16 v14, 8, v159
	v_and_b32_e32 v24, 0x1f00, v12
	v_lshlrev_b16 v12, 8, v12
	s_waitcnt vmcnt(17)
	v_and_b32_e32 v33, 0xf0f0f0f, v6
	v_and_b32_e32 v27, 16, v27
	;; [unrolled: 1-line block ×5, first 2 shown]
	v_perm_b32 v11, v39, v169, 0xc0c0105
	v_and_b32_e32 v13, 0xffff, v37
	v_add_nc_u16 v10, 0xf000, v10
	v_add_nc_u16 v14, 0xf000, v14
	;; [unrolled: 1-line block ×4, first 2 shown]
	v_or3_b32 v30, v33, v30, v31
	v_or3_b32 v27, v27, v33, v32
	v_lshl_or_b32 v11, v11, 16, v13
	v_perm_b32 v10, v14, v10, 0xc0c0105
	v_perm_b32 v12, v12, v24, 0xc0c0105
	v_lshrrev_b32_e32 v13, 16, v30
	v_and_b32_e32 v14, 0x1f00, v27
	v_lshlrev_b16 v24, 8, v27
	v_lshrrev_b32_e32 v6, 4, v6
	v_lshrrev_b32_e32 v27, 12, v7
	;; [unrolled: 1-line block ×3, first 2 shown]
	v_lshlrev_b32_e32 v31, 2, v7
	v_lshlrev_b32_e32 v7, 9, v7
	v_and_b32_e32 v6, 0xf0f0f0f, v6
	v_and_b32_e32 v27, 16, v27
	;; [unrolled: 1-line block ×5, first 2 shown]
	v_add_nc_u16 v14, 0xf000, v14
	v_add_nc_u16 v24, 0xf000, v24
	v_or3_b32 v27, v27, v6, v30
	v_lshl_or_b32 v10, v12, 16, v10
	v_or3_b32 v6, v6, v31, v7
	v_and_b32_e32 v7, 0x1f00, v13
	v_perm_b32 v12, v24, v14, 0xc0c0105
	v_lshlrev_b16 v14, 8, v27
	v_lshlrev_b16 v13, 8, v13
	v_lshrrev_b32_e32 v6, 16, v6
	v_and_b32_e32 v24, 0x1f00, v27
	v_add_nc_u16 v7, 0xf000, v7
	v_add_nc_u16 v14, 0xf000, v14
	;; [unrolled: 1-line block ×3, first 2 shown]
	v_and_b32_e32 v27, 0x1f00, v6
	v_ashrrev_i32_e32 v5, v88, v5
	v_lshlrev_b16 v6, 8, v6
	v_or_b32_sdwa v14, v24, v14 dst_sel:DWORD dst_unused:UNUSED_PAD src0_sel:DWORD src1_sel:BYTE_1
	v_perm_b32 v7, v13, v7, 0xc0c0105
	v_add_nc_u16 v13, 0xf000, v27
	v_lshlrev_b32_e32 v24, 4, v5
	v_add_nc_u16 v6, 0xf000, v6
	v_add_nc_u16 v14, 0xf000, v14
	v_lshlrev_b32_e32 v27, 11, v5
	v_lshlrev_b32_e32 v31, 18, v5
	;; [unrolled: 1-line block ×3, first 2 shown]
	s_waitcnt vmcnt(16)
	v_and_b32_e32 v30, 0xf0f0f0f, v4
	v_and_b32_e32 v24, 16, v24
	;; [unrolled: 1-line block ×3, first 2 shown]
	v_perm_b32 v6, v6, v13, 0xc0c0105
	v_and_b32_e32 v13, 0xffff, v14
	v_and_b32_e32 v14, 0x100000, v31
	;; [unrolled: 1-line block ×3, first 2 shown]
	v_or3_b32 v24, v24, v30, v27
	ds_write2_b32 v99, v11, v10 offset1:1
	v_lshl_or_b32 v7, v7, 16, v12
	v_lshl_or_b32 v6, v6, 16, v13
	v_or3_b32 v10, v30, v14, v31
	v_lshrrev_b32_e32 v4, 4, v4
	v_lshlrev_b32_e32 v12, 2, v5
	v_lshlrev_b32_e32 v13, 9, v5
	v_and_b32_e32 v11, 0x1f00, v24
	v_lshrrev_b32_e32 v10, 16, v10
	v_and_b32_e32 v4, 0xf0f0f0f, v4
	v_and_b32_e32 v12, 0x100000, v12
	;; [unrolled: 1-line block ×3, first 2 shown]
	v_lshlrev_b16 v14, 8, v24
	v_lshrrev_b32_e32 v24, 12, v5
	v_lshrrev_b32_e32 v5, 5, v5
	v_add_nc_u16 v11, 0xf000, v11
	v_and_b32_e32 v27, 0x1f00, v10
	v_or3_b32 v12, v4, v12, v13
	v_lshlrev_b16 v10, 8, v10
	v_and_b32_e32 v13, 16, v24
	v_and_b32_e32 v5, 0x1000, v5
	v_add_nc_u16 v14, 0xf000, v14
	v_add_nc_u16 v24, 0xf000, v27
	;; [unrolled: 1-line block ×3, first 2 shown]
	ds_write2_b32 v101, v7, v6 offset1:1
	v_or3_b32 v4, v13, v4, v5
	v_perm_b32 v6, v14, v11, 0xc0c0105
	s_waitcnt vmcnt(8)
	v_ashrrev_i32_e32 v11, v88, v21
	v_perm_b32 v7, v10, v24, 0xc0c0105
	v_and_b32_e32 v27, 0xf0f0f0f, v47
	v_lshlrev_b16 v10, 8, v4
	v_and_b32_e32 v4, 0x1f00, v4
	v_lshlrev_b32_e32 v13, 4, v11
	v_lshlrev_b32_e32 v14, 18, v11
	;; [unrolled: 1-line block ×4, first 2 shown]
	v_add_nc_u16 v10, 0xf000, v10
	v_and_b32_e32 v13, 16, v13
	v_and_b32_e32 v14, 0x100000, v14
	;; [unrolled: 1-line block ×4, first 2 shown]
	v_lshrrev_b32_e32 v12, 16, v12
	v_or_b32_sdwa v4, v4, v10 dst_sel:DWORD dst_unused:UNUSED_PAD src0_sel:DWORD src1_sel:BYTE_1
	v_lshl_or_b32 v30, v7, 16, v6
	v_or3_b32 v6, v27, v14, v21
	v_or3_b32 v7, v13, v27, v24
	v_lshrrev_b32_e32 v10, 4, v47
	v_lshlrev_b32_e32 v13, 2, v11
	v_lshlrev_b32_e32 v14, 9, v11
	v_lshrrev_b32_e32 v21, 12, v11
	v_lshrrev_b32_e32 v11, 5, v11
	v_and_b32_e32 v5, 0x1f00, v12
	v_lshlrev_b16 v12, 8, v12
	v_and_b32_e32 v10, 0xf0f0f0f, v10
	v_and_b32_e32 v13, 0x100000, v13
	;; [unrolled: 1-line block ×5, first 2 shown]
	v_add_nc_u16 v5, 0xf000, v5
	v_add_nc_u16 v12, 0xf000, v12
	v_or3_b32 v13, v10, v13, v14
	v_lshrrev_b32_e32 v6, 16, v6
	v_or3_b32 v10, v21, v10, v11
	v_ashrrev_i32_e32 v21, v88, v23
	v_perm_b32 v5, v12, v5, 0xc0c0105
	v_and_b32_e32 v12, 0x1f00, v7
	v_lshlrev_b16 v7, 8, v7
	v_lshrrev_b32_e32 v11, 16, v13
	v_lshlrev_b16 v13, 8, v10
	v_and_b32_e32 v14, 0x1f00, v6
	v_add_nc_u16 v12, 0xf000, v12
	v_add_nc_u16 v7, 0xf000, v7
	v_and_b32_e32 v10, 0x1f00, v10
	v_add_nc_u16 v13, 0xf000, v13
	v_lshlrev_b16 v6, 8, v6
	v_lshlrev_b32_e32 v27, 18, v21
	v_perm_b32 v7, v7, v12, 0xc0c0105
	v_add_nc_u16 v12, 0xf000, v14
	v_and_b32_e32 v14, 0x1f00, v11
	v_lshlrev_b16 v11, 8, v11
	v_or_b32_sdwa v10, v10, v13 dst_sel:DWORD dst_unused:UNUSED_PAD src0_sel:DWORD src1_sel:BYTE_1
	v_lshlrev_b32_e32 v31, 25, v21
	v_add_nc_u16 v4, 0xf000, v4
	v_add_nc_u16 v14, 0xf000, v14
	v_lshlrev_b32_e32 v23, 4, v21
	v_lshlrev_b32_e32 v13, 11, v21
	v_add_nc_u16 v11, 0xf000, v11
	v_add_nc_u16 v10, 0xf000, v10
	;; [unrolled: 1-line block ×3, first 2 shown]
	v_and_b32_e32 v24, 0xf0f0f0f, v48
	v_and_b32_e32 v27, 0x100000, v27
	;; [unrolled: 1-line block ×6, first 2 shown]
	v_perm_b32 v11, v11, v14, 0xc0c0105
	v_and_b32_e32 v10, 0xffff, v10
	v_perm_b32 v6, v6, v12, 0xc0c0105
	v_or3_b32 v12, v24, v27, v31
	v_or3_b32 v13, v23, v24, v13
	v_lshl_or_b32 v23, v5, 16, v4
	v_lshl_or_b32 v27, v11, 16, v10
	v_lshrrev_b32_e32 v4, 4, v48
	v_lshlrev_b32_e32 v5, 2, v21
	v_lshlrev_b32_e32 v10, 9, v21
	v_lshl_or_b32 v24, v6, 16, v7
	v_lshrrev_b32_e32 v6, 16, v12
	v_lshrrev_b32_e32 v11, 12, v21
	;; [unrolled: 1-line block ×3, first 2 shown]
	v_and_b32_e32 v14, 0x1f00, v13
	v_lshlrev_b16 v7, 8, v13
	v_and_b32_e32 v13, 0xf0f0f0f, v4
	v_and_b32_e32 v21, 0x100000, v5
	;; [unrolled: 1-line block ×3, first 2 shown]
	v_mad_u64_u32 v[4:5], null, v78, 22, s[0:1]
	v_and_b32_e32 v11, 16, v11
	v_and_b32_e32 v12, 0x1000, v12
	v_or3_b32 v10, v13, v21, v10
	v_add_nc_u16 v21, 0xf000, v7
	v_and_b32_e32 v31, 0x1f00, v6
	v_lshlrev_b16 v32, 8, v6
	v_or3_b32 v33, v11, v13, v12
	v_mad_u64_u32 v[6:7], null, v114, 22, v[4:5]
	v_mad_u64_u32 v[12:13], null, v121, 22, v[4:5]
	v_lshrrev_b32_e32 v34, 16, v10
	v_mad_u64_u32 v[10:11], null, v119, 22, v[4:5]
	v_mad_u64_u32 v[4:5], null, v123, 22, v[4:5]
	s_clause 0x3
	global_load_ushort v6, v[6:7], off
	global_load_ushort v7, v[10:11], off
	;; [unrolled: 1-line block ×4, first 2 shown]
	v_lshlrev_b16 v35, 8, v33
	v_and_b32_e32 v33, 0x1f00, v33
	v_add_nc_u16 v14, 0xf000, v14
	v_and_b32_e32 v36, 0x1f00, v34
	v_add_nc_u16 v5, 0xf000, v31
	v_add_nc_u16 v10, 0xf000, v35
	v_lshlrev_b16 v12, 8, v34
	v_add_nc_u16 v13, 0xf000, v32
	v_ashrrev_i32_e32 v17, v88, v17
	v_add_nc_u16 v31, 0xf000, v36
	v_or_b32_sdwa v10, v33, v10 dst_sel:DWORD dst_unused:UNUSED_PAD src0_sel:DWORD src1_sel:BYTE_1
	v_add_nc_u16 v12, 0xf000, v12
	v_perm_b32 v14, v21, v14, 0xc0c0105
	v_perm_b32 v5, v13, v5, 0xc0c0105
	v_lshlrev_b32_e32 v13, 4, v17
	v_add_nc_u16 v10, 0xf000, v10
	v_lshlrev_b32_e32 v21, 11, v17
	v_perm_b32 v12, v12, v31, 0xc0c0105
	v_and_b32_e32 v31, 0xf0f0f0f, v16
	v_and_b32_e32 v13, 16, v13
	v_and_b32_e32 v10, 0xffff, v10
	v_lshlrev_b32_e32 v32, 18, v17
	v_lshlrev_b32_e32 v33, 25, v17
	v_and_b32_e32 v21, 0x1000, v21
	v_lshl_or_b32 v5, v5, 16, v14
	v_lshl_or_b32 v10, v12, 16, v10
	v_and_b32_e32 v12, 0x100000, v32
	v_and_b32_e32 v14, 0x10000000, v33
	v_or3_b32 v13, v13, v31, v21
	ds_write2_b32 v102, v30, v23 offset1:1
	ds_write2_b32 v103, v24, v27 offset1:1
	;; [unrolled: 1-line block ×3, first 2 shown]
	v_lshrrev_b32_e32 v21, 12, v17
	v_ashrrev_i32_e32 v3, v88, v3
	v_or3_b32 v5, v31, v12, v14
	v_and_b32_e32 v10, 0x1f00, v13
	v_lshlrev_b16 v12, 8, v13
	v_lshrrev_b32_e32 v13, 4, v16
	v_lshlrev_b32_e32 v14, 2, v17
	v_lshlrev_b32_e32 v16, 9, v17
	v_lshrrev_b32_e32 v17, 5, v17
	v_and_b32_e32 v21, 16, v21
	v_and_b32_e32 v13, 0xf0f0f0f, v13
	;; [unrolled: 1-line block ×5, first 2 shown]
	v_lshrrev_b32_e32 v5, 16, v5
	v_add_nc_u16 v10, 0xf000, v10
	v_add_nc_u16 v12, 0xf000, v12
	v_or3_b32 v14, v13, v14, v16
	v_or3_b32 v13, v21, v13, v17
	v_and_b32_e32 v16, 0x1f00, v5
	v_lshlrev_b16 v5, 8, v5
	v_perm_b32 v10, v12, v10, 0xc0c0105
	v_lshrrev_b32_e32 v14, 16, v14
	v_lshlrev_b16 v12, 8, v13
	v_add_nc_u16 v16, 0xf000, v16
	v_add_nc_u16 v5, 0xf000, v5
	v_and_b32_e32 v13, 0x1f00, v13
	v_and_b32_e32 v17, 0x1f00, v14
	v_add_nc_u16 v12, 0xf000, v12
	v_lshlrev_b32_e32 v21, 25, v3
	v_perm_b32 v5, v5, v16, 0xc0c0105
	v_lshlrev_b32_e32 v23, 11, v3
	v_add_nc_u16 v16, 0xf000, v17
	v_or_b32_sdwa v12, v13, v12 dst_sel:DWORD dst_unused:UNUSED_PAD src0_sel:DWORD src1_sel:BYTE_1
	v_lshlrev_b32_e32 v13, 4, v3
	v_lshlrev_b32_e32 v17, 18, v3
	v_lshlrev_b16 v14, 8, v14
	v_and_b32_e32 v24, 0xf0f0f0f, v2
	v_and_b32_e32 v21, 0x10000000, v21
	;; [unrolled: 1-line block ×5, first 2 shown]
	v_add_nc_u16 v14, 0xf000, v14
	v_lshl_or_b32 v5, v5, 16, v10
	v_lshrrev_b32_e32 v2, 4, v2
	v_or3_b32 v10, v24, v17, v21
	v_or3_b32 v13, v13, v24, v23
	v_lshlrev_b32_e32 v17, 2, v3
	v_lshlrev_b32_e32 v21, 9, v3
	v_lshrrev_b32_e32 v23, 12, v3
	v_lshrrev_b32_e32 v3, 5, v3
	v_perm_b32 v14, v14, v16, 0xc0c0105
	v_and_b32_e32 v16, 0x1f00, v13
	v_and_b32_e32 v2, 0xf0f0f0f, v2
	;; [unrolled: 1-line block ×4, first 2 shown]
	v_lshlrev_b16 v13, 8, v13
	v_and_b32_e32 v23, 16, v23
	v_and_b32_e32 v3, 0x1000, v3
	v_add_nc_u16 v12, 0xf000, v12
	v_lshrrev_b32_e32 v10, 16, v10
	v_add_nc_u16 v16, 0xf000, v16
	v_or3_b32 v17, v2, v17, v21
	v_add_nc_u16 v13, 0xf000, v13
	v_or3_b32 v2, v23, v2, v3
	v_and_b32_e32 v12, 0xffff, v12
	v_and_b32_e32 v21, 0x1f00, v10
	v_lshlrev_b16 v10, 8, v10
	v_perm_b32 v13, v13, v16, 0xc0c0105
	v_lshlrev_b16 v16, 8, v2
	v_lshl_or_b32 v3, v14, 16, v12
	v_lshrrev_b32_e32 v12, 16, v17
	v_add_nc_u16 v14, 0xf000, v21
	v_and_b32_e32 v2, 0x1f00, v2
	v_add_nc_u16 v16, 0xf000, v16
	s_waitcnt vmcnt(4)
	v_ashrrev_i32_e32 v21, v88, v29
	v_and_b32_e32 v17, 0x1f00, v12
	v_lshlrev_b16 v12, 8, v12
	v_add_nc_u16 v10, 0xf000, v10
	v_or_b32_sdwa v2, v2, v16 dst_sel:DWORD dst_unused:UNUSED_PAD src0_sel:DWORD src1_sel:BYTE_1
	v_lshlrev_b32_e32 v16, 4, v21
	v_lshlrev_b32_e32 v23, 11, v21
	;; [unrolled: 1-line block ×4, first 2 shown]
	v_add_nc_u16 v17, 0xf000, v17
	v_add_nc_u16 v12, 0xf000, v12
	v_and_b32_e32 v24, 0xf0f0f0f, v15
	v_and_b32_e32 v16, 16, v16
	;; [unrolled: 1-line block ×3, first 2 shown]
	v_add_nc_u16 v2, 0xf000, v2
	v_and_b32_e32 v27, 0x100000, v27
	v_and_b32_e32 v29, 0x10000000, v29
	v_perm_b32 v10, v10, v14, 0xc0c0105
	v_or3_b32 v14, v16, v24, v23
	v_perm_b32 v12, v12, v17, 0xc0c0105
	v_and_b32_e32 v2, 0xffff, v2
	v_or3_b32 v16, v24, v27, v29
	ds_write2_b32 v106, v5, v3 offset1:1
	v_and_b32_e32 v3, 0x1f00, v14
	v_lshl_or_b32 v5, v10, 16, v13
	v_lshl_or_b32 v2, v12, 16, v2
	v_lshrrev_b32_e32 v10, 16, v16
	v_lshrrev_b32_e32 v12, 4, v15
	v_lshlrev_b16 v13, 8, v14
	v_lshlrev_b32_e32 v14, 2, v21
	v_lshlrev_b32_e32 v15, 9, v21
	v_lshrrev_b32_e32 v16, 12, v21
	v_lshrrev_b32_e32 v17, 5, v21
	v_and_b32_e32 v12, 0xf0f0f0f, v12
	v_and_b32_e32 v14, 0x100000, v14
	;; [unrolled: 1-line block ×5, first 2 shown]
	v_add_nc_u16 v3, 0xf000, v3
	v_and_b32_e32 v21, 0x1f00, v10
	v_lshlrev_b16 v10, 8, v10
	v_or3_b32 v14, v12, v14, v15
	v_add_nc_u16 v13, 0xf000, v13
	v_or3_b32 v12, v16, v12, v17
	v_add_nc_u16 v15, 0xf000, v21
	v_add_nc_u16 v10, 0xf000, v10
	v_lshrrev_b32_e32 v14, 16, v14
	ds_write2_b32 v107, v5, v2 offset1:1
	v_perm_b32 v2, v13, v3, 0xc0c0105
	v_lshlrev_b16 v3, 8, v12
	v_perm_b32 v5, v10, v15, 0xc0c0105
	v_and_b32_e32 v10, 0x1f00, v14
	v_ashrrev_i32_e32 v13, v88, v28
	v_and_b32_e32 v12, 0x1f00, v12
	v_add_nc_u16 v3, 0xf000, v3
	v_lshl_or_b32 v2, v5, 16, v2
	v_add_nc_u16 v5, 0xf000, v10
	v_lshlrev_b32_e32 v10, 4, v13
	v_lshlrev_b16 v14, 8, v14
	v_or_b32_sdwa v3, v12, v3 dst_sel:DWORD dst_unused:UNUSED_PAD src0_sel:DWORD src1_sel:BYTE_1
	v_lshlrev_b32_e32 v12, 11, v13
	v_lshlrev_b32_e32 v16, 18, v13
	;; [unrolled: 1-line block ×3, first 2 shown]
	v_and_b32_e32 v15, 0xf0f0f0f, v22
	v_and_b32_e32 v10, 16, v10
	;; [unrolled: 1-line block ×3, first 2 shown]
	v_add_nc_u16 v14, 0xf000, v14
	v_and_b32_e32 v16, 0x100000, v16
	v_and_b32_e32 v17, 0x10000000, v17
	v_add_nc_u16 v3, 0xf000, v3
	v_or3_b32 v10, v10, v15, v12
	v_perm_b32 v5, v14, v5, 0xc0c0105
	v_lshrrev_b32_e32 v12, 4, v22
	v_or3_b32 v14, v15, v16, v17
	v_lshrrev_b32_e32 v16, 12, v13
	v_lshrrev_b32_e32 v17, 5, v13
	v_lshlrev_b32_e32 v21, 2, v13
	v_and_b32_e32 v12, 0xf0f0f0f, v12
	v_lshlrev_b32_e32 v13, 9, v13
	v_and_b32_e32 v16, 16, v16
	v_and_b32_e32 v17, 0x1000, v17
	v_and_b32_e32 v3, 0xffff, v3
	v_and_b32_e32 v15, 0x1f00, v10
	v_lshlrev_b16 v10, 8, v10
	v_and_b32_e32 v21, 0x100000, v21
	v_and_b32_e32 v13, 0x10000000, v13
	v_or3_b32 v16, v16, v12, v17
	v_add_nc_u16 v15, 0xf000, v15
	v_add_nc_u16 v10, 0xf000, v10
	v_lshrrev_b32_e32 v14, 16, v14
	v_or3_b32 v12, v12, v21, v13
	v_lshl_or_b32 v3, v5, 16, v3
	v_lshlrev_b16 v5, 8, v16
	v_perm_b32 v10, v10, v15, 0xc0c0105
	v_and_b32_e32 v13, 0x1f00, v14
	v_lshrrev_b32_e32 v12, 16, v12
	v_and_b32_e32 v15, 0x1f00, v16
	v_add_nc_u16 v5, 0xf000, v5
	v_lshlrev_b16 v14, 8, v14
	v_add_nc_u16 v13, 0xf000, v13
	v_and_b32_e32 v16, 0x1f00, v12
	v_lshlrev_b16 v12, 8, v12
	v_or_b32_sdwa v5, v15, v5 dst_sel:DWORD dst_unused:UNUSED_PAD src0_sel:DWORD src1_sel:BYTE_1
	v_add_nc_u16 v14, 0xf000, v14
	v_ashrrev_i32_e32 v15, v88, v26
	v_add_nc_u16 v16, 0xf000, v16
	v_add_nc_u16 v12, 0xf000, v12
	v_add_nc_u16 v5, 0xf000, v5
	v_perm_b32 v13, v14, v13, 0xc0c0105
	v_lshlrev_b32_e32 v14, 4, v15
	v_lshlrev_b32_e32 v17, 11, v15
	v_perm_b32 v12, v12, v16, 0xc0c0105
	v_and_b32_e32 v5, 0xffff, v5
	v_and_b32_e32 v16, 0xf0f0f0f, v25
	;; [unrolled: 1-line block ×4, first 2 shown]
	v_lshlrev_b32_e32 v21, 25, v15
	v_lshl_or_b32 v10, v13, 16, v10
	v_lshlrev_b32_e32 v13, 18, v15
	v_lshl_or_b32 v5, v12, 16, v5
	v_or3_b32 v12, v14, v16, v17
	v_lshrrev_b32_e32 v14, 4, v25
	v_and_b32_e32 v17, 0x10000000, v21
	v_lshlrev_b32_e32 v21, 2, v15
	v_lshlrev_b32_e32 v22, 9, v15
	v_and_b32_e32 v13, 0x100000, v13
	v_and_b32_e32 v14, 0xf0f0f0f, v14
	v_lshrrev_b32_e32 v23, 12, v15
	v_lshrrev_b32_e32 v15, 5, v15
	v_and_b32_e32 v21, 0x100000, v21
	v_and_b32_e32 v22, 0x10000000, v22
	v_or3_b32 v13, v16, v13, v17
	v_and_b32_e32 v16, 16, v23
	v_and_b32_e32 v15, 0x1000, v15
	;; [unrolled: 1-line block ×3, first 2 shown]
	v_or3_b32 v21, v14, v21, v22
	v_lshrrev_b32_e32 v13, 16, v13
	v_lshlrev_b16 v12, 8, v12
	v_or3_b32 v14, v16, v14, v15
	v_add_nc_u16 v15, 0xf000, v17
	v_lshrrev_b32_e32 v16, 16, v21
	v_and_b32_e32 v17, 0x1f00, v13
	v_lshlrev_b16 v13, 8, v13
	v_lshlrev_b16 v21, 8, v14
	v_add_nc_u16 v12, 0xf000, v12
	v_and_b32_e32 v22, 0x1f00, v16
	v_lshlrev_b16 v16, 8, v16
	v_and_b32_e32 v14, 0x1f00, v14
	v_add_nc_u16 v21, 0xf000, v21
	v_add_nc_u16 v17, 0xf000, v17
	v_add_nc_u16 v13, 0xf000, v13
	v_add_nc_u16 v22, 0xf000, v22
	v_add_nc_u16 v16, 0xf000, v16
	v_ashrrev_i32_e32 v9, v88, v9
	v_or_b32_sdwa v14, v14, v21 dst_sel:DWORD dst_unused:UNUSED_PAD src0_sel:DWORD src1_sel:BYTE_1
	v_perm_b32 v12, v12, v15, 0xc0c0105
	v_perm_b32 v13, v13, v17, 0xc0c0105
	;; [unrolled: 1-line block ×3, first 2 shown]
	v_lshlrev_b32_e32 v16, 4, v9
	v_lshlrev_b32_e32 v17, 11, v9
	v_and_b32_e32 v21, 0xf0f0f0f, v8
	v_lshlrev_b32_e32 v22, 18, v9
	v_lshlrev_b32_e32 v23, 25, v9
	v_lshrrev_b32_e32 v8, 4, v8
	v_lshrrev_b32_e32 v24, 12, v9
	;; [unrolled: 1-line block ×3, first 2 shown]
	v_and_b32_e32 v16, 16, v16
	v_and_b32_e32 v17, 0x1000, v17
	;; [unrolled: 1-line block ×5, first 2 shown]
	v_lshlrev_b32_e32 v26, 2, v9
	v_lshlrev_b32_e32 v9, 9, v9
	v_and_b32_e32 v24, 16, v24
	v_and_b32_e32 v25, 0x1000, v25
	v_or3_b32 v16, v16, v21, v17
	v_and_b32_e32 v17, 0x100000, v26
	v_and_b32_e32 v9, 0x10000000, v9
	v_or3_b32 v21, v21, v22, v23
	v_or3_b32 v22, v24, v8, v25
	v_and_b32_e32 v23, 0x1f00, v16
	v_lshlrev_b16 v16, 8, v16
	v_or3_b32 v8, v8, v17, v9
	v_lshrrev_b32_e32 v9, 16, v21
	v_lshlrev_b16 v17, 8, v22
	v_and_b32_e32 v22, 0x1f00, v22
	v_add_nc_u16 v21, 0xf000, v23
	v_lshrrev_b32_e32 v8, 16, v8
	v_and_b32_e32 v23, 0x1f00, v9
	v_add_nc_u16 v17, 0xf000, v17
	v_lshlrev_b16 v9, 8, v9
	v_add_nc_u16 v16, 0xf000, v16
	v_and_b32_e32 v24, 0x1f00, v8
	v_lshlrev_b16 v8, 8, v8
	v_or_b32_sdwa v17, v22, v17 dst_sel:DWORD dst_unused:UNUSED_PAD src0_sel:DWORD src1_sel:BYTE_1
	v_add_nc_u16 v22, 0xf000, v23
	v_add_nc_u16 v9, 0xf000, v9
	;; [unrolled: 1-line block ×6, first 2 shown]
	v_perm_b32 v16, v16, v21, 0xc0c0105
	v_perm_b32 v9, v9, v22, 0xc0c0105
	v_perm_b32 v8, v8, v23, 0xc0c0105
	v_and_b32_e32 v17, 0xffff, v17
	v_and_b32_e32 v14, 0xffff, v14
	ds_write2_b32 v109, v2, v3 offset1:1
	v_lshl_or_b32 v2, v9, 16, v16
	v_lshl_or_b32 v12, v13, 16, v12
	;; [unrolled: 1-line block ×4, first 2 shown]
	ds_write2_b32 v111, v10, v5 offset1:1
	ds_write2_b32 v112, v12, v13 offset1:1
	s_waitcnt vmcnt(3)
	v_cvt_f32_f16_e32 v5, v6
	ds_write2_b32 v113, v2, v3 offset1:1
	s_waitcnt vmcnt(1)
	v_cvt_f32_f16_e32 v2, v11
	v_cvt_f32_f16_e32 v6, v7
	s_waitcnt vmcnt(0)
	v_cvt_f32_f16_e32 v3, v4
	ds_write_b32 v148, v5
	ds_write_b32 v149, v6
	;; [unrolled: 1-line block ×4, first 2 shown]
	s_cbranch_scc0 .LBB121_5
; %bb.7:                                ;   in Loop: Header=BB121_6 Depth=1
	v_add_nc_u32_e32 v14, s14, v79
	v_add_nc_u32_e32 v159, s14, v18
	;; [unrolled: 1-line block ×3, first 2 shown]
	v_mov_b32_e32 v161, v142
	v_mov_b32_e32 v162, v135
	v_add_nc_u32_e32 v2, v14, v127
	v_add_nc_u32_e32 v4, v14, v128
	;; [unrolled: 1-line block ×5, first 2 shown]
	v_mad_u64_u32 v[12:13], null, v159, 36, s[2:3]
	v_mad_i64_i32 v[2:3], null, v2, 36, v[19:20]
	v_add_nc_u32_e32 v15, v14, v132
	v_mad_i64_i32 v[4:5], null, v4, 36, v[19:20]
	v_add_nc_u32_e32 v16, v14, v133
	;; [unrolled: 2-line block ×3, first 2 shown]
	v_mad_i64_i32 v[8:9], null, v8, 36, v[19:20]
	v_mad_i64_i32 v[10:11], null, v10, 36, v[19:20]
	;; [unrolled: 1-line block ×5, first 2 shown]
	s_clause 0x8
	global_load_dword v12, v[12:13], off
	global_load_dword v2, v[2:3], off offset:4
	global_load_dword v3, v[4:5], off offset:4
	;; [unrolled: 1-line block ×8, first 2 shown]
	v_mov_b32_e32 v163, v141
	v_mov_b32_e32 v164, v140
	;; [unrolled: 1-line block ×5, first 2 shown]
	s_mov_b32 s0, -4
	s_waitcnt vmcnt(8)
	v_cvt_f32_f16_e32 v10, v12
	s_waitcnt vmcnt(7)
	ds_write_b32 v160, v2
	s_waitcnt vmcnt(6)
	ds_write_b32 v152, v3
	;; [unrolled: 2-line block ×8, first 2 shown]
	ds_write_b32 v126, v10
	s_waitcnt lgkmcnt(0)
	s_barrier
	buffer_gl0_inv
.LBB121_8:                              ;   Parent Loop BB121_6 Depth=1
                                        ; =>  This Inner Loop Header: Depth=2
	v_add_nc_u32_e32 v10, 0x2080, v162
	ds_read_b128 v[6:9], v161
	ds_read2_b32 v[21:22], v162 offset1:1
	ds_read_b128 v[2:5], v161 offset:16
	v_mov_b32_e32 v169, 0
	v_mov_b32_e32 v168, 0
	ds_read2_b32 v[23:24], v10 offset1:1
	v_add_nc_u32_e32 v10, 0x4100, v162
	v_mov_b32_e32 v170, 0
	v_mov_b32_e32 v171, 0
	;; [unrolled: 1-line block ×3, first 2 shown]
	ds_read2_b32 v[31:32], v162 offset0:2 offset1:3
	ds_read2_b32 v[25:26], v10 offset1:1
	v_add_nc_u32_e32 v10, 0x6180, v162
	v_mov_b32_e32 v173, 0
	v_mov_b32_e32 v174, 0
	ds_read2_b32 v[41:42], v162 offset0:4 offset1:5
	v_mov_b32_e32 v175, 0
	ds_read2_b32 v[33:34], v10 offset1:1
	v_mov_b32_e32 v176, 0
	v_mov_b32_e32 v198, 0
	;; [unrolled: 1-line block ×3, first 2 shown]
	s_waitcnt lgkmcnt(6)
	v_dot4c_i32_i8 v169, v21, v6
	s_add_i32 s0, s0, 4
	ds_read_b128 v[13:16], v161 offset:2048
	s_cmp_lt_u32 s0, 12
	s_waitcnt lgkmcnt(5)
	v_dot4c_i32_i8 v168, v23, v6
	v_dot4c_i32_i8 v169, v22, v2
	ds_read_b128 v[177:180], v161 offset:3072
	ds_read_b128 v[182:185], v161 offset:4112
	;; [unrolled: 1-line block ×3, first 2 shown]
	v_dot4c_i32_i8 v168, v24, v2
	s_waitcnt lgkmcnt(6)
	v_dot4c_i32_i8 v170, v25, v6
	v_dot4c_i32_i8 v169, v31, v7
	ds_read_b128 v[190:193], v161 offset:6160
	ds_read_b128 v[194:197], v161 offset:7184
	v_dot4c_i32_i8 v170, v26, v2
	s_waitcnt lgkmcnt(6)
	v_dot4c_i32_i8 v171, v33, v6
	v_dot4c_i32_i8 v169, v32, v3
	;; [unrolled: 1-line block ×3, first 2 shown]
	v_add_nc_u32_e32 v2, 0x2088, v162
	v_dot4c_i32_i8 v169, v41, v8
	s_waitcnt lgkmcnt(5)
	v_dot4c_i32_i8 v175, v33, v13
	s_waitcnt lgkmcnt(4)
	v_dot4c_i32_i8 v176, v33, v177
	ds_read2_b32 v[35:36], v2 offset1:1
	v_add_nc_u32_e32 v2, 0x4108, v162
	v_dot4c_i32_i8 v169, v42, v4
	ds_read2_b32 v[39:40], v2 offset1:1
	v_add_nc_u32_e32 v2, 0x6188, v162
	ds_read2_b32 v[43:44], v2 offset1:1
	v_add_nc_u32_e32 v2, 0x2090, v162
	;; [unrolled: 2-line block ×3, first 2 shown]
	s_waitcnt lgkmcnt(3)
	v_dot4c_i32_i8 v168, v35, v7
	ds_read2_b32 v[47:48], v2 offset1:1
	v_add_nc_u32_e32 v2, 0x6190, v162
	s_waitcnt lgkmcnt(3)
	v_dot4c_i32_i8 v170, v39, v7
	v_dot4c_i32_i8 v168, v36, v3
	ds_read2_b32 v[49:50], v2 offset1:1
	v_dot4c_i32_i8 v170, v40, v3
	s_waitcnt lgkmcnt(3)
	v_dot4c_i32_i8 v171, v43, v7
	v_dot4c_i32_i8 v171, v44, v3
	s_waitcnt lgkmcnt(2)
	v_dot4c_i32_i8 v168, v45, v8
	ds_read2_b32 v[2:3], v162 offset0:6 offset1:7
	v_dot4c_i32_i8 v168, v46, v4
	s_waitcnt lgkmcnt(2)
	v_dot4c_i32_i8 v170, v47, v8
	v_dot4c_i32_i8 v170, v48, v4
	s_waitcnt lgkmcnt(1)
	v_dot4c_i32_i8 v171, v49, v8
	v_dot4c_i32_i8 v171, v50, v4
	v_add_nc_u32_e32 v4, 0x2098, v162
	ds_read2_b32 v[27:28], v4 offset1:1
	v_add_nc_u32_e32 v4, 0x4118, v162
	s_waitcnt lgkmcnt(1)
	v_dot4c_i32_i8 v169, v2, v9
	ds_read2_b32 v[29:30], v4 offset1:1
	v_add_nc_u32_e32 v4, 0x6198, v162
	v_dot4c_i32_i8 v169, v3, v5
	v_add_nc_u32_e32 v162, 32, v162
	ds_read2_b32 v[37:38], v4 offset1:1
	v_mov_b32_e32 v4, 0
	s_waitcnt lgkmcnt(2)
	v_dot4c_i32_i8 v168, v27, v9
	v_dot4c_i32_i8 v168, v28, v5
	s_waitcnt lgkmcnt(1)
	v_dot4c_i32_i8 v170, v29, v9
	v_dot4c_i32_i8 v170, v30, v5
	s_waitcnt lgkmcnt(0)
	v_dot4c_i32_i8 v171, v37, v9
	ds_read_b128 v[9:12], v161 offset:1024
	v_dot4c_i32_i8 v171, v38, v5
	s_waitcnt lgkmcnt(0)
	v_dot4c_i32_i8 v4, v21, v9
	v_dot4c_i32_i8 v172, v23, v9
	;; [unrolled: 1-line block ×4, first 2 shown]
	ds_read_b128 v[6:9], v161 offset:1040
	s_waitcnt lgkmcnt(0)
	v_dot4c_i32_i8 v4, v22, v6
	v_dot4c_i32_i8 v172, v24, v6
	v_dot4c_i32_i8 v173, v26, v6
	v_dot4c_i32_i8 v174, v34, v6
	v_mov_b32_e32 v6, 0
	v_dot4c_i32_i8 v4, v31, v10
	v_dot4c_i32_i8 v172, v35, v10
	v_dot4c_i32_i8 v173, v39, v10
	v_dot4c_i32_i8 v174, v43, v10
	v_dot4c_i32_i8 v6, v21, v13
	v_dot4c_i32_i8 v4, v32, v7
	v_dot4c_i32_i8 v172, v36, v7
	v_dot4c_i32_i8 v173, v40, v7
	v_dot4c_i32_i8 v174, v44, v7
	v_mov_b32_e32 v7, 0
	v_dot4c_i32_i8 v4, v41, v11
	v_dot4c_i32_i8 v172, v45, v11
	v_dot4c_i32_i8 v173, v47, v11
	v_dot4c_i32_i8 v174, v49, v11
	v_dot4c_i32_i8 v7, v23, v13
	;; [unrolled: 10-line block ×3, first 2 shown]
	ds_read_b128 v[10:13], v161 offset:2064
	v_dot4c_i32_i8 v4, v3, v9
	v_dot4c_i32_i8 v172, v28, v9
	;; [unrolled: 1-line block ×4, first 2 shown]
	v_cvt_f32_i32_e32 v4, v4
	s_waitcnt lgkmcnt(0)
	v_dot4c_i32_i8 v6, v22, v10
	v_dot4c_i32_i8 v7, v24, v10
	;; [unrolled: 1-line block ×4, first 2 shown]
	v_mov_b32_e32 v10, 0
	v_dot4c_i32_i8 v6, v31, v14
	v_dot4c_i32_i8 v7, v35, v14
	;; [unrolled: 1-line block ×9, first 2 shown]
	v_mov_b32_e32 v11, 0
	v_dot4c_i32_i8 v6, v41, v15
	v_dot4c_i32_i8 v7, v45, v15
	;; [unrolled: 1-line block ×9, first 2 shown]
	v_mov_b32_e32 v12, 0
	v_dot4c_i32_i8 v6, v2, v16
	v_dot4c_i32_i8 v7, v27, v16
	;; [unrolled: 1-line block ×4, first 2 shown]
	ds_read_b128 v[14:17], v161 offset:3088
	v_dot4c_i32_i8 v12, v25, v177
	v_mov_b32_e32 v177, 0
	v_dot4c_i32_i8 v6, v3, v13
	v_dot4c_i32_i8 v7, v28, v13
	;; [unrolled: 1-line block ×4, first 2 shown]
	s_waitcnt lgkmcnt(0)
	v_dot4c_i32_i8 v10, v22, v14
	v_dot4c_i32_i8 v11, v24, v14
	v_dot4c_i32_i8 v12, v26, v14
	v_dot4c_i32_i8 v176, v34, v14
	v_mov_b32_e32 v14, 0
	v_dot4c_i32_i8 v10, v31, v178
	v_dot4c_i32_i8 v11, v35, v178
	v_dot4c_i32_i8 v12, v39, v178
	v_dot4c_i32_i8 v176, v43, v178
	v_dot4c_i32_i8 v10, v32, v15
	v_dot4c_i32_i8 v11, v36, v15
	v_dot4c_i32_i8 v12, v40, v15
	v_dot4c_i32_i8 v176, v44, v15
	v_mov_b32_e32 v15, 0
	v_dot4c_i32_i8 v10, v41, v179
	v_dot4c_i32_i8 v11, v45, v179
	v_dot4c_i32_i8 v12, v47, v179
	v_dot4c_i32_i8 v176, v49, v179
	v_dot4c_i32_i8 v10, v42, v16
	v_dot4c_i32_i8 v11, v46, v16
	v_dot4c_i32_i8 v12, v48, v16
	v_dot4c_i32_i8 v176, v50, v16
	v_mov_b32_e32 v16, 0
	v_dot4c_i32_i8 v10, v2, v180
	v_dot4c_i32_i8 v11, v27, v180
	v_dot4c_i32_i8 v12, v29, v180
	v_dot4c_i32_i8 v176, v37, v180
	ds_read_b128 v[178:181], v161 offset:4096
	v_dot4c_i32_i8 v10, v3, v17
	v_dot4c_i32_i8 v11, v28, v17
	v_dot4c_i32_i8 v12, v30, v17
	v_dot4c_i32_i8 v176, v38, v17
	s_waitcnt lgkmcnt(0)
	v_dot4c_i32_i8 v14, v21, v178
	v_dot4c_i32_i8 v15, v23, v178
	v_dot4c_i32_i8 v16, v25, v178
	v_dot4c_i32_i8 v177, v33, v178
	v_dot4c_i32_i8 v14, v22, v182
	v_dot4c_i32_i8 v15, v24, v182
	v_dot4c_i32_i8 v16, v26, v182
	v_dot4c_i32_i8 v177, v34, v182
	v_mov_b32_e32 v182, 0
	v_dot4c_i32_i8 v14, v31, v179
	v_dot4c_i32_i8 v15, v35, v179
	v_dot4c_i32_i8 v16, v39, v179
	v_dot4c_i32_i8 v177, v43, v179
	v_dot4c_i32_i8 v14, v32, v183
	v_dot4c_i32_i8 v15, v36, v183
	v_dot4c_i32_i8 v16, v40, v183
	v_dot4c_i32_i8 v177, v44, v183
	v_mov_b32_e32 v183, 0
	v_dot4c_i32_i8 v14, v41, v180
	v_dot4c_i32_i8 v15, v45, v180
	v_dot4c_i32_i8 v16, v47, v180
	v_dot4c_i32_i8 v177, v49, v180
	v_dot4c_i32_i8 v14, v42, v184
	v_dot4c_i32_i8 v15, v46, v184
	v_dot4c_i32_i8 v16, v48, v184
	v_dot4c_i32_i8 v177, v50, v184
	v_mov_b32_e32 v184, 0
	v_dot4c_i32_i8 v14, v2, v181
	v_dot4c_i32_i8 v15, v27, v181
	v_dot4c_i32_i8 v16, v29, v181
	v_dot4c_i32_i8 v177, v37, v181
	ds_read_b128 v[178:181], v161 offset:5120
	v_dot4c_i32_i8 v14, v3, v185
	v_dot4c_i32_i8 v15, v28, v185
	v_dot4c_i32_i8 v16, v30, v185
	v_dot4c_i32_i8 v177, v38, v185
	s_waitcnt lgkmcnt(0)
	v_dot4c_i32_i8 v182, v21, v178
	v_dot4c_i32_i8 v183, v23, v178
	v_dot4c_i32_i8 v184, v25, v178
	v_dot4c_i32_i8 v198, v33, v178
	;; [unrolled: 37-line block ×3, first 2 shown]
	v_dot4c_i32_i8 v186, v22, v190
	v_dot4c_i32_i8 v187, v24, v190
	;; [unrolled: 1-line block ×4, first 2 shown]
	v_mov_b32_e32 v190, 0
	v_dot4c_i32_i8 v186, v31, v179
	v_dot4c_i32_i8 v187, v35, v179
	;; [unrolled: 1-line block ×20, first 2 shown]
	ds_read_b128 v[178:181], v161 offset:7168
	v_dot4c_i32_i8 v186, v3, v193
	v_dot4c_i32_i8 v187, v28, v193
	;; [unrolled: 1-line block ×4, first 2 shown]
	v_add_nc_u32_e32 v161, 32, v161
	s_waitcnt lgkmcnt(0)
	v_dot4c_i32_i8 v190, v21, v178
	v_mov_b32_e32 v21, 0
	v_dot4c_i32_i8 v190, v22, v194
	v_mov_b32_e32 v22, 0
	;; [unrolled: 2-line block ×3, first 2 shown]
	v_dot4c_i32_i8 v190, v31, v179
	v_dot4c_i32_i8 v22, v25, v178
	;; [unrolled: 1-line block ×21, first 2 shown]
	ds_read_b32 v5, v164
	ds_read_b32 v9, v165
	;; [unrolled: 1-line block ×4, first 2 shown]
	ds_read2_b32 v[2:3], v163 offset1:32
	v_dot4c_i32_i8 v22, v48, v196
	v_dot4c_i32_i8 v21, v27, v181
	;; [unrolled: 1-line block ×3, first 2 shown]
	v_add_nc_u32_e32 v167, 4, v167
	v_add_nc_u32_e32 v166, 4, v166
	v_dot4c_i32_i8 v22, v29, v181
	v_dot4c_i32_i8 v21, v28, v197
	;; [unrolled: 1-line block ×3, first 2 shown]
	v_add_nc_u32_e32 v165, 4, v165
	v_add_nc_u32_e32 v164, 4, v164
	v_dot4c_i32_i8 v22, v30, v197
	v_dot4c_i32_i8 v23, v38, v197
	s_waitcnt lgkmcnt(0)
	v_mul_f32_e32 v24, v2, v5
	v_mul_f32_e32 v25, v2, v9
	;; [unrolled: 1-line block ×8, first 2 shown]
	ds_read2_b32 v[2:3], v163 offset0:64 offset1:96
	v_fmac_f32_e32 v85, v28, v4
	v_cvt_f32_i32_e32 v4, v6
	v_cvt_f32_i32_e32 v6, v188
	s_waitcnt lgkmcnt(0)
	v_mul_f32_e32 v32, v5, v2
	v_mul_f32_e32 v33, v9, v2
	;; [unrolled: 1-line block ×8, first 2 shown]
	ds_read2_b32 v[2:3], v163 offset0:128 offset1:160
	v_fmac_f32_e32 v77, v32, v4
	v_cvt_f32_i32_e32 v4, v10
	v_cvt_f32_i32_e32 v10, v22
	v_fmac_f32_e32 v72, v36, v4
	v_cvt_f32_i32_e32 v4, v14
	s_waitcnt lgkmcnt(0)
	v_mul_f32_e32 v40, v5, v2
	v_mul_f32_e32 v41, v9, v2
	;; [unrolled: 1-line block ×8, first 2 shown]
	ds_read2_b32 v[2:3], v163 offset0:192 offset1:224
	v_fmac_f32_e32 v66, v40, v4
	v_cvt_f32_i32_e32 v4, v182
	v_add_nc_u32_e32 v163, 4, v163
	v_fmac_f32_e32 v62, v44, v4
	v_cvt_f32_i32_e32 v4, v186
	s_waitcnt lgkmcnt(0)
	v_mul_f32_e32 v48, v5, v2
	v_mul_f32_e32 v5, v5, v3
	;; [unrolled: 1-line block ×5, first 2 shown]
	v_fmac_f32_e32 v58, v48, v4
	v_cvt_f32_i32_e32 v4, v190
	v_mul_f32_e32 v13, v13, v3
	v_mul_f32_e32 v2, v17, v2
	;; [unrolled: 1-line block ×3, first 2 shown]
	v_cvt_f32_i32_e32 v17, v169
	v_fmac_f32_e32 v54, v5, v4
	v_cvt_f32_i32_e32 v4, v168
	v_cvt_f32_i32_e32 v5, v187
	v_fmac_f32_e32 v56, v50, v6
	v_fmac_f32_e32 v68, v24, v17
	;; [unrolled: 1-line block ×4, first 2 shown]
	v_cvt_f32_i32_e32 v4, v170
	v_fmac_f32_e32 v57, v49, v5
	v_fmac_f32_e32 v92, v26, v4
	v_cvt_f32_i32_e32 v4, v171
	v_fmac_f32_e32 v87, v27, v4
	v_cvt_f32_i32_e32 v4, v172
	;; [unrolled: 2-line block ×5, first 2 shown]
	v_cvt_f32_i32_e32 v7, v199
	v_fmac_f32_e32 v76, v33, v4
	v_cvt_f32_i32_e32 v4, v8
	v_cvt_f32_i32_e32 v8, v21
	v_fmac_f32_e32 v55, v2, v7
	v_fmac_f32_e32 v74, v34, v4
	v_cvt_f32_i32_e32 v4, v175
	v_fmac_f32_e32 v53, v9, v8
	v_fmac_f32_e32 v73, v35, v4
	v_cvt_f32_i32_e32 v4, v11
	v_cvt_f32_i32_e32 v11, v23
	v_fmac_f32_e32 v71, v37, v4
	v_cvt_f32_i32_e32 v4, v12
	v_fmac_f32_e32 v51, v3, v11
	v_fmac_f32_e32 v70, v38, v4
	v_cvt_f32_i32_e32 v4, v176
	v_fmac_f32_e32 v69, v39, v4
	v_cvt_f32_i32_e32 v4, v15
	;; [unrolled: 2-line block ×7, first 2 shown]
	v_fmac_f32_e32 v59, v47, v4
	s_cbranch_scc1 .LBB121_8
; %bb.9:                                ;   in Loop: Header=BB121_6 Depth=1
	s_and_b32 s0, s11, -4
	s_cmp_eq_u32 s0, 4
	s_barrier
	buffer_gl0_inv
	s_cbranch_scc1 .LBB121_5
; %bb.10:                               ;   in Loop: Header=BB121_6 Depth=1
	v_add_nc_u32_e32 v14, s14, v136
	v_add_nc_u32_e32 v12, 4, v159
	v_mov_b32_e32 v159, v141
	v_mov_b32_e32 v161, v142
	;; [unrolled: 1-line block ×3, first 2 shown]
	v_add_nc_u32_e32 v2, v14, v127
	v_add_nc_u32_e32 v4, v14, v128
	;; [unrolled: 1-line block ×5, first 2 shown]
	v_mad_u64_u32 v[12:13], null, v12, 36, s[2:3]
	v_mad_i64_i32 v[2:3], null, v2, 36, v[19:20]
	v_add_nc_u32_e32 v15, v14, v132
	v_mad_i64_i32 v[4:5], null, v4, 36, v[19:20]
	v_add_nc_u32_e32 v16, v14, v133
	;; [unrolled: 2-line block ×3, first 2 shown]
	v_mad_i64_i32 v[8:9], null, v8, 36, v[19:20]
	v_mad_i64_i32 v[10:11], null, v10, 36, v[19:20]
	;; [unrolled: 1-line block ×5, first 2 shown]
	s_clause 0x8
	global_load_dword v12, v[12:13], off
	global_load_dword v2, v[2:3], off offset:4
	global_load_dword v3, v[4:5], off offset:4
	;; [unrolled: 1-line block ×8, first 2 shown]
	v_mov_b32_e32 v163, v146
	v_mov_b32_e32 v164, v145
	v_mov_b32_e32 v165, v144
	v_mov_b32_e32 v166, v143
	s_mov_b32 s0, 12
	s_waitcnt vmcnt(8)
	v_cvt_f32_f16_e32 v10, v12
	s_waitcnt vmcnt(7)
	ds_write_b32 v160, v2
	s_waitcnt vmcnt(6)
	ds_write_b32 v152, v3
	;; [unrolled: 2-line block ×8, first 2 shown]
	ds_write_b32 v126, v10
	s_waitcnt lgkmcnt(0)
	s_barrier
	buffer_gl0_inv
.LBB121_11:                             ;   Parent Loop BB121_6 Depth=1
                                        ; =>  This Inner Loop Header: Depth=2
	v_add_nc_u32_e32 v10, 0x2080, v162
	ds_read_b128 v[6:9], v161
	ds_read2_b32 v[21:22], v162 offset1:1
	ds_read_b128 v[2:5], v161 offset:16
	v_mov_b32_e32 v167, 0
	v_mov_b32_e32 v160, 0
	ds_read2_b32 v[23:24], v10 offset1:1
	v_add_nc_u32_e32 v10, 0x4100, v162
	v_mov_b32_e32 v168, 0
	v_mov_b32_e32 v169, 0
	;; [unrolled: 1-line block ×3, first 2 shown]
	ds_read2_b32 v[31:32], v162 offset0:2 offset1:3
	ds_read2_b32 v[25:26], v10 offset1:1
	v_add_nc_u32_e32 v10, 0x6180, v162
	v_mov_b32_e32 v171, 0
	v_mov_b32_e32 v172, 0
	ds_read2_b32 v[41:42], v162 offset0:4 offset1:5
	v_mov_b32_e32 v173, 0
	ds_read2_b32 v[33:34], v10 offset1:1
	v_mov_b32_e32 v174, 0
	v_mov_b32_e32 v196, 0
	;; [unrolled: 1-line block ×3, first 2 shown]
	s_waitcnt lgkmcnt(6)
	v_dot4c_i32_i8 v167, v21, v6
	s_add_i32 s0, s0, 4
	ds_read_b128 v[13:16], v161 offset:2048
	s_cmp_lt_u32 s0, 28
	s_waitcnt lgkmcnt(5)
	v_dot4c_i32_i8 v160, v23, v6
	v_dot4c_i32_i8 v167, v22, v2
	ds_read_b128 v[175:178], v161 offset:3072
	ds_read_b128 v[180:183], v161 offset:4112
	;; [unrolled: 1-line block ×3, first 2 shown]
	v_dot4c_i32_i8 v160, v24, v2
	s_waitcnt lgkmcnt(6)
	v_dot4c_i32_i8 v168, v25, v6
	v_dot4c_i32_i8 v167, v31, v7
	ds_read_b128 v[188:191], v161 offset:6160
	ds_read_b128 v[192:195], v161 offset:7184
	v_dot4c_i32_i8 v168, v26, v2
	s_waitcnt lgkmcnt(6)
	v_dot4c_i32_i8 v169, v33, v6
	v_dot4c_i32_i8 v167, v32, v3
	;; [unrolled: 1-line block ×3, first 2 shown]
	v_add_nc_u32_e32 v2, 0x2088, v162
	v_dot4c_i32_i8 v167, v41, v8
	s_waitcnt lgkmcnt(5)
	v_dot4c_i32_i8 v173, v33, v13
	s_waitcnt lgkmcnt(4)
	v_dot4c_i32_i8 v174, v33, v175
	ds_read2_b32 v[35:36], v2 offset1:1
	v_add_nc_u32_e32 v2, 0x4108, v162
	v_dot4c_i32_i8 v167, v42, v4
	ds_read2_b32 v[39:40], v2 offset1:1
	v_add_nc_u32_e32 v2, 0x6188, v162
	ds_read2_b32 v[43:44], v2 offset1:1
	v_add_nc_u32_e32 v2, 0x2090, v162
	;; [unrolled: 2-line block ×3, first 2 shown]
	s_waitcnt lgkmcnt(3)
	v_dot4c_i32_i8 v160, v35, v7
	ds_read2_b32 v[47:48], v2 offset1:1
	v_add_nc_u32_e32 v2, 0x6190, v162
	s_waitcnt lgkmcnt(3)
	v_dot4c_i32_i8 v168, v39, v7
	v_dot4c_i32_i8 v160, v36, v3
	ds_read2_b32 v[49:50], v2 offset1:1
	v_dot4c_i32_i8 v168, v40, v3
	s_waitcnt lgkmcnt(3)
	v_dot4c_i32_i8 v169, v43, v7
	v_dot4c_i32_i8 v169, v44, v3
	s_waitcnt lgkmcnt(2)
	v_dot4c_i32_i8 v160, v45, v8
	ds_read2_b32 v[2:3], v162 offset0:6 offset1:7
	v_dot4c_i32_i8 v160, v46, v4
	s_waitcnt lgkmcnt(2)
	v_dot4c_i32_i8 v168, v47, v8
	v_dot4c_i32_i8 v168, v48, v4
	s_waitcnt lgkmcnt(1)
	v_dot4c_i32_i8 v169, v49, v8
	v_dot4c_i32_i8 v169, v50, v4
	v_add_nc_u32_e32 v4, 0x2098, v162
	ds_read2_b32 v[27:28], v4 offset1:1
	v_add_nc_u32_e32 v4, 0x4118, v162
	s_waitcnt lgkmcnt(1)
	v_dot4c_i32_i8 v167, v2, v9
	ds_read2_b32 v[29:30], v4 offset1:1
	v_add_nc_u32_e32 v4, 0x6198, v162
	v_dot4c_i32_i8 v167, v3, v5
	v_add_nc_u32_e32 v162, 32, v162
	ds_read2_b32 v[37:38], v4 offset1:1
	v_mov_b32_e32 v4, 0
	s_waitcnt lgkmcnt(2)
	v_dot4c_i32_i8 v160, v27, v9
	v_dot4c_i32_i8 v160, v28, v5
	s_waitcnt lgkmcnt(1)
	v_dot4c_i32_i8 v168, v29, v9
	v_dot4c_i32_i8 v168, v30, v5
	s_waitcnt lgkmcnt(0)
	v_dot4c_i32_i8 v169, v37, v9
	ds_read_b128 v[9:12], v161 offset:1024
	v_dot4c_i32_i8 v169, v38, v5
	s_waitcnt lgkmcnt(0)
	v_dot4c_i32_i8 v4, v21, v9
	v_dot4c_i32_i8 v170, v23, v9
	;; [unrolled: 1-line block ×4, first 2 shown]
	ds_read_b128 v[6:9], v161 offset:1040
	s_waitcnt lgkmcnt(0)
	v_dot4c_i32_i8 v4, v22, v6
	v_dot4c_i32_i8 v170, v24, v6
	v_dot4c_i32_i8 v171, v26, v6
	v_dot4c_i32_i8 v172, v34, v6
	v_mov_b32_e32 v6, 0
	v_dot4c_i32_i8 v4, v31, v10
	v_dot4c_i32_i8 v170, v35, v10
	v_dot4c_i32_i8 v171, v39, v10
	v_dot4c_i32_i8 v172, v43, v10
	v_dot4c_i32_i8 v6, v21, v13
	v_dot4c_i32_i8 v4, v32, v7
	v_dot4c_i32_i8 v170, v36, v7
	v_dot4c_i32_i8 v171, v40, v7
	v_dot4c_i32_i8 v172, v44, v7
	v_mov_b32_e32 v7, 0
	v_dot4c_i32_i8 v4, v41, v11
	v_dot4c_i32_i8 v170, v45, v11
	v_dot4c_i32_i8 v171, v47, v11
	v_dot4c_i32_i8 v172, v49, v11
	v_dot4c_i32_i8 v7, v23, v13
	;; [unrolled: 10-line block ×3, first 2 shown]
	ds_read_b128 v[10:13], v161 offset:2064
	v_dot4c_i32_i8 v4, v3, v9
	v_dot4c_i32_i8 v170, v28, v9
	;; [unrolled: 1-line block ×4, first 2 shown]
	v_cvt_f32_i32_e32 v4, v4
	s_waitcnt lgkmcnt(0)
	v_dot4c_i32_i8 v6, v22, v10
	v_dot4c_i32_i8 v7, v24, v10
	;; [unrolled: 1-line block ×4, first 2 shown]
	v_mov_b32_e32 v10, 0
	v_dot4c_i32_i8 v6, v31, v14
	v_dot4c_i32_i8 v7, v35, v14
	;; [unrolled: 1-line block ×9, first 2 shown]
	v_mov_b32_e32 v11, 0
	v_dot4c_i32_i8 v6, v41, v15
	v_dot4c_i32_i8 v7, v45, v15
	;; [unrolled: 1-line block ×9, first 2 shown]
	v_mov_b32_e32 v12, 0
	v_dot4c_i32_i8 v6, v2, v16
	v_dot4c_i32_i8 v7, v27, v16
	;; [unrolled: 1-line block ×4, first 2 shown]
	ds_read_b128 v[14:17], v161 offset:3088
	v_dot4c_i32_i8 v12, v25, v175
	v_mov_b32_e32 v175, 0
	v_dot4c_i32_i8 v6, v3, v13
	v_dot4c_i32_i8 v7, v28, v13
	;; [unrolled: 1-line block ×4, first 2 shown]
	s_waitcnt lgkmcnt(0)
	v_dot4c_i32_i8 v10, v22, v14
	v_dot4c_i32_i8 v11, v24, v14
	v_dot4c_i32_i8 v12, v26, v14
	v_dot4c_i32_i8 v174, v34, v14
	v_mov_b32_e32 v14, 0
	v_dot4c_i32_i8 v10, v31, v176
	v_dot4c_i32_i8 v11, v35, v176
	v_dot4c_i32_i8 v12, v39, v176
	v_dot4c_i32_i8 v174, v43, v176
	v_dot4c_i32_i8 v10, v32, v15
	v_dot4c_i32_i8 v11, v36, v15
	v_dot4c_i32_i8 v12, v40, v15
	v_dot4c_i32_i8 v174, v44, v15
	v_mov_b32_e32 v15, 0
	v_dot4c_i32_i8 v10, v41, v177
	v_dot4c_i32_i8 v11, v45, v177
	v_dot4c_i32_i8 v12, v47, v177
	v_dot4c_i32_i8 v174, v49, v177
	v_dot4c_i32_i8 v10, v42, v16
	v_dot4c_i32_i8 v11, v46, v16
	v_dot4c_i32_i8 v12, v48, v16
	v_dot4c_i32_i8 v174, v50, v16
	v_mov_b32_e32 v16, 0
	v_dot4c_i32_i8 v10, v2, v178
	v_dot4c_i32_i8 v11, v27, v178
	v_dot4c_i32_i8 v12, v29, v178
	v_dot4c_i32_i8 v174, v37, v178
	ds_read_b128 v[176:179], v161 offset:4096
	v_dot4c_i32_i8 v10, v3, v17
	v_dot4c_i32_i8 v11, v28, v17
	v_dot4c_i32_i8 v12, v30, v17
	v_dot4c_i32_i8 v174, v38, v17
	s_waitcnt lgkmcnt(0)
	v_dot4c_i32_i8 v14, v21, v176
	v_dot4c_i32_i8 v15, v23, v176
	v_dot4c_i32_i8 v16, v25, v176
	v_dot4c_i32_i8 v175, v33, v176
	v_dot4c_i32_i8 v14, v22, v180
	v_dot4c_i32_i8 v15, v24, v180
	v_dot4c_i32_i8 v16, v26, v180
	v_dot4c_i32_i8 v175, v34, v180
	v_mov_b32_e32 v180, 0
	v_dot4c_i32_i8 v14, v31, v177
	v_dot4c_i32_i8 v15, v35, v177
	v_dot4c_i32_i8 v16, v39, v177
	v_dot4c_i32_i8 v175, v43, v177
	v_dot4c_i32_i8 v14, v32, v181
	v_dot4c_i32_i8 v15, v36, v181
	v_dot4c_i32_i8 v16, v40, v181
	v_dot4c_i32_i8 v175, v44, v181
	v_mov_b32_e32 v181, 0
	v_dot4c_i32_i8 v14, v41, v178
	v_dot4c_i32_i8 v15, v45, v178
	v_dot4c_i32_i8 v16, v47, v178
	v_dot4c_i32_i8 v175, v49, v178
	v_dot4c_i32_i8 v14, v42, v182
	v_dot4c_i32_i8 v15, v46, v182
	v_dot4c_i32_i8 v16, v48, v182
	v_dot4c_i32_i8 v175, v50, v182
	v_mov_b32_e32 v182, 0
	v_dot4c_i32_i8 v14, v2, v179
	v_dot4c_i32_i8 v15, v27, v179
	v_dot4c_i32_i8 v16, v29, v179
	v_dot4c_i32_i8 v175, v37, v179
	ds_read_b128 v[176:179], v161 offset:5120
	v_dot4c_i32_i8 v14, v3, v183
	v_dot4c_i32_i8 v15, v28, v183
	v_dot4c_i32_i8 v16, v30, v183
	v_dot4c_i32_i8 v175, v38, v183
	s_waitcnt lgkmcnt(0)
	v_dot4c_i32_i8 v180, v21, v176
	v_dot4c_i32_i8 v181, v23, v176
	v_dot4c_i32_i8 v182, v25, v176
	v_dot4c_i32_i8 v196, v33, v176
	;; [unrolled: 37-line block ×3, first 2 shown]
	v_dot4c_i32_i8 v184, v22, v188
	v_dot4c_i32_i8 v185, v24, v188
	;; [unrolled: 1-line block ×4, first 2 shown]
	v_mov_b32_e32 v188, 0
	v_dot4c_i32_i8 v184, v31, v177
	v_dot4c_i32_i8 v185, v35, v177
	;; [unrolled: 1-line block ×20, first 2 shown]
	ds_read_b128 v[176:179], v161 offset:7168
	v_dot4c_i32_i8 v184, v3, v191
	v_dot4c_i32_i8 v185, v28, v191
	;; [unrolled: 1-line block ×4, first 2 shown]
	v_add_nc_u32_e32 v161, 32, v161
	s_waitcnt lgkmcnt(0)
	v_dot4c_i32_i8 v188, v21, v176
	v_mov_b32_e32 v21, 0
	v_dot4c_i32_i8 v188, v22, v192
	v_mov_b32_e32 v22, 0
	;; [unrolled: 2-line block ×3, first 2 shown]
	v_dot4c_i32_i8 v188, v31, v177
	v_dot4c_i32_i8 v22, v25, v176
	;; [unrolled: 1-line block ×21, first 2 shown]
	ds_read_b32 v5, v163
	ds_read_b32 v9, v164
	;; [unrolled: 1-line block ×4, first 2 shown]
	ds_read2_b32 v[2:3], v159 offset1:32
	v_dot4c_i32_i8 v22, v48, v194
	v_dot4c_i32_i8 v21, v27, v179
	;; [unrolled: 1-line block ×3, first 2 shown]
	v_add_nc_u32_e32 v166, 4, v166
	v_add_nc_u32_e32 v165, 4, v165
	v_dot4c_i32_i8 v22, v29, v179
	v_dot4c_i32_i8 v21, v28, v195
	;; [unrolled: 1-line block ×3, first 2 shown]
	v_add_nc_u32_e32 v164, 4, v164
	v_add_nc_u32_e32 v163, 4, v163
	v_dot4c_i32_i8 v22, v30, v195
	v_dot4c_i32_i8 v23, v38, v195
	s_waitcnt lgkmcnt(0)
	v_mul_f32_e32 v24, v2, v5
	v_mul_f32_e32 v25, v2, v9
	;; [unrolled: 1-line block ×8, first 2 shown]
	ds_read2_b32 v[2:3], v159 offset0:64 offset1:96
	v_fmac_f32_e32 v85, v28, v4
	v_cvt_f32_i32_e32 v4, v6
	v_cvt_f32_i32_e32 v6, v186
	s_waitcnt lgkmcnt(0)
	v_mul_f32_e32 v32, v5, v2
	v_mul_f32_e32 v33, v9, v2
	;; [unrolled: 1-line block ×8, first 2 shown]
	ds_read2_b32 v[2:3], v159 offset0:128 offset1:160
	v_fmac_f32_e32 v77, v32, v4
	v_cvt_f32_i32_e32 v4, v10
	v_cvt_f32_i32_e32 v10, v22
	v_fmac_f32_e32 v72, v36, v4
	v_cvt_f32_i32_e32 v4, v14
	s_waitcnt lgkmcnt(0)
	v_mul_f32_e32 v40, v5, v2
	v_mul_f32_e32 v41, v9, v2
	;; [unrolled: 1-line block ×8, first 2 shown]
	ds_read2_b32 v[2:3], v159 offset0:192 offset1:224
	v_fmac_f32_e32 v66, v40, v4
	v_cvt_f32_i32_e32 v4, v180
	v_add_nc_u32_e32 v159, 4, v159
	v_fmac_f32_e32 v62, v44, v4
	v_cvt_f32_i32_e32 v4, v184
	s_waitcnt lgkmcnt(0)
	v_mul_f32_e32 v48, v5, v2
	v_mul_f32_e32 v5, v5, v3
	;; [unrolled: 1-line block ×5, first 2 shown]
	v_fmac_f32_e32 v58, v48, v4
	v_cvt_f32_i32_e32 v4, v188
	v_mul_f32_e32 v13, v13, v3
	v_mul_f32_e32 v2, v17, v2
	;; [unrolled: 1-line block ×3, first 2 shown]
	v_cvt_f32_i32_e32 v17, v167
	v_fmac_f32_e32 v54, v5, v4
	v_cvt_f32_i32_e32 v4, v160
	v_cvt_f32_i32_e32 v5, v185
	v_fmac_f32_e32 v56, v50, v6
	v_fmac_f32_e32 v68, v24, v17
	;; [unrolled: 1-line block ×4, first 2 shown]
	v_cvt_f32_i32_e32 v4, v168
	v_fmac_f32_e32 v57, v49, v5
	v_fmac_f32_e32 v92, v26, v4
	v_cvt_f32_i32_e32 v4, v169
	v_fmac_f32_e32 v87, v27, v4
	v_cvt_f32_i32_e32 v4, v170
	;; [unrolled: 2-line block ×5, first 2 shown]
	v_cvt_f32_i32_e32 v7, v197
	v_fmac_f32_e32 v76, v33, v4
	v_cvt_f32_i32_e32 v4, v8
	v_cvt_f32_i32_e32 v8, v21
	v_fmac_f32_e32 v55, v2, v7
	v_fmac_f32_e32 v74, v34, v4
	v_cvt_f32_i32_e32 v4, v173
	v_fmac_f32_e32 v53, v9, v8
	v_fmac_f32_e32 v73, v35, v4
	v_cvt_f32_i32_e32 v4, v11
	v_cvt_f32_i32_e32 v11, v23
	v_fmac_f32_e32 v71, v37, v4
	v_cvt_f32_i32_e32 v4, v12
	v_fmac_f32_e32 v51, v3, v11
	v_fmac_f32_e32 v70, v38, v4
	v_cvt_f32_i32_e32 v4, v174
	v_fmac_f32_e32 v69, v39, v4
	v_cvt_f32_i32_e32 v4, v15
	;; [unrolled: 2-line block ×7, first 2 shown]
	v_fmac_f32_e32 v59, v47, v4
	s_cbranch_scc1 .LBB121_11
; %bb.12:                               ;   in Loop: Header=BB121_6 Depth=1
	s_barrier
	buffer_gl0_inv
	s_branch .LBB121_5
.LBB121_13:
	v_mov_b32_e32 v2, v67
.LBB121_14:
	s_mov_b32 s0, exec_lo
	v_cmpx_gt_u32_e64 s8, v2
	s_cbranch_execz .LBB121_65
; %bb.15:
	v_add_nc_u32_e32 v0, s6, v0
	v_mul_lo_u32 v5, v2, s10
	v_cmp_gt_u32_e32 vcc_lo, s10, v0
	s_and_saveexec_b32 s1, vcc_lo
	s_cbranch_execz .LBB121_17
; %bb.16:
	v_add_nc_u32_e32 v2, v0, v5
	v_mov_b32_e32 v3, 0
	v_lshlrev_b64 v[2:3], 2, v[2:3]
	s_waitcnt lgkmcnt(0)
	v_add_co_u32 v2, s0, s12, v2
	v_add_co_ci_u32_e64 v3, null, s13, v3, s0
	global_store_dword v[2:3], v68, off
.LBB121_17:
	s_or_b32 exec_lo, exec_lo, s1
	v_add_nc_u32_e32 v2, 32, v0
	v_cmp_gt_u32_e64 s0, s10, v2
	s_and_saveexec_b32 s2, s0
	s_cbranch_execz .LBB121_19
; %bb.18:
	v_add_nc_u32_e32 v3, v2, v5
	v_mov_b32_e32 v4, 0
	v_lshlrev_b64 v[3:4], 2, v[3:4]
	s_waitcnt lgkmcnt(0)
	v_add_co_u32 v3, s1, s12, v3
	v_add_co_ci_u32_e64 v4, null, s13, v4, s1
	global_store_dword v[3:4], v108, off
.LBB121_19:
	s_or_b32 exec_lo, exec_lo, s2
	v_add_nc_u32_e32 v3, 64, v0
	v_cmp_gt_u32_e64 s1, s10, v3
	s_and_saveexec_b32 s3, s1
	;; [unrolled: 14-line block ×3, first 2 shown]
	s_cbranch_execz .LBB121_23
; %bb.22:
	v_add_nc_u32_e32 v5, v4, v5
	v_mov_b32_e32 v6, 0
	v_lshlrev_b64 v[5:6], 2, v[5:6]
	s_waitcnt lgkmcnt(0)
	v_add_co_u32 v5, s3, s12, v5
	v_add_co_ci_u32_e64 v6, null, s13, v6, s3
	global_store_dword v[5:6], v87, off
.LBB121_23:
	s_or_b32 exec_lo, exec_lo, s4
	v_add3_u32 v5, v1, s7, 8
	v_cmp_gt_u32_e64 s3, s8, v5
	s_and_b32 exec_lo, exec_lo, s3
	s_cbranch_execz .LBB121_65
; %bb.24:
	v_mul_lo_u32 v5, v5, s10
	s_and_saveexec_b32 s4, vcc_lo
	s_cbranch_execnz .LBB121_66
; %bb.25:
	s_or_b32 exec_lo, exec_lo, s4
	s_and_saveexec_b32 s4, s0
	s_cbranch_execnz .LBB121_67
.LBB121_26:
	s_or_b32 exec_lo, exec_lo, s4
	s_and_saveexec_b32 s4, s1
	s_cbranch_execnz .LBB121_68
.LBB121_27:
	s_or_b32 exec_lo, exec_lo, s4
	s_and_saveexec_b32 s4, s2
	s_cbranch_execz .LBB121_29
.LBB121_28:
	v_add_nc_u32_e32 v5, v5, v4
	v_mov_b32_e32 v6, 0
	v_lshlrev_b64 v[5:6], 2, v[5:6]
	s_waitcnt lgkmcnt(0)
	v_add_co_u32 v5, s3, s12, v5
	v_add_co_ci_u32_e64 v6, null, s13, v6, s3
	global_store_dword v[5:6], v80, off
.LBB121_29:
	s_or_b32 exec_lo, exec_lo, s4
	v_add3_u32 v5, v1, s7, 16
	v_cmp_gt_u32_e64 s3, s8, v5
	s_and_b32 exec_lo, exec_lo, s3
	s_cbranch_execz .LBB121_65
; %bb.30:
	v_mul_lo_u32 v5, v5, s10
	s_and_saveexec_b32 s4, vcc_lo
	s_cbranch_execnz .LBB121_69
; %bb.31:
	s_or_b32 exec_lo, exec_lo, s4
	s_and_saveexec_b32 s4, s0
	s_cbranch_execnz .LBB121_70
.LBB121_32:
	s_or_b32 exec_lo, exec_lo, s4
	s_and_saveexec_b32 s4, s1
	s_cbranch_execnz .LBB121_71
.LBB121_33:
	s_or_b32 exec_lo, exec_lo, s4
	s_and_saveexec_b32 s4, s2
	s_cbranch_execz .LBB121_35
.LBB121_34:
	v_add_nc_u32_e32 v5, v5, v4
	v_mov_b32_e32 v6, 0
	v_lshlrev_b64 v[5:6], 2, v[5:6]
	s_waitcnt lgkmcnt(0)
	v_add_co_u32 v5, s3, s12, v5
	v_add_co_ci_u32_e64 v6, null, s13, v6, s3
	global_store_dword v[5:6], v73, off
.LBB121_35:
	s_or_b32 exec_lo, exec_lo, s4
	v_add3_u32 v5, v1, s7, 24
	v_cmp_gt_u32_e64 s3, s8, v5
	s_and_b32 exec_lo, exec_lo, s3
	s_cbranch_execz .LBB121_65
; %bb.36:
	v_mul_lo_u32 v5, v5, s10
	s_and_saveexec_b32 s4, vcc_lo
	s_cbranch_execnz .LBB121_72
; %bb.37:
	s_or_b32 exec_lo, exec_lo, s4
	s_and_saveexec_b32 s4, s0
	s_cbranch_execnz .LBB121_73
.LBB121_38:
	s_or_b32 exec_lo, exec_lo, s4
	s_and_saveexec_b32 s4, s1
	s_cbranch_execnz .LBB121_74
.LBB121_39:
	s_or_b32 exec_lo, exec_lo, s4
	s_and_saveexec_b32 s4, s2
	s_cbranch_execz .LBB121_41
.LBB121_40:
	v_add_nc_u32_e32 v5, v5, v4
	v_mov_b32_e32 v6, 0
	v_lshlrev_b64 v[5:6], 2, v[5:6]
	s_waitcnt lgkmcnt(0)
	v_add_co_u32 v5, s3, s12, v5
	v_add_co_ci_u32_e64 v6, null, s13, v6, s3
	global_store_dword v[5:6], v69, off
.LBB121_41:
	s_or_b32 exec_lo, exec_lo, s4
	v_add3_u32 v5, v1, s7, 32
	v_cmp_gt_u32_e64 s3, s8, v5
	s_and_b32 exec_lo, exec_lo, s3
	s_cbranch_execz .LBB121_65
; %bb.42:
	v_mul_lo_u32 v5, v5, s10
	s_and_saveexec_b32 s4, vcc_lo
	s_cbranch_execnz .LBB121_75
; %bb.43:
	s_or_b32 exec_lo, exec_lo, s4
	s_and_saveexec_b32 s4, s0
	s_cbranch_execnz .LBB121_76
.LBB121_44:
	s_or_b32 exec_lo, exec_lo, s4
	s_and_saveexec_b32 s4, s1
	s_cbranch_execnz .LBB121_77
.LBB121_45:
	s_or_b32 exec_lo, exec_lo, s4
	s_and_saveexec_b32 s4, s2
	s_cbranch_execz .LBB121_47
.LBB121_46:
	v_add_nc_u32_e32 v5, v5, v4
	v_mov_b32_e32 v6, 0
	v_lshlrev_b64 v[5:6], 2, v[5:6]
	s_waitcnt lgkmcnt(0)
	v_add_co_u32 v5, s3, s12, v5
	v_add_co_ci_u32_e64 v6, null, s13, v6, s3
	global_store_dword v[5:6], v63, off
.LBB121_47:
	s_or_b32 exec_lo, exec_lo, s4
	v_add3_u32 v5, v1, s7, 40
	v_cmp_gt_u32_e64 s3, s8, v5
	s_and_b32 exec_lo, exec_lo, s3
	s_cbranch_execz .LBB121_65
; %bb.48:
	v_mul_lo_u32 v5, v5, s10
	s_and_saveexec_b32 s4, vcc_lo
	s_cbranch_execnz .LBB121_78
; %bb.49:
	s_or_b32 exec_lo, exec_lo, s4
	s_and_saveexec_b32 s4, s0
	s_cbranch_execnz .LBB121_79
.LBB121_50:
	s_or_b32 exec_lo, exec_lo, s4
	s_and_saveexec_b32 s4, s1
	s_cbranch_execnz .LBB121_80
.LBB121_51:
	s_or_b32 exec_lo, exec_lo, s4
	s_and_saveexec_b32 s4, s2
	s_cbranch_execz .LBB121_53
.LBB121_52:
	v_add_nc_u32_e32 v5, v5, v4
	v_mov_b32_e32 v6, 0
	v_lshlrev_b64 v[5:6], 2, v[5:6]
	s_waitcnt lgkmcnt(0)
	v_add_co_u32 v5, s3, s12, v5
	v_add_co_ci_u32_e64 v6, null, s13, v6, s3
	global_store_dword v[5:6], v59, off
.LBB121_53:
	s_or_b32 exec_lo, exec_lo, s4
	v_add3_u32 v5, v1, s7, 48
	v_cmp_gt_u32_e64 s3, s8, v5
	s_and_b32 exec_lo, exec_lo, s3
	s_cbranch_execz .LBB121_65
; %bb.54:
	v_mul_lo_u32 v5, v5, s10
	s_and_saveexec_b32 s4, vcc_lo
	s_cbranch_execnz .LBB121_81
; %bb.55:
	s_or_b32 exec_lo, exec_lo, s4
	s_and_saveexec_b32 s4, s0
	s_cbranch_execnz .LBB121_82
.LBB121_56:
	s_or_b32 exec_lo, exec_lo, s4
	s_and_saveexec_b32 s4, s1
	s_cbranch_execnz .LBB121_83
.LBB121_57:
	s_or_b32 exec_lo, exec_lo, s4
	s_and_saveexec_b32 s4, s2
	s_cbranch_execz .LBB121_59
.LBB121_58:
	v_add_nc_u32_e32 v5, v5, v4
	v_mov_b32_e32 v6, 0
	v_lshlrev_b64 v[5:6], 2, v[5:6]
	s_waitcnt lgkmcnt(0)
	v_add_co_u32 v5, s3, s12, v5
	v_add_co_ci_u32_e64 v6, null, s13, v6, s3
	global_store_dword v[5:6], v55, off
.LBB121_59:
	s_or_b32 exec_lo, exec_lo, s4
	v_add3_u32 v1, v1, s7, 56
	v_cmp_gt_u32_e64 s3, s8, v1
	s_and_b32 exec_lo, exec_lo, s3
	s_cbranch_execz .LBB121_65
; %bb.60:
	v_mul_lo_u32 v1, v1, s10
	s_and_saveexec_b32 s3, vcc_lo
	s_cbranch_execnz .LBB121_84
; %bb.61:
	s_or_b32 exec_lo, exec_lo, s3
	s_and_saveexec_b32 s3, s0
	s_cbranch_execnz .LBB121_85
.LBB121_62:
	s_or_b32 exec_lo, exec_lo, s3
	s_and_saveexec_b32 s0, s1
	s_cbranch_execnz .LBB121_86
.LBB121_63:
	s_or_b32 exec_lo, exec_lo, s0
	s_and_b32 exec_lo, exec_lo, s2
	s_cbranch_execz .LBB121_65
.LBB121_64:
	v_add_nc_u32_e32 v0, v1, v4
	v_mov_b32_e32 v1, 0
	v_lshlrev_b64 v[0:1], 2, v[0:1]
	s_waitcnt lgkmcnt(0)
	v_add_co_u32 v0, vcc_lo, s12, v0
	v_add_co_ci_u32_e64 v1, null, s13, v1, vcc_lo
	global_store_dword v[0:1], v51, off
.LBB121_65:
	s_endpgm
.LBB121_66:
	v_add_nc_u32_e32 v6, v5, v0
	v_mov_b32_e32 v7, 0
	v_lshlrev_b64 v[6:7], 2, v[6:7]
	s_waitcnt lgkmcnt(0)
	v_add_co_u32 v6, s3, s12, v6
	v_add_co_ci_u32_e64 v7, null, s13, v7, s3
	global_store_dword v[6:7], v85, off
	s_or_b32 exec_lo, exec_lo, s4
	s_and_saveexec_b32 s4, s0
	s_cbranch_execz .LBB121_26
.LBB121_67:
	v_add_nc_u32_e32 v6, v5, v2
	v_mov_b32_e32 v7, 0
	v_lshlrev_b64 v[6:7], 2, v[6:7]
	s_waitcnt lgkmcnt(0)
	v_add_co_u32 v6, s3, s12, v6
	v_add_co_ci_u32_e64 v7, null, s13, v7, s3
	global_store_dword v[6:7], v83, off
	s_or_b32 exec_lo, exec_lo, s4
	s_and_saveexec_b32 s4, s1
	s_cbranch_execz .LBB121_27
.LBB121_68:
	v_add_nc_u32_e32 v6, v5, v3
	v_mov_b32_e32 v7, 0
	v_lshlrev_b64 v[6:7], 2, v[6:7]
	s_waitcnt lgkmcnt(0)
	v_add_co_u32 v6, s3, s12, v6
	v_add_co_ci_u32_e64 v7, null, s13, v7, s3
	global_store_dword v[6:7], v82, off
	s_or_b32 exec_lo, exec_lo, s4
	s_and_saveexec_b32 s4, s2
	s_cbranch_execnz .LBB121_28
	s_branch .LBB121_29
.LBB121_69:
	v_add_nc_u32_e32 v6, v5, v0
	v_mov_b32_e32 v7, 0
	v_lshlrev_b64 v[6:7], 2, v[6:7]
	s_waitcnt lgkmcnt(0)
	v_add_co_u32 v6, s3, s12, v6
	v_add_co_ci_u32_e64 v7, null, s13, v7, s3
	global_store_dword v[6:7], v77, off
	s_or_b32 exec_lo, exec_lo, s4
	s_and_saveexec_b32 s4, s0
	s_cbranch_execz .LBB121_32
.LBB121_70:
	v_add_nc_u32_e32 v6, v5, v2
	v_mov_b32_e32 v7, 0
	v_lshlrev_b64 v[6:7], 2, v[6:7]
	s_waitcnt lgkmcnt(0)
	v_add_co_u32 v6, s3, s12, v6
	v_add_co_ci_u32_e64 v7, null, s13, v7, s3
	global_store_dword v[6:7], v76, off
	s_or_b32 exec_lo, exec_lo, s4
	s_and_saveexec_b32 s4, s1
	s_cbranch_execz .LBB121_33
.LBB121_71:
	v_add_nc_u32_e32 v6, v5, v3
	v_mov_b32_e32 v7, 0
	v_lshlrev_b64 v[6:7], 2, v[6:7]
	s_waitcnt lgkmcnt(0)
	v_add_co_u32 v6, s3, s12, v6
	v_add_co_ci_u32_e64 v7, null, s13, v7, s3
	global_store_dword v[6:7], v74, off
	s_or_b32 exec_lo, exec_lo, s4
	s_and_saveexec_b32 s4, s2
	s_cbranch_execnz .LBB121_34
	s_branch .LBB121_35
.LBB121_72:
	v_add_nc_u32_e32 v6, v5, v0
	v_mov_b32_e32 v7, 0
	v_lshlrev_b64 v[6:7], 2, v[6:7]
	s_waitcnt lgkmcnt(0)
	v_add_co_u32 v6, s3, s12, v6
	v_add_co_ci_u32_e64 v7, null, s13, v7, s3
	global_store_dword v[6:7], v72, off
	s_or_b32 exec_lo, exec_lo, s4
	s_and_saveexec_b32 s4, s0
	s_cbranch_execz .LBB121_38
.LBB121_73:
	v_add_nc_u32_e32 v6, v5, v2
	v_mov_b32_e32 v7, 0
	v_lshlrev_b64 v[6:7], 2, v[6:7]
	s_waitcnt lgkmcnt(0)
	v_add_co_u32 v6, s3, s12, v6
	v_add_co_ci_u32_e64 v7, null, s13, v7, s3
	global_store_dword v[6:7], v71, off
	s_or_b32 exec_lo, exec_lo, s4
	s_and_saveexec_b32 s4, s1
	s_cbranch_execz .LBB121_39
.LBB121_74:
	v_add_nc_u32_e32 v6, v5, v3
	v_mov_b32_e32 v7, 0
	v_lshlrev_b64 v[6:7], 2, v[6:7]
	s_waitcnt lgkmcnt(0)
	v_add_co_u32 v6, s3, s12, v6
	v_add_co_ci_u32_e64 v7, null, s13, v7, s3
	global_store_dword v[6:7], v70, off
	s_or_b32 exec_lo, exec_lo, s4
	s_and_saveexec_b32 s4, s2
	s_cbranch_execnz .LBB121_40
	s_branch .LBB121_41
.LBB121_75:
	v_add_nc_u32_e32 v6, v5, v0
	v_mov_b32_e32 v7, 0
	v_lshlrev_b64 v[6:7], 2, v[6:7]
	s_waitcnt lgkmcnt(0)
	v_add_co_u32 v6, s3, s12, v6
	v_add_co_ci_u32_e64 v7, null, s13, v7, s3
	global_store_dword v[6:7], v66, off
	s_or_b32 exec_lo, exec_lo, s4
	s_and_saveexec_b32 s4, s0
	s_cbranch_execz .LBB121_44
.LBB121_76:
	v_add_nc_u32_e32 v6, v5, v2
	v_mov_b32_e32 v7, 0
	v_lshlrev_b64 v[6:7], 2, v[6:7]
	s_waitcnt lgkmcnt(0)
	v_add_co_u32 v6, s3, s12, v6
	v_add_co_ci_u32_e64 v7, null, s13, v7, s3
	global_store_dword v[6:7], v65, off
	s_or_b32 exec_lo, exec_lo, s4
	s_and_saveexec_b32 s4, s1
	s_cbranch_execz .LBB121_45
.LBB121_77:
	v_add_nc_u32_e32 v6, v5, v3
	v_mov_b32_e32 v7, 0
	v_lshlrev_b64 v[6:7], 2, v[6:7]
	s_waitcnt lgkmcnt(0)
	v_add_co_u32 v6, s3, s12, v6
	v_add_co_ci_u32_e64 v7, null, s13, v7, s3
	global_store_dword v[6:7], v64, off
	s_or_b32 exec_lo, exec_lo, s4
	s_and_saveexec_b32 s4, s2
	s_cbranch_execnz .LBB121_46
	s_branch .LBB121_47
.LBB121_78:
	v_add_nc_u32_e32 v6, v5, v0
	v_mov_b32_e32 v7, 0
	v_lshlrev_b64 v[6:7], 2, v[6:7]
	s_waitcnt lgkmcnt(0)
	v_add_co_u32 v6, s3, s12, v6
	v_add_co_ci_u32_e64 v7, null, s13, v7, s3
	global_store_dword v[6:7], v62, off
	s_or_b32 exec_lo, exec_lo, s4
	s_and_saveexec_b32 s4, s0
	s_cbranch_execz .LBB121_50
.LBB121_79:
	v_add_nc_u32_e32 v6, v5, v2
	v_mov_b32_e32 v7, 0
	v_lshlrev_b64 v[6:7], 2, v[6:7]
	s_waitcnt lgkmcnt(0)
	v_add_co_u32 v6, s3, s12, v6
	v_add_co_ci_u32_e64 v7, null, s13, v7, s3
	global_store_dword v[6:7], v61, off
	s_or_b32 exec_lo, exec_lo, s4
	s_and_saveexec_b32 s4, s1
	s_cbranch_execz .LBB121_51
.LBB121_80:
	v_add_nc_u32_e32 v6, v5, v3
	v_mov_b32_e32 v7, 0
	v_lshlrev_b64 v[6:7], 2, v[6:7]
	s_waitcnt lgkmcnt(0)
	v_add_co_u32 v6, s3, s12, v6
	v_add_co_ci_u32_e64 v7, null, s13, v7, s3
	global_store_dword v[6:7], v60, off
	s_or_b32 exec_lo, exec_lo, s4
	s_and_saveexec_b32 s4, s2
	s_cbranch_execnz .LBB121_52
	s_branch .LBB121_53
.LBB121_81:
	v_add_nc_u32_e32 v6, v5, v0
	v_mov_b32_e32 v7, 0
	v_lshlrev_b64 v[6:7], 2, v[6:7]
	s_waitcnt lgkmcnt(0)
	v_add_co_u32 v6, s3, s12, v6
	v_add_co_ci_u32_e64 v7, null, s13, v7, s3
	global_store_dword v[6:7], v58, off
	s_or_b32 exec_lo, exec_lo, s4
	s_and_saveexec_b32 s4, s0
	s_cbranch_execz .LBB121_56
.LBB121_82:
	v_add_nc_u32_e32 v6, v5, v2
	v_mov_b32_e32 v7, 0
	v_lshlrev_b64 v[6:7], 2, v[6:7]
	s_waitcnt lgkmcnt(0)
	v_add_co_u32 v6, s3, s12, v6
	v_add_co_ci_u32_e64 v7, null, s13, v7, s3
	global_store_dword v[6:7], v57, off
	s_or_b32 exec_lo, exec_lo, s4
	s_and_saveexec_b32 s4, s1
	s_cbranch_execz .LBB121_57
.LBB121_83:
	v_add_nc_u32_e32 v6, v5, v3
	v_mov_b32_e32 v7, 0
	v_lshlrev_b64 v[6:7], 2, v[6:7]
	s_waitcnt lgkmcnt(0)
	v_add_co_u32 v6, s3, s12, v6
	v_add_co_ci_u32_e64 v7, null, s13, v7, s3
	global_store_dword v[6:7], v56, off
	s_or_b32 exec_lo, exec_lo, s4
	s_and_saveexec_b32 s4, s2
	s_cbranch_execnz .LBB121_58
	s_branch .LBB121_59
.LBB121_84:
	v_add_nc_u32_e32 v5, v1, v0
	v_mov_b32_e32 v6, 0
	v_lshlrev_b64 v[5:6], 2, v[5:6]
	s_waitcnt lgkmcnt(0)
	v_add_co_u32 v5, vcc_lo, s12, v5
	v_add_co_ci_u32_e64 v6, null, s13, v6, vcc_lo
	global_store_dword v[5:6], v54, off
	s_or_b32 exec_lo, exec_lo, s3
	s_and_saveexec_b32 s3, s0
	s_cbranch_execz .LBB121_62
.LBB121_85:
	v_add_nc_u32_e32 v5, v1, v2
	v_mov_b32_e32 v6, 0
	v_lshlrev_b64 v[5:6], 2, v[5:6]
	s_waitcnt lgkmcnt(0)
	v_add_co_u32 v5, vcc_lo, s12, v5
	v_add_co_ci_u32_e64 v6, null, s13, v6, vcc_lo
	global_store_dword v[5:6], v53, off
	s_or_b32 exec_lo, exec_lo, s3
	s_and_saveexec_b32 s0, s1
	s_cbranch_execz .LBB121_63
.LBB121_86:
	v_add_nc_u32_e32 v2, v1, v3
	v_mov_b32_e32 v3, 0
	v_lshlrev_b64 v[2:3], 2, v[2:3]
	s_waitcnt lgkmcnt(0)
	v_add_co_u32 v2, vcc_lo, s12, v2
	v_add_co_ci_u32_e64 v3, null, s13, v3, vcc_lo
	global_store_dword v[2:3], v52, off
	s_or_b32 exec_lo, exec_lo, s0
	s_and_b32 exec_lo, exec_lo, s2
	s_cbranch_execnz .LBB121_64
	s_branch .LBB121_65
	.section	.rodata,"a",@progbits
	.p2align	6, 0x0
	.amdhsa_kernel _ZL12mul_mat_q5_0IfLb0EEvPKvS1_PT_iiiii
		.amdhsa_group_segment_fixed_size 46720
		.amdhsa_private_segment_fixed_size 0
		.amdhsa_kernarg_size 44
		.amdhsa_user_sgpr_count 6
		.amdhsa_user_sgpr_private_segment_buffer 1
		.amdhsa_user_sgpr_dispatch_ptr 0
		.amdhsa_user_sgpr_queue_ptr 0
		.amdhsa_user_sgpr_kernarg_segment_ptr 1
		.amdhsa_user_sgpr_dispatch_id 0
		.amdhsa_user_sgpr_flat_scratch_init 0
		.amdhsa_user_sgpr_private_segment_size 0
		.amdhsa_wavefront_size32 1
		.amdhsa_uses_dynamic_stack 0
		.amdhsa_system_sgpr_private_segment_wavefront_offset 0
		.amdhsa_system_sgpr_workgroup_id_x 1
		.amdhsa_system_sgpr_workgroup_id_y 1
		.amdhsa_system_sgpr_workgroup_id_z 0
		.amdhsa_system_sgpr_workgroup_info 0
		.amdhsa_system_vgpr_workitem_id 1
		.amdhsa_next_free_vgpr 200
		.amdhsa_next_free_sgpr 15
		.amdhsa_reserve_vcc 1
		.amdhsa_reserve_flat_scratch 0
		.amdhsa_float_round_mode_32 0
		.amdhsa_float_round_mode_16_64 0
		.amdhsa_float_denorm_mode_32 3
		.amdhsa_float_denorm_mode_16_64 3
		.amdhsa_dx10_clamp 1
		.amdhsa_ieee_mode 1
		.amdhsa_fp16_overflow 0
		.amdhsa_workgroup_processor_mode 1
		.amdhsa_memory_ordered 1
		.amdhsa_forward_progress 1
		.amdhsa_shared_vgpr_count 0
		.amdhsa_exception_fp_ieee_invalid_op 0
		.amdhsa_exception_fp_denorm_src 0
		.amdhsa_exception_fp_ieee_div_zero 0
		.amdhsa_exception_fp_ieee_overflow 0
		.amdhsa_exception_fp_ieee_underflow 0
		.amdhsa_exception_fp_ieee_inexact 0
		.amdhsa_exception_int_div_zero 0
	.end_amdhsa_kernel
	.section	.text._ZL12mul_mat_q5_0IfLb0EEvPKvS1_PT_iiiii,"axG",@progbits,_ZL12mul_mat_q5_0IfLb0EEvPKvS1_PT_iiiii,comdat
.Lfunc_end121:
	.size	_ZL12mul_mat_q5_0IfLb0EEvPKvS1_PT_iiiii, .Lfunc_end121-_ZL12mul_mat_q5_0IfLb0EEvPKvS1_PT_iiiii
                                        ; -- End function
	.set _ZL12mul_mat_q5_0IfLb0EEvPKvS1_PT_iiiii.num_vgpr, 200
	.set _ZL12mul_mat_q5_0IfLb0EEvPKvS1_PT_iiiii.num_agpr, 0
	.set _ZL12mul_mat_q5_0IfLb0EEvPKvS1_PT_iiiii.numbered_sgpr, 15
	.set _ZL12mul_mat_q5_0IfLb0EEvPKvS1_PT_iiiii.num_named_barrier, 0
	.set _ZL12mul_mat_q5_0IfLb0EEvPKvS1_PT_iiiii.private_seg_size, 0
	.set _ZL12mul_mat_q5_0IfLb0EEvPKvS1_PT_iiiii.uses_vcc, 1
	.set _ZL12mul_mat_q5_0IfLb0EEvPKvS1_PT_iiiii.uses_flat_scratch, 0
	.set _ZL12mul_mat_q5_0IfLb0EEvPKvS1_PT_iiiii.has_dyn_sized_stack, 0
	.set _ZL12mul_mat_q5_0IfLb0EEvPKvS1_PT_iiiii.has_recursion, 0
	.set _ZL12mul_mat_q5_0IfLb0EEvPKvS1_PT_iiiii.has_indirect_call, 0
	.section	.AMDGPU.csdata,"",@progbits
; Kernel info:
; codeLenInByte = 15808
; TotalNumSgprs: 17
; NumVgprs: 200
; ScratchSize: 0
; MemoryBound: 0
; FloatMode: 240
; IeeeMode: 1
; LDSByteSize: 46720 bytes/workgroup (compile time only)
; SGPRBlocks: 0
; VGPRBlocks: 24
; NumSGPRsForWavesPerEU: 17
; NumVGPRsForWavesPerEU: 200
; Occupancy: 4
; WaveLimiterHint : 0
; COMPUTE_PGM_RSRC2:SCRATCH_EN: 0
; COMPUTE_PGM_RSRC2:USER_SGPR: 6
; COMPUTE_PGM_RSRC2:TRAP_HANDLER: 0
; COMPUTE_PGM_RSRC2:TGID_X_EN: 1
; COMPUTE_PGM_RSRC2:TGID_Y_EN: 1
; COMPUTE_PGM_RSRC2:TGID_Z_EN: 0
; COMPUTE_PGM_RSRC2:TIDIG_COMP_CNT: 1
	.section	.text._ZL12mul_mat_q5_0IfLb1EEvPKvS1_PT_iiiii,"axG",@progbits,_ZL12mul_mat_q5_0IfLb1EEvPKvS1_PT_iiiii,comdat
	.globl	_ZL12mul_mat_q5_0IfLb1EEvPKvS1_PT_iiiii ; -- Begin function _ZL12mul_mat_q5_0IfLb1EEvPKvS1_PT_iiiii
	.p2align	8
	.type	_ZL12mul_mat_q5_0IfLb1EEvPKvS1_PT_iiiii,@function
_ZL12mul_mat_q5_0IfLb1EEvPKvS1_PT_iiiii: ; @_ZL12mul_mat_q5_0IfLb1EEvPKvS1_PT_iiiii
; %bb.0:
	s_clause 0x1
	s_load_dwordx4 s[8:11], s[4:5], 0x18
	s_load_dword s14, s[4:5], 0x28
	s_lshl_b32 s7, s7, 6
	v_add_nc_u32_e32 v79, s7, v1
	s_waitcnt lgkmcnt(0)
	s_cmp_gt_i32 s8, 31
	s_cbranch_scc1 .LBB122_2
; %bb.1:
	v_add_nc_u32_e32 v2, s7, v1
	s_mov_b32 s0, 0
	s_branch .LBB122_3
.LBB122_2:
	s_mov_b32 s0, -1
                                        ; implicit-def: $vgpr2
.LBB122_3:
	s_load_dwordx2 s[12:13], s[4:5], 0x10
	v_mov_b32_e32 v67, 0
	v_mov_b32_e32 v71, 0
	;; [unrolled: 1-line block ×32, first 2 shown]
	s_andn2_b32 vcc_lo, exec_lo, s0
	s_lshl_b32 s6, s6, 7
	s_cbranch_vccnz .LBB122_14
; %bb.4:
	s_load_dwordx4 s[0:3], s[4:5], 0x0
	s_ashr_i32 s4, s8, 31
	s_ashr_i32 s5, s11, 31
	s_lshr_b32 s4, s4, 27
	s_lshr_b32 s5, s5, 27
	s_add_i32 s4, s8, s4
	s_add_i32 s5, s11, s5
	s_ashr_i32 s4, s4, 5
	s_ashr_i32 s11, s5, 5
	s_mul_i32 s8, s4, s6
	v_add_nc_u32_e32 v17, 8, v1
	s_mul_i32 s5, s8, 22
	s_mul_hi_i32 s8, s8, 22
	v_lshlrev_b32_e32 v3, 3, v0
	v_add_nc_u32_e32 v38, 16, v1
	v_add_nc_u32_e32 v39, 24, v1
	;; [unrolled: 1-line block ×6, first 2 shown]
	s_waitcnt lgkmcnt(0)
	s_add_u32 s5, s0, s5
	s_addc_u32 s8, s1, s8
	s_not_b32 s0, s6
	v_lshrrev_b32_e32 v106, 3, v0
	s_add_i32 s0, s9, s0
	v_and_b32_e32 v114, 7, v0
	v_min_i32_e32 v4, s0, v1
	v_min_i32_e32 v5, s0, v17
	;; [unrolled: 1-line block ×3, first 2 shown]
	v_lshl_add_u32 v44, v1, 2, v106
	v_add_nc_u32_e32 v9, 16, v79
	v_mad_u64_u32 v[18:19], null, 0x104, v4, v[3:4]
	v_mul_lo_u32 v91, v4, s4
	v_mad_u64_u32 v[19:20], null, 0x104, v5, v[3:4]
	v_min_i32_e32 v4, s0, v39
	v_mul_lo_u32 v92, v5, s4
	v_min_i32_e32 v5, s0, v40
	v_mul_lo_u32 v93, v6, s4
	v_min_i32_e32 v45, s0, v44
	v_mad_u64_u32 v[20:21], null, 0x104, v6, v[3:4]
	v_mul_lo_u32 v95, v4, s4
	v_mad_u64_u32 v[21:22], null, 0x104, v4, v[3:4]
	v_min_i32_e32 v4, s0, v41
	v_mul_lo_u32 v96, v5, s4
	v_add_nc_u32_e32 v6, 64, v1
	v_ashrrev_i32_e32 v7, 31, v45
	v_add_nc_u32_e32 v11, 24, v79
	v_mad_u64_u32 v[22:23], null, 0x104, v5, v[3:4]
	v_mul_lo_u32 v98, v4, s4
	v_min_i32_e32 v5, s0, v42
	v_mad_u64_u32 v[23:24], null, 0x104, v4, v[3:4]
	v_min_i32_e32 v4, s0, v43
	v_add_nc_u32_e32 v13, 32, v79
	v_mul_lo_u32 v99, v5, s4
	v_add_nc_u32_e32 v15, 40, v79
	s_add_i32 s1, s10, -1
	v_mad_u64_u32 v[24:25], null, 0x104, v5, v[3:4]
	v_mul_lo_u32 v100, v4, s4
	v_min_i32_e32 v5, s0, v6
	v_add_nc_u32_e32 v6, 0x48, v1
	v_mad_u64_u32 v[25:26], null, 0x104, v4, v[3:4]
	v_add_nc_u32_e32 v4, 0x50, v1
	v_mul_lo_u32 v102, v5, s4
	v_min_i32_e32 v6, s0, v6
	v_lshlrev_b32_e32 v47, 2, v114
	v_add_nc_u32_e32 v36, 64, v44
	v_mad_u64_u32 v[26:27], null, 0x104, v5, v[3:4]
	v_min_i32_e32 v4, s0, v4
	v_add_nc_u32_e32 v5, 0x58, v1
	v_mul_lo_u32 v103, v6, s4
	v_cvt_f64_u32_e32 v[9:10], v9
	v_cvt_f64_u32_e32 v[11:12], v11
	v_mad_u64_u32 v[27:28], null, 0x104, v6, v[3:4]
	v_add_nc_u32_e32 v6, 0x60, v1
	v_mul_lo_u32 v104, v4, s4
	v_min_i32_e32 v5, s0, v5
	v_mad_u64_u32 v[28:29], null, 0x104, v4, v[3:4]
	v_min_i32_e32 v4, s0, v6
	v_add_nc_u32_e32 v6, 0x68, v1
	v_mul_lo_u32 v107, v5, s4
	v_add_nc_u32_e32 v35, 48, v79
	v_cvt_f64_u32_e32 v[13:14], v13
	v_mad_u64_u32 v[29:30], null, 0x104, v5, v[3:4]
	v_min_i32_e32 v5, s0, v6
	v_add_nc_u32_e32 v6, 0x70, v1
	v_mul_lo_u32 v109, v4, s4
	v_mad_u64_u32 v[30:31], null, 0x104, v4, v[3:4]
	v_mul_lo_u32 v110, v5, s4
	v_min_i32_e32 v4, s0, v6
	v_add_nc_u32_e32 v6, 0x78, v1
	v_add_nc_u32_e32 v37, 56, v79
	v_cvt_f64_u32_e32 v[15:16], v15
	v_min_i32_e32 v50, s0, v36
	v_mad_u64_u32 v[31:32], null, 0x104, v5, v[3:4]
	v_min_i32_e32 v5, s0, v6
	v_lshrrev_b32_e32 v6, 30, v7
	v_add_nc_u32_e32 v7, 32, v44
	v_mul_lo_u32 v111, v4, s4
	v_mad_u64_u32 v[32:33], null, 0x104, v4, v[3:4]
	v_add_nc_u32_e32 v4, v45, v6
	v_min_i32_e32 v46, s0, v7
	v_add_nc_u32_e32 v7, 8, v79
	v_mul_lo_u32 v113, v5, s4
	v_cvt_f64_u32_e32 v[36:37], v37
	v_mad_u64_u32 v[33:34], null, 0x104, v5, v[3:4]
	v_and_b32_e32 v34, -4, v4
	v_cvt_f64_i32_e32 v[3:4], s1
	v_cvt_f64_u32_e32 v[5:6], v79
	v_cvt_f64_u32_e32 v[7:8], v7
	v_ashrrev_i32_e32 v51, 31, v50
	v_add3_u32 v49, v34, v47, 0xa200
	v_cvt_f64_u32_e32 v[34:35], v35
	v_ashrrev_i32_e32 v48, 31, v46
	v_lshrrev_b32_e32 v87, 2, v0
	v_lshrrev_b32_e32 v51, 30, v51
	v_add_nc_u32_e32 v44, 0x60, v44
	v_mul_lo_u32 v121, v46, s4
	v_lshrrev_b32_e32 v48, 30, v48
	v_and_b32_e32 v2, 3, v0
	v_add_nc_u32_e32 v51, v50, v51
	v_min_i32_e32 v44, s0, v44
	v_mul_lo_u32 v115, v45, s4
	v_add_nc_u32_e32 v48, v46, v48
	v_lshlrev_b32_e32 v90, 2, v2
	v_and_b32_e32 v51, -4, v51
	v_ashrrev_i32_e32 v52, 31, v44
	v_lshlrev_b32_e32 v45, 5, v45
	v_and_b32_e32 v48, -4, v48
	v_min_f64 v[9:10], v[9:10], v[3:4]
	v_min_f64 v[5:6], v[5:6], v[3:4]
	;; [unrolled: 1-line block ×8, first 2 shown]
	v_lshlrev_b32_e32 v37, 5, v46
	v_add3_u32 v46, v51, v47, 0xa200
	v_lshl_add_u32 v51, v1, 3, v87
	v_lshrrev_b32_e32 v52, 30, v52
	v_add3_u32 v48, v48, v47, 0xa200
	v_mul_lo_u32 v122, v50, s4
	v_lshlrev_b32_e32 v50, 5, v50
	v_lshlrev_b32_e32 v127, 7, v1
	v_add_nc_u32_e32 v36, v44, v52
	v_mul_lo_u32 v123, v44, s4
	v_mov_b32_e32 v81, 0
	v_mul_u32_u24_e32 v135, 0x104, v0
	v_lshl_add_u32 v141, v1, 4, 0xb280
	v_and_b32_e32 v36, -4, v36
	v_add_nc_u32_e32 v142, 0x8200, v127
	v_cvt_i32_f64_e32 v5, v[5:6]
	v_cvt_i32_f64_e32 v6, v[7:8]
	;; [unrolled: 1-line block ×8, first 2 shown]
	v_and_b32_e32 v7, 63, v51
	v_lshlrev_b32_e32 v15, 2, v0
	v_and_b32_e32 v34, 31, v0
	v_add3_u32 v9, v36, v47, 0xa200
	v_lshlrev_b32_e32 v11, 5, v44
	v_or_b32_e32 v13, s7, v7
	v_lshl_or_b32 v7, v7, 4, v90
	v_lshl_or_b32 v124, v34, 2, 0x8200
	v_add_nc_u32_e32 v148, v49, v45
	v_add_nc_u32_e32 v149, v48, v37
	v_min_i32_e32 v4, s1, v13
	v_and_b32_e32 v13, 28, v15
	v_lshlrev_b32_e32 v15, 5, v0
	v_add_nc_u32_e32 v125, 0xb280, v7
	v_mul_lo_u32 v126, s11, v5
	v_mul_lo_u32 v128, s11, v6
	;; [unrolled: 1-line block ×6, first 2 shown]
	v_add_nc_u32_e32 v10, 0x60, v0
	v_add_nc_u32_e32 v12, 64, v0
	;; [unrolled: 1-line block ×3, first 2 shown]
	v_mad_u64_u32 v[34:35], null, v4, s11, v[2:3]
	v_lshlrev_b32_e32 v2, 7, v17
	v_mul_lo_u32 v133, s11, v16
	v_and_b32_e32 v10, 0x1fc, v10
	v_and_b32_e32 v12, 0x1fc, v12
	;; [unrolled: 1-line block ×4, first 2 shown]
	v_lshlrev_b32_e32 v4, 7, v38
	v_lshlrev_b32_e32 v5, 7, v39
	;; [unrolled: 1-line block ×5, first 2 shown]
	v_mul_lo_u32 v134, s11, v3
	v_lshlrev_b32_e32 v3, 7, v43
	v_lshrrev_b32_e32 v136, 3, v14
	v_add_nc_u32_e32 v10, v15, v10
	v_add_nc_u32_e32 v12, v15, v12
	;; [unrolled: 1-line block ×4, first 2 shown]
	v_add_co_u32 v35, s0, s2, v13
	v_add_co_ci_u32_e64 v36, null, s3, 0, s0
	s_movk_i32 s0, 0x80
	v_add_nc_u32_e32 v137, 0xae00, v10
	v_add_nc_u32_e32 v138, 0xaa00, v12
	;; [unrolled: 1-line block ×8, first 2 shown]
	v_mad_u32_u24 v147, 0x104, v0, s0
	v_add_nc_u32_e32 v150, v46, v50
	v_add_nc_u32_e32 v151, v9, v11
	;; [unrolled: 1-line block ×9, first 2 shown]
	v_mov_b32_e32 v117, 0
	v_mov_b32_e32 v105, 0
	;; [unrolled: 1-line block ×31, first 2 shown]
	s_add_i32 s9, s4, 3
	s_mov_b32 s11, 0
	s_branch .LBB122_6
.LBB122_5:                              ;   in Loop: Header=BB122_6 Depth=1
	s_add_i32 s11, s11, 8
	s_add_i32 s9, s9, -8
	s_cmp_ge_i32 s11, s4
	s_cbranch_scc1 .LBB122_13
.LBB122_6:                              ; =>This Loop Header: Depth=1
                                        ;     Child Loop BB122_8 Depth 2
                                        ;     Child Loop BB122_11 Depth 2
	s_mul_i32 s0, s11, 22
	s_mul_hi_u32 s1, s11, 22
	s_add_u32 s0, s5, s0
	s_addc_u32 s1, s8, s1
	s_cmp_gt_u32 s9, 3
	v_mad_u64_u32 v[2:3], null, v87, 22, s[0:1]
	v_mad_i64_i32 v[4:5], null, v91, 22, v[2:3]
	v_mad_i64_i32 v[6:7], null, v92, 22, v[2:3]
	;; [unrolled: 1-line block ×4, first 2 shown]
	v_add_co_u32 v8, vcc_lo, v4, v90
	v_add_co_ci_u32_e64 v9, null, 0, v5, vcc_lo
	v_add_co_u32 v10, vcc_lo, v6, v90
	v_add_co_ci_u32_e64 v11, null, 0, v7, vcc_lo
	;; [unrolled: 2-line block ×4, first 2 shown]
	s_clause 0x7
	global_load_dword v12, v[8:9], off offset:6
	global_load_dword v10, v[10:11], off offset:6
	;; [unrolled: 1-line block ×8, first 2 shown]
	v_mad_i64_i32 v[16:17], null, v96, 22, v[2:3]
	v_mad_i64_i32 v[37:38], null, v98, 22, v[2:3]
	;; [unrolled: 1-line block ×4, first 2 shown]
	v_add_co_u32 v43, vcc_lo, v16, v90
	v_add_co_ci_u32_e64 v44, null, 0, v17, vcc_lo
	v_add_co_u32 v45, vcc_lo, v37, v90
	v_add_co_ci_u32_e64 v46, null, 0, v38, vcc_lo
	s_clause 0x5
	global_load_dword v5, v[41:42], off offset:2
	global_load_dword v7, v[39:40], off offset:2
	;; [unrolled: 1-line block ×6, first 2 shown]
	v_add_co_u32 v16, vcc_lo, v39, v90
	v_add_co_ci_u32_e64 v17, null, 0, v40, vcc_lo
	v_add_co_u32 v37, vcc_lo, v41, v90
	v_add_co_ci_u32_e64 v38, null, 0, v42, vcc_lo
	s_clause 0x1
	global_load_dword v6, v[16:17], off offset:6
	global_load_dword v4, v[37:38], off offset:6
	v_mad_i64_i32 v[37:38], null, v102, 22, v[2:3]
	v_mad_i64_i32 v[39:40], null, v103, 22, v[2:3]
	;; [unrolled: 1-line block ×8, first 2 shown]
	v_add_co_u32 v2, vcc_lo, v37, v90
	v_add_co_ci_u32_e64 v3, null, 0, v38, vcc_lo
	v_add_co_u32 v16, vcc_lo, v39, v90
	v_add_co_ci_u32_e64 v17, null, 0, v40, vcc_lo
	;; [unrolled: 2-line block ×4, first 2 shown]
	s_clause 0x7
	global_load_dword v63, v[2:3], off offset:6
	global_load_dword v64, v[16:17], off offset:6
	;; [unrolled: 1-line block ×8, first 2 shown]
	v_add_co_u32 v57, vcc_lo, v45, v90
	v_add_co_ci_u32_e64 v58, null, 0, v46, vcc_lo
	s_waitcnt vmcnt(23)
	v_and_b32_e32 v38, 0xf0f0f0f, v12
	v_lshrrev_b32_e32 v12, 4, v12
	s_waitcnt vmcnt(22)
	v_and_b32_e32 v40, 0xf0f0f0f, v10
	v_lshrrev_b32_e32 v10, 4, v10
	s_waitcnt vmcnt(19)
	v_ashrrev_i32_e32 v11, v90, v11
	s_waitcnt vmcnt(18)
	v_ashrrev_i32_e32 v13, v90, v13
	;; [unrolled: 2-line block ×4, first 2 shown]
	v_and_b32_e32 v41, 0xf0f0f0f, v8
	v_lshrrev_b32_e32 v8, 4, v8
	v_lshlrev_b32_e32 v167, 4, v13
	v_lshlrev_b32_e32 v160, 4, v14
	v_lshrrev_b32_e32 v65, 12, v15
	v_lshrrev_b32_e32 v66, 5, v15
	v_lshlrev_b32_e32 v159, 2, v15
	v_lshlrev_b32_e32 v161, 11, v14
	;; [unrolled: 1-line block ×4, first 2 shown]
	v_lshrrev_b32_e32 v164, 12, v14
	v_lshrrev_b32_e32 v165, 5, v14
	v_lshlrev_b32_e32 v166, 2, v14
	s_waitcnt vmcnt(13)
	v_ashrrev_i32_e32 v54, v90, v59
	s_waitcnt vmcnt(12)
	v_ashrrev_i32_e32 v43, v90, v60
	s_waitcnt vmcnt(11)
	v_and_b32_e32 v44, 0xf0f0f0f, v61
	v_lshrrev_b32_e32 v53, 4, v61
	s_waitcnt vmcnt(10)
	v_and_b32_e32 v55, 0xf0f0f0f, v62
	v_lshrrev_b32_e32 v56, 4, v62
	v_lshlrev_b32_e32 v59, 4, v15
	v_lshlrev_b32_e32 v60, 11, v15
	;; [unrolled: 1-line block ×9, first 2 shown]
	v_lshrrev_b32_e32 v171, 12, v13
	v_lshrrev_b32_e32 v172, 5, v13
	v_lshlrev_b32_e32 v173, 2, v13
	v_lshlrev_b32_e32 v13, 9, v13
	;; [unrolled: 1-line block ×4, first 2 shown]
	v_and_b32_e32 v42, 0xf0f0f0f, v9
	v_lshrrev_b32_e32 v9, 4, v9
	v_lshlrev_b32_e32 v176, 18, v11
	v_lshlrev_b32_e32 v177, 25, v11
	v_lshrrev_b32_e32 v178, 12, v11
	v_lshrrev_b32_e32 v179, 5, v11
	v_lshlrev_b32_e32 v180, 2, v11
	v_lshlrev_b32_e32 v11, 9, v11
	;; [unrolled: 1-line block ×4, first 2 shown]
	v_and_b32_e32 v12, 0xf0f0f0f, v12
	v_lshlrev_b32_e32 v188, 4, v54
	v_lshlrev_b32_e32 v189, 11, v54
	v_lshlrev_b32_e32 v190, 18, v54
	v_lshlrev_b32_e32 v191, 25, v54
	v_lshrrev_b32_e32 v192, 12, v54
	v_lshrrev_b32_e32 v193, 5, v54
	v_lshlrev_b32_e32 v194, 2, v54
	v_lshlrev_b32_e32 v54, 9, v54
	v_and_b32_e32 v59, 16, v59
	v_and_b32_e32 v60, 0x1000, v60
	;; [unrolled: 1-line block ×25, first 2 shown]
	v_lshlrev_b32_e32 v183, 18, v43
	v_lshlrev_b32_e32 v184, 25, v43
	v_lshrrev_b32_e32 v185, 12, v43
	v_lshrrev_b32_e32 v186, 5, v43
	v_lshlrev_b32_e32 v187, 2, v43
	v_lshlrev_b32_e32 v43, 9, v43
	v_and_b32_e32 v178, 16, v178
	v_and_b32_e32 v179, 0x1000, v179
	;; [unrolled: 1-line block ×11, first 2 shown]
	v_or3_b32 v59, v59, v38, v60
	v_or3_b32 v38, v38, v61, v62
	;; [unrolled: 1-line block ×3, first 2 shown]
	v_and_b32_e32 v162, 0x100000, v162
	v_and_b32_e32 v163, 0x10000000, v163
	v_or3_b32 v12, v12, v159, v15
	v_or3_b32 v15, v160, v40, v161
	v_and_b32_e32 v169, 0x100000, v169
	v_and_b32_e32 v170, 0x10000000, v170
	v_or3_b32 v61, v164, v10, v165
	v_or3_b32 v10, v10, v166, v14
	;; [unrolled: 1-line block ×3, first 2 shown]
	v_and_b32_e32 v176, 0x100000, v176
	v_and_b32_e32 v177, 0x10000000, v177
	v_or3_b32 v62, v171, v8, v172
	v_or3_b32 v8, v8, v173, v13
	;; [unrolled: 1-line block ×3, first 2 shown]
	v_and_b32_e32 v53, 0xf0f0f0f, v53
	v_and_b32_e32 v183, 0x100000, v183
	;; [unrolled: 1-line block ×5, first 2 shown]
	v_or3_b32 v65, v178, v9, v179
	v_or3_b32 v9, v9, v180, v11
	;; [unrolled: 1-line block ×5, first 2 shown]
	v_lshrrev_b32_e32 v38, 16, v38
	v_and_b32_e32 v56, 0x1f00, v59
	v_lshlrev_b16 v59, 8, v59
	v_and_b32_e32 v160, 0x1f00, v60
	v_lshlrev_b16 v60, 8, v60
	v_or3_b32 v40, v40, v162, v163
	v_and_b32_e32 v161, 0x1f00, v15
	v_lshlrev_b16 v15, 8, v15
	v_or3_b32 v41, v41, v169, v170
	;; [unrolled: 3-line block ×3, first 2 shown]
	v_and_b32_e32 v165, 0x1f00, v13
	v_lshlrev_b16 v13, 8, v13
	v_and_b32_e32 v185, 16, v185
	v_and_b32_e32 v186, 0x1000, v186
	v_or3_b32 v44, v44, v183, v184
	v_or3_b32 v43, v53, v187, v43
	v_and_b32_e32 v167, 0x1f00, v11
	v_lshlrev_b16 v11, 8, v11
	v_lshrrev_b32_e32 v12, 16, v12
	v_add_nc_u16 v56, 0xf000, v56
	v_add_nc_u16 v59, 0xf000, v59
	v_and_b32_e32 v170, 0x1f00, v38
	v_lshlrev_b16 v38, 8, v38
	v_add_nc_u16 v60, 0xf000, v60
	v_lshrrev_b32_e32 v40, 16, v40
	v_lshrrev_b32_e32 v10, 16, v10
	v_add_nc_u16 v15, 0xf000, v15
	v_and_b32_e32 v162, 0x1f00, v61
	v_lshlrev_b16 v61, 8, v61
	v_lshrrev_b32_e32 v41, 16, v41
	v_lshrrev_b32_e32 v8, 16, v8
	v_add_nc_u16 v14, 0xf000, v14
	v_and_b32_e32 v164, 0x1f00, v62
	v_lshlrev_b16 v62, 8, v62
	v_lshrrev_b32_e32 v42, 16, v42
	v_lshrrev_b32_e32 v9, 16, v9
	v_add_nc_u16 v13, 0xf000, v13
	v_or3_b32 v66, v185, v53, v186
	v_and_b32_e32 v166, 0x1f00, v65
	v_lshlrev_b16 v65, 8, v65
	v_lshrrev_b32_e32 v44, 16, v44
	v_lshrrev_b32_e32 v43, 16, v43
	v_add_nc_u16 v11, 0xf000, v11
	v_and_b32_e32 v171, 0x1f00, v12
	v_lshlrev_b16 v12, 8, v12
	v_perm_b32 v56, v59, v56, 0xc0c0105
	v_add_nc_u16 v59, 0xf000, v170
	v_add_nc_u16 v38, 0xf000, v38
	v_or_b32_sdwa v60, v160, v60 dst_sel:DWORD dst_unused:UNUSED_PAD src0_sel:DWORD src1_sel:BYTE_1
	v_and_b32_e32 v172, 0x1f00, v40
	v_lshlrev_b16 v40, 8, v40
	v_and_b32_e32 v173, 0x1f00, v10
	v_lshlrev_b16 v10, 8, v10
	v_or_b32_sdwa v15, v161, v15 dst_sel:DWORD dst_unused:UNUSED_PAD src0_sel:DWORD src1_sel:BYTE_1
	v_add_nc_u16 v162, 0xf000, v162
	v_add_nc_u16 v61, 0xf000, v61
	v_and_b32_e32 v174, 0x1f00, v41
	v_lshlrev_b16 v41, 8, v41
	v_and_b32_e32 v175, 0x1f00, v8
	v_lshlrev_b16 v8, 8, v8
	v_or_b32_sdwa v14, v163, v14 dst_sel:DWORD dst_unused:UNUSED_PAD src0_sel:DWORD src1_sel:BYTE_1
	v_add_nc_u16 v164, 0xf000, v164
	v_add_nc_u16 v62, 0xf000, v62
	v_and_b32_e32 v176, 0x1f00, v42
	v_lshlrev_b16 v42, 8, v42
	v_and_b32_e32 v177, 0x1f00, v9
	v_lshlrev_b16 v9, 8, v9
	v_or_b32_sdwa v13, v165, v13 dst_sel:DWORD dst_unused:UNUSED_PAD src0_sel:DWORD src1_sel:BYTE_1
	v_and_b32_e32 v168, 0x1f00, v66
	v_lshlrev_b16 v66, 8, v66
	v_add_nc_u16 v166, 0xf000, v166
	v_add_nc_u16 v65, 0xf000, v65
	v_and_b32_e32 v178, 0x1f00, v44
	v_lshlrev_b16 v44, 8, v44
	v_and_b32_e32 v179, 0x1f00, v43
	v_lshlrev_b16 v43, 8, v43
	v_or_b32_sdwa v11, v167, v11 dst_sel:DWORD dst_unused:UNUSED_PAD src0_sel:DWORD src1_sel:BYTE_1
	v_add_nc_u16 v170, 0xf000, v171
	v_add_nc_u16 v12, 0xf000, v12
	v_perm_b32 v38, v38, v59, 0xc0c0105
	v_add_nc_u16 v59, 0xf000, v60
	v_add_nc_u16 v160, 0xf000, v172
	;; [unrolled: 1-line block ×6, first 2 shown]
	v_perm_b32 v61, v61, v162, 0xc0c0105
	v_add_nc_u16 v162, 0xf000, v174
	v_add_nc_u16 v41, 0xf000, v41
	;; [unrolled: 1-line block ×5, first 2 shown]
	v_perm_b32 v62, v62, v164, 0xc0c0105
	v_add_nc_u16 v164, 0xf000, v176
	v_add_nc_u16 v42, 0xf000, v42
	;; [unrolled: 1-line block ×7, first 2 shown]
	v_perm_b32 v65, v65, v166, 0xc0c0105
	v_add_nc_u16 v166, 0xf000, v178
	v_add_nc_u16 v44, 0xf000, v44
	;; [unrolled: 1-line block ×5, first 2 shown]
	v_perm_b32 v12, v12, v170, 0xc0c0105
	v_lshl_or_b32 v38, v38, 16, v56
	v_and_b32_e32 v56, 0xffff, v59
	v_perm_b32 v40, v40, v160, 0xc0c0105
	v_perm_b32 v10, v10, v161, 0xc0c0105
	v_and_b32_e32 v15, 0xffff, v15
	v_perm_b32 v41, v41, v162, 0xc0c0105
	v_perm_b32 v8, v8, v163, 0xc0c0105
	;; [unrolled: 3-line block ×4, first 2 shown]
	v_perm_b32 v43, v43, v167, 0xc0c0105
	v_and_b32_e32 v11, 0xffff, v11
	v_lshl_or_b32 v12, v12, 16, v56
	v_lshl_or_b32 v10, v10, 16, v61
	v_lshl_or_b32 v15, v40, 16, v15
	v_lshl_or_b32 v8, v8, 16, v62
	v_lshl_or_b32 v14, v41, 16, v14
	v_lshl_or_b32 v9, v9, 16, v65
	v_lshl_or_b32 v13, v42, 16, v13
	v_lshl_or_b32 v43, v43, 16, v66
	v_lshl_or_b32 v11, v44, 16, v11
	ds_write2_b32 v18, v38, v12 offset1:1
	ds_write2_b32 v19, v15, v10 offset1:1
	;; [unrolled: 1-line block ×5, first 2 shown]
	v_add_co_u32 v8, vcc_lo, v47, v90
	v_add_co_ci_u32_e64 v9, null, 0, v48, vcc_lo
	v_add_co_u32 v10, vcc_lo, v49, v90
	v_add_co_ci_u32_e64 v11, null, 0, v50, vcc_lo
	;; [unrolled: 2-line block ×3, first 2 shown]
	s_clause 0x7
	global_load_dword v15, v[57:58], off offset:6
	global_load_dword v38, v[8:9], off offset:6
	;; [unrolled: 1-line block ×8, first 2 shown]
	v_and_b32_e32 v188, 16, v188
	v_and_b32_e32 v189, 0x1000, v189
	;; [unrolled: 1-line block ×4, first 2 shown]
	v_lshlrev_b16 v14, 8, v159
	v_and_b32_e32 v13, 0x1f00, v159
	v_or3_b32 v53, v188, v55, v189
	v_ashrrev_i32_e32 v7, v90, v7
	v_or3_b32 v55, v55, v190, v191
	v_add_nc_u16 v14, 0xf000, v14
	v_lshrrev_b32_e32 v12, 16, v54
	s_waitcnt vmcnt(17)
	v_and_b32_e32 v47, 0xf0f0f0f, v6
	v_lshlrev_b32_e32 v44, 18, v7
	v_lshrrev_b32_e32 v55, 16, v55
	v_or_b32_sdwa v13, v13, v14 dst_sel:DWORD dst_unused:UNUSED_PAD src0_sel:DWORD src1_sel:BYTE_1
	v_lshlrev_b32_e32 v14, 4, v7
	v_lshlrev_b32_e32 v45, 25, v7
	;; [unrolled: 1-line block ×3, first 2 shown]
	v_and_b32_e32 v180, 0x1f00, v55
	v_lshlrev_b16 v55, 8, v55
	v_and_b32_e32 v14, 16, v14
	v_and_b32_e32 v44, 0x100000, v44
	;; [unrolled: 1-line block ×3, first 2 shown]
	v_add_nc_u16 v10, 0xf000, v180
	v_add_nc_u16 v11, 0xf000, v55
	v_and_b32_e32 v46, 0x1000, v46
	v_add_nc_u16 v13, 0xf000, v13
	v_or3_b32 v44, v47, v44, v45
	v_lshrrev_b32_e32 v6, 4, v6
	v_perm_b32 v10, v11, v10, 0xc0c0105
	v_and_b32_e32 v11, 0x1f00, v12
	v_lshlrev_b16 v12, 8, v12
	v_or3_b32 v14, v14, v47, v46
	v_lshrrev_b32_e32 v45, 12, v7
	v_lshrrev_b32_e32 v46, 5, v7
	v_add_nc_u16 v11, 0xf000, v11
	v_add_nc_u16 v12, 0xf000, v12
	v_lshlrev_b32_e32 v47, 2, v7
	v_lshlrev_b32_e32 v7, 9, v7
	v_and_b32_e32 v6, 0xf0f0f0f, v6
	v_and_b32_e32 v45, 16, v45
	v_perm_b32 v11, v12, v11, 0xc0c0105
	v_and_b32_e32 v12, 0xffff, v13
	v_lshrrev_b32_e32 v13, 16, v44
	v_and_b32_e32 v44, 0x1f00, v14
	v_lshlrev_b16 v14, 8, v14
	v_and_b32_e32 v46, 0x1000, v46
	v_and_b32_e32 v47, 0x100000, v47
	;; [unrolled: 1-line block ×3, first 2 shown]
	v_add_nc_u16 v44, 0xf000, v44
	v_add_nc_u16 v14, 0xf000, v14
	v_or3_b32 v45, v45, v6, v46
	v_lshl_or_b32 v11, v11, 16, v12
	v_or3_b32 v6, v6, v47, v7
	v_and_b32_e32 v169, 0x1f00, v53
	v_perm_b32 v12, v14, v44, 0xc0c0105
	v_lshlrev_b16 v14, 8, v45
	v_lshlrev_b16 v53, 8, v53
	v_and_b32_e32 v7, 0x1f00, v13
	v_lshlrev_b16 v13, 8, v13
	v_lshrrev_b32_e32 v6, 16, v6
	v_and_b32_e32 v44, 0x1f00, v45
	v_add_nc_u16 v14, 0xf000, v14
	v_add_nc_u16 v169, 0xf000, v169
	;; [unrolled: 1-line block ×5, first 2 shown]
	v_and_b32_e32 v45, 0x1f00, v6
	v_ashrrev_i32_e32 v5, v90, v5
	v_lshlrev_b16 v6, 8, v6
	v_or_b32_sdwa v14, v44, v14 dst_sel:DWORD dst_unused:UNUSED_PAD src0_sel:DWORD src1_sel:BYTE_1
	v_perm_b32 v53, v53, v169, 0xc0c0105
	v_perm_b32 v7, v13, v7, 0xc0c0105
	v_add_nc_u16 v13, 0xf000, v45
	v_lshlrev_b32_e32 v44, 4, v5
	v_add_nc_u16 v6, 0xf000, v6
	v_add_nc_u16 v14, 0xf000, v14
	v_lshlrev_b32_e32 v45, 11, v5
	v_lshlrev_b32_e32 v47, 18, v5
	;; [unrolled: 1-line block ×3, first 2 shown]
	v_lshl_or_b32 v10, v10, 16, v53
	s_waitcnt vmcnt(16)
	v_and_b32_e32 v46, 0xf0f0f0f, v4
	v_and_b32_e32 v44, 16, v44
	;; [unrolled: 1-line block ×3, first 2 shown]
	v_perm_b32 v6, v6, v13, 0xc0c0105
	v_and_b32_e32 v13, 0xffff, v14
	v_and_b32_e32 v14, 0x100000, v47
	;; [unrolled: 1-line block ×3, first 2 shown]
	v_or3_b32 v44, v44, v46, v45
	ds_write2_b32 v23, v10, v11 offset1:1
	v_lshl_or_b32 v7, v7, 16, v12
	v_lshl_or_b32 v6, v6, 16, v13
	v_or3_b32 v10, v46, v14, v47
	v_lshrrev_b32_e32 v4, 4, v4
	v_lshlrev_b32_e32 v12, 2, v5
	v_lshlrev_b32_e32 v13, 9, v5
	v_and_b32_e32 v11, 0x1f00, v44
	v_lshrrev_b32_e32 v10, 16, v10
	v_and_b32_e32 v4, 0xf0f0f0f, v4
	v_and_b32_e32 v12, 0x100000, v12
	;; [unrolled: 1-line block ×3, first 2 shown]
	v_lshlrev_b16 v14, 8, v44
	v_lshrrev_b32_e32 v44, 12, v5
	v_lshrrev_b32_e32 v5, 5, v5
	v_add_nc_u16 v11, 0xf000, v11
	v_and_b32_e32 v45, 0x1f00, v10
	v_or3_b32 v12, v4, v12, v13
	v_lshlrev_b16 v10, 8, v10
	v_and_b32_e32 v13, 16, v44
	v_and_b32_e32 v5, 0x1000, v5
	v_add_nc_u16 v14, 0xf000, v14
	v_add_nc_u16 v44, 0xf000, v45
	v_add_nc_u16 v10, 0xf000, v10
	ds_write2_b32 v24, v7, v6 offset1:1
	v_or3_b32 v4, v13, v4, v5
	v_perm_b32 v6, v14, v11, 0xc0c0105
	s_waitcnt vmcnt(8)
	v_ashrrev_i32_e32 v11, v90, v37
	v_perm_b32 v7, v10, v44, 0xc0c0105
	v_and_b32_e32 v45, 0xf0f0f0f, v63
	v_lshlrev_b16 v10, 8, v4
	v_and_b32_e32 v4, 0x1f00, v4
	v_lshlrev_b32_e32 v13, 4, v11
	v_lshlrev_b32_e32 v14, 18, v11
	;; [unrolled: 1-line block ×4, first 2 shown]
	v_add_nc_u16 v10, 0xf000, v10
	v_and_b32_e32 v13, 16, v13
	v_and_b32_e32 v14, 0x100000, v14
	;; [unrolled: 1-line block ×4, first 2 shown]
	v_lshrrev_b32_e32 v12, 16, v12
	v_or_b32_sdwa v4, v4, v10 dst_sel:DWORD dst_unused:UNUSED_PAD src0_sel:DWORD src1_sel:BYTE_1
	v_lshl_or_b32 v46, v7, 16, v6
	v_or3_b32 v6, v45, v14, v37
	v_or3_b32 v7, v13, v45, v44
	v_lshrrev_b32_e32 v10, 4, v63
	v_lshlrev_b32_e32 v13, 2, v11
	v_lshlrev_b32_e32 v14, 9, v11
	v_lshrrev_b32_e32 v37, 12, v11
	v_lshrrev_b32_e32 v11, 5, v11
	v_and_b32_e32 v5, 0x1f00, v12
	v_lshlrev_b16 v12, 8, v12
	v_and_b32_e32 v10, 0xf0f0f0f, v10
	v_and_b32_e32 v13, 0x100000, v13
	;; [unrolled: 1-line block ×5, first 2 shown]
	v_add_nc_u16 v5, 0xf000, v5
	v_add_nc_u16 v12, 0xf000, v12
	v_or3_b32 v13, v10, v13, v14
	v_lshrrev_b32_e32 v6, 16, v6
	v_or3_b32 v10, v37, v10, v11
	v_ashrrev_i32_e32 v37, v90, v39
	v_perm_b32 v5, v12, v5, 0xc0c0105
	v_and_b32_e32 v12, 0x1f00, v7
	v_lshlrev_b16 v7, 8, v7
	v_lshrrev_b32_e32 v11, 16, v13
	v_lshlrev_b16 v13, 8, v10
	v_and_b32_e32 v14, 0x1f00, v6
	v_add_nc_u16 v12, 0xf000, v12
	v_add_nc_u16 v7, 0xf000, v7
	v_and_b32_e32 v10, 0x1f00, v10
	v_add_nc_u16 v13, 0xf000, v13
	v_lshlrev_b16 v6, 8, v6
	v_lshlrev_b32_e32 v45, 18, v37
	v_perm_b32 v7, v7, v12, 0xc0c0105
	v_add_nc_u16 v12, 0xf000, v14
	v_and_b32_e32 v14, 0x1f00, v11
	v_lshlrev_b16 v11, 8, v11
	v_or_b32_sdwa v10, v10, v13 dst_sel:DWORD dst_unused:UNUSED_PAD src0_sel:DWORD src1_sel:BYTE_1
	v_lshlrev_b32_e32 v47, 25, v37
	v_add_nc_u16 v4, 0xf000, v4
	v_add_nc_u16 v14, 0xf000, v14
	v_lshlrev_b32_e32 v39, 4, v37
	v_lshlrev_b32_e32 v13, 11, v37
	v_add_nc_u16 v11, 0xf000, v11
	v_add_nc_u16 v10, 0xf000, v10
	;; [unrolled: 1-line block ×3, first 2 shown]
	v_and_b32_e32 v44, 0xf0f0f0f, v64
	v_and_b32_e32 v45, 0x100000, v45
	;; [unrolled: 1-line block ×6, first 2 shown]
	v_perm_b32 v11, v11, v14, 0xc0c0105
	v_and_b32_e32 v10, 0xffff, v10
	v_perm_b32 v6, v6, v12, 0xc0c0105
	v_or3_b32 v12, v44, v45, v47
	v_or3_b32 v13, v39, v44, v13
	v_lshl_or_b32 v39, v5, 16, v4
	v_lshl_or_b32 v45, v11, 16, v10
	v_lshrrev_b32_e32 v4, 4, v64
	v_lshlrev_b32_e32 v5, 2, v37
	v_lshlrev_b32_e32 v10, 9, v37
	v_lshl_or_b32 v44, v6, 16, v7
	v_lshrrev_b32_e32 v6, 16, v12
	v_lshrrev_b32_e32 v11, 12, v37
	;; [unrolled: 1-line block ×3, first 2 shown]
	v_and_b32_e32 v14, 0x1f00, v13
	v_lshlrev_b16 v7, 8, v13
	v_and_b32_e32 v13, 0xf0f0f0f, v4
	v_and_b32_e32 v37, 0x100000, v5
	;; [unrolled: 1-line block ×3, first 2 shown]
	v_mad_u64_u32 v[4:5], null, v114, 22, s[0:1]
	v_and_b32_e32 v11, 16, v11
	v_and_b32_e32 v12, 0x1000, v12
	v_or3_b32 v10, v13, v37, v10
	v_add_nc_u16 v37, 0xf000, v7
	v_and_b32_e32 v47, 0x1f00, v6
	v_lshlrev_b16 v48, 8, v6
	v_or3_b32 v49, v11, v13, v12
	v_mad_i64_i32 v[6:7], null, v115, 22, v[4:5]
	v_mad_i64_i32 v[12:13], null, v122, 22, v[4:5]
	v_lshrrev_b32_e32 v50, 16, v10
	v_mad_i64_i32 v[10:11], null, v121, 22, v[4:5]
	v_mad_i64_i32 v[4:5], null, v123, 22, v[4:5]
	s_clause 0x3
	global_load_ushort v6, v[6:7], off
	global_load_ushort v7, v[10:11], off
	;; [unrolled: 1-line block ×4, first 2 shown]
	v_lshlrev_b16 v51, 8, v49
	v_and_b32_e32 v49, 0x1f00, v49
	v_add_nc_u16 v14, 0xf000, v14
	v_and_b32_e32 v52, 0x1f00, v50
	v_add_nc_u16 v5, 0xf000, v47
	v_add_nc_u16 v10, 0xf000, v51
	v_lshlrev_b16 v12, 8, v50
	v_add_nc_u16 v13, 0xf000, v48
	v_ashrrev_i32_e32 v17, v90, v17
	v_add_nc_u16 v47, 0xf000, v52
	v_or_b32_sdwa v10, v49, v10 dst_sel:DWORD dst_unused:UNUSED_PAD src0_sel:DWORD src1_sel:BYTE_1
	v_add_nc_u16 v12, 0xf000, v12
	v_perm_b32 v14, v37, v14, 0xc0c0105
	v_perm_b32 v5, v13, v5, 0xc0c0105
	v_lshlrev_b32_e32 v13, 4, v17
	v_add_nc_u16 v10, 0xf000, v10
	v_lshlrev_b32_e32 v37, 11, v17
	v_perm_b32 v12, v12, v47, 0xc0c0105
	v_and_b32_e32 v47, 0xf0f0f0f, v16
	v_and_b32_e32 v13, 16, v13
	;; [unrolled: 1-line block ×3, first 2 shown]
	v_lshlrev_b32_e32 v48, 18, v17
	v_lshlrev_b32_e32 v49, 25, v17
	v_and_b32_e32 v37, 0x1000, v37
	v_lshl_or_b32 v5, v5, 16, v14
	v_lshl_or_b32 v10, v12, 16, v10
	v_and_b32_e32 v12, 0x100000, v48
	v_and_b32_e32 v14, 0x10000000, v49
	v_or3_b32 v13, v13, v47, v37
	ds_write2_b32 v25, v46, v39 offset1:1
	ds_write2_b32 v26, v44, v45 offset1:1
	;; [unrolled: 1-line block ×3, first 2 shown]
	v_lshrrev_b32_e32 v37, 12, v17
	v_ashrrev_i32_e32 v3, v90, v3
	v_or3_b32 v5, v47, v12, v14
	v_and_b32_e32 v10, 0x1f00, v13
	v_lshlrev_b16 v12, 8, v13
	v_lshrrev_b32_e32 v13, 4, v16
	v_lshlrev_b32_e32 v14, 2, v17
	v_lshlrev_b32_e32 v16, 9, v17
	v_lshrrev_b32_e32 v17, 5, v17
	v_and_b32_e32 v37, 16, v37
	v_and_b32_e32 v13, 0xf0f0f0f, v13
	;; [unrolled: 1-line block ×5, first 2 shown]
	v_lshrrev_b32_e32 v5, 16, v5
	v_add_nc_u16 v10, 0xf000, v10
	v_add_nc_u16 v12, 0xf000, v12
	v_or3_b32 v14, v13, v14, v16
	v_or3_b32 v13, v37, v13, v17
	v_and_b32_e32 v16, 0x1f00, v5
	v_lshlrev_b16 v5, 8, v5
	v_perm_b32 v10, v12, v10, 0xc0c0105
	v_lshrrev_b32_e32 v14, 16, v14
	v_lshlrev_b16 v12, 8, v13
	v_add_nc_u16 v16, 0xf000, v16
	v_add_nc_u16 v5, 0xf000, v5
	v_and_b32_e32 v13, 0x1f00, v13
	v_and_b32_e32 v17, 0x1f00, v14
	v_add_nc_u16 v12, 0xf000, v12
	v_lshlrev_b32_e32 v37, 25, v3
	v_perm_b32 v5, v5, v16, 0xc0c0105
	v_lshlrev_b32_e32 v39, 11, v3
	v_add_nc_u16 v16, 0xf000, v17
	v_or_b32_sdwa v12, v13, v12 dst_sel:DWORD dst_unused:UNUSED_PAD src0_sel:DWORD src1_sel:BYTE_1
	v_lshlrev_b32_e32 v13, 4, v3
	v_lshlrev_b32_e32 v17, 18, v3
	v_lshlrev_b16 v14, 8, v14
	v_and_b32_e32 v44, 0xf0f0f0f, v2
	v_and_b32_e32 v37, 0x10000000, v37
	;; [unrolled: 1-line block ×5, first 2 shown]
	v_add_nc_u16 v14, 0xf000, v14
	v_lshl_or_b32 v5, v5, 16, v10
	v_lshrrev_b32_e32 v2, 4, v2
	v_or3_b32 v10, v44, v17, v37
	v_or3_b32 v13, v13, v44, v39
	v_lshlrev_b32_e32 v17, 2, v3
	v_lshlrev_b32_e32 v37, 9, v3
	v_lshrrev_b32_e32 v39, 12, v3
	v_lshrrev_b32_e32 v3, 5, v3
	v_perm_b32 v14, v14, v16, 0xc0c0105
	v_and_b32_e32 v16, 0x1f00, v13
	v_and_b32_e32 v2, 0xf0f0f0f, v2
	;; [unrolled: 1-line block ×4, first 2 shown]
	v_lshlrev_b16 v13, 8, v13
	v_and_b32_e32 v39, 16, v39
	v_and_b32_e32 v3, 0x1000, v3
	v_add_nc_u16 v12, 0xf000, v12
	v_lshrrev_b32_e32 v10, 16, v10
	v_add_nc_u16 v16, 0xf000, v16
	v_or3_b32 v17, v2, v17, v37
	v_add_nc_u16 v13, 0xf000, v13
	v_or3_b32 v2, v39, v2, v3
	v_and_b32_e32 v12, 0xffff, v12
	v_and_b32_e32 v37, 0x1f00, v10
	v_lshlrev_b16 v10, 8, v10
	v_perm_b32 v13, v13, v16, 0xc0c0105
	v_lshlrev_b16 v16, 8, v2
	v_lshl_or_b32 v3, v14, 16, v12
	v_lshrrev_b32_e32 v12, 16, v17
	v_add_nc_u16 v14, 0xf000, v37
	v_and_b32_e32 v2, 0x1f00, v2
	v_add_nc_u16 v16, 0xf000, v16
	s_waitcnt vmcnt(4)
	v_ashrrev_i32_e32 v37, v90, v43
	v_and_b32_e32 v17, 0x1f00, v12
	v_lshlrev_b16 v12, 8, v12
	v_add_nc_u16 v10, 0xf000, v10
	v_or_b32_sdwa v2, v2, v16 dst_sel:DWORD dst_unused:UNUSED_PAD src0_sel:DWORD src1_sel:BYTE_1
	v_lshlrev_b32_e32 v16, 4, v37
	v_lshlrev_b32_e32 v39, 11, v37
	;; [unrolled: 1-line block ×4, first 2 shown]
	v_add_nc_u16 v17, 0xf000, v17
	v_add_nc_u16 v12, 0xf000, v12
	v_and_b32_e32 v43, 0xf0f0f0f, v15
	v_and_b32_e32 v16, 16, v16
	;; [unrolled: 1-line block ×3, first 2 shown]
	v_add_nc_u16 v2, 0xf000, v2
	v_and_b32_e32 v44, 0x100000, v44
	v_and_b32_e32 v45, 0x10000000, v45
	v_perm_b32 v10, v10, v14, 0xc0c0105
	v_or3_b32 v14, v16, v43, v39
	v_perm_b32 v12, v12, v17, 0xc0c0105
	v_and_b32_e32 v2, 0xffff, v2
	v_or3_b32 v16, v43, v44, v45
	ds_write2_b32 v28, v5, v3 offset1:1
	v_and_b32_e32 v3, 0x1f00, v14
	v_lshl_or_b32 v5, v10, 16, v13
	v_lshl_or_b32 v2, v12, 16, v2
	v_lshrrev_b32_e32 v10, 16, v16
	v_lshrrev_b32_e32 v12, 4, v15
	v_lshlrev_b16 v13, 8, v14
	v_lshlrev_b32_e32 v14, 2, v37
	v_lshlrev_b32_e32 v15, 9, v37
	v_lshrrev_b32_e32 v16, 12, v37
	v_lshrrev_b32_e32 v17, 5, v37
	v_and_b32_e32 v12, 0xf0f0f0f, v12
	v_and_b32_e32 v14, 0x100000, v14
	;; [unrolled: 1-line block ×5, first 2 shown]
	v_add_nc_u16 v3, 0xf000, v3
	v_and_b32_e32 v37, 0x1f00, v10
	v_lshlrev_b16 v10, 8, v10
	v_or3_b32 v14, v12, v14, v15
	v_add_nc_u16 v13, 0xf000, v13
	v_or3_b32 v12, v16, v12, v17
	v_add_nc_u16 v15, 0xf000, v37
	v_add_nc_u16 v10, 0xf000, v10
	v_lshrrev_b32_e32 v14, 16, v14
	ds_write2_b32 v29, v5, v2 offset1:1
	v_perm_b32 v2, v13, v3, 0xc0c0105
	v_lshlrev_b16 v3, 8, v12
	v_perm_b32 v5, v10, v15, 0xc0c0105
	v_and_b32_e32 v10, 0x1f00, v14
	v_ashrrev_i32_e32 v13, v90, v42
	v_and_b32_e32 v12, 0x1f00, v12
	v_add_nc_u16 v3, 0xf000, v3
	v_lshl_or_b32 v2, v5, 16, v2
	v_add_nc_u16 v5, 0xf000, v10
	v_lshlrev_b32_e32 v10, 4, v13
	v_lshlrev_b16 v14, 8, v14
	v_or_b32_sdwa v3, v12, v3 dst_sel:DWORD dst_unused:UNUSED_PAD src0_sel:DWORD src1_sel:BYTE_1
	v_lshlrev_b32_e32 v12, 11, v13
	v_lshlrev_b32_e32 v16, 18, v13
	;; [unrolled: 1-line block ×3, first 2 shown]
	v_and_b32_e32 v15, 0xf0f0f0f, v38
	v_and_b32_e32 v10, 16, v10
	;; [unrolled: 1-line block ×3, first 2 shown]
	v_add_nc_u16 v14, 0xf000, v14
	v_and_b32_e32 v16, 0x100000, v16
	v_and_b32_e32 v17, 0x10000000, v17
	v_add_nc_u16 v3, 0xf000, v3
	v_or3_b32 v10, v10, v15, v12
	v_perm_b32 v5, v14, v5, 0xc0c0105
	v_lshrrev_b32_e32 v12, 4, v38
	v_or3_b32 v14, v15, v16, v17
	v_lshrrev_b32_e32 v16, 12, v13
	v_lshrrev_b32_e32 v17, 5, v13
	v_lshlrev_b32_e32 v37, 2, v13
	v_and_b32_e32 v12, 0xf0f0f0f, v12
	v_lshlrev_b32_e32 v13, 9, v13
	v_and_b32_e32 v16, 16, v16
	v_and_b32_e32 v17, 0x1000, v17
	;; [unrolled: 1-line block ×4, first 2 shown]
	v_lshlrev_b16 v10, 8, v10
	v_and_b32_e32 v37, 0x100000, v37
	v_and_b32_e32 v13, 0x10000000, v13
	v_or3_b32 v16, v16, v12, v17
	v_add_nc_u16 v15, 0xf000, v15
	v_add_nc_u16 v10, 0xf000, v10
	v_lshrrev_b32_e32 v14, 16, v14
	v_or3_b32 v12, v12, v37, v13
	v_lshl_or_b32 v3, v5, 16, v3
	v_lshlrev_b16 v5, 8, v16
	v_perm_b32 v10, v10, v15, 0xc0c0105
	v_and_b32_e32 v13, 0x1f00, v14
	v_lshrrev_b32_e32 v12, 16, v12
	v_and_b32_e32 v15, 0x1f00, v16
	v_add_nc_u16 v5, 0xf000, v5
	v_lshlrev_b16 v14, 8, v14
	v_add_nc_u16 v13, 0xf000, v13
	v_and_b32_e32 v16, 0x1f00, v12
	v_lshlrev_b16 v12, 8, v12
	v_or_b32_sdwa v5, v15, v5 dst_sel:DWORD dst_unused:UNUSED_PAD src0_sel:DWORD src1_sel:BYTE_1
	v_add_nc_u16 v14, 0xf000, v14
	v_ashrrev_i32_e32 v15, v90, v41
	v_add_nc_u16 v16, 0xf000, v16
	v_add_nc_u16 v12, 0xf000, v12
	v_add_nc_u16 v5, 0xf000, v5
	v_perm_b32 v13, v14, v13, 0xc0c0105
	v_lshlrev_b32_e32 v14, 4, v15
	v_lshlrev_b32_e32 v17, 11, v15
	v_perm_b32 v12, v12, v16, 0xc0c0105
	v_and_b32_e32 v5, 0xffff, v5
	v_and_b32_e32 v16, 0xf0f0f0f, v40
	;; [unrolled: 1-line block ×4, first 2 shown]
	v_lshlrev_b32_e32 v37, 25, v15
	v_lshl_or_b32 v10, v13, 16, v10
	v_lshlrev_b32_e32 v13, 18, v15
	v_lshl_or_b32 v5, v12, 16, v5
	v_or3_b32 v12, v14, v16, v17
	v_lshrrev_b32_e32 v14, 4, v40
	v_and_b32_e32 v17, 0x10000000, v37
	v_lshlrev_b32_e32 v37, 2, v15
	v_lshlrev_b32_e32 v38, 9, v15
	v_and_b32_e32 v13, 0x100000, v13
	v_and_b32_e32 v14, 0xf0f0f0f, v14
	v_lshrrev_b32_e32 v39, 12, v15
	v_lshrrev_b32_e32 v15, 5, v15
	v_and_b32_e32 v37, 0x100000, v37
	v_and_b32_e32 v38, 0x10000000, v38
	v_or3_b32 v13, v16, v13, v17
	v_and_b32_e32 v16, 16, v39
	v_and_b32_e32 v15, 0x1000, v15
	;; [unrolled: 1-line block ×3, first 2 shown]
	v_or3_b32 v37, v14, v37, v38
	v_lshrrev_b32_e32 v13, 16, v13
	v_lshlrev_b16 v12, 8, v12
	v_or3_b32 v14, v16, v14, v15
	v_add_nc_u16 v15, 0xf000, v17
	v_lshrrev_b32_e32 v16, 16, v37
	v_and_b32_e32 v17, 0x1f00, v13
	v_lshlrev_b16 v13, 8, v13
	v_lshlrev_b16 v37, 8, v14
	v_add_nc_u16 v12, 0xf000, v12
	v_and_b32_e32 v38, 0x1f00, v16
	v_lshlrev_b16 v16, 8, v16
	v_and_b32_e32 v14, 0x1f00, v14
	v_add_nc_u16 v37, 0xf000, v37
	v_add_nc_u16 v17, 0xf000, v17
	;; [unrolled: 1-line block ×5, first 2 shown]
	v_ashrrev_i32_e32 v9, v90, v9
	v_or_b32_sdwa v14, v14, v37 dst_sel:DWORD dst_unused:UNUSED_PAD src0_sel:DWORD src1_sel:BYTE_1
	v_perm_b32 v12, v12, v15, 0xc0c0105
	v_perm_b32 v13, v13, v17, 0xc0c0105
	;; [unrolled: 1-line block ×3, first 2 shown]
	v_lshlrev_b32_e32 v16, 4, v9
	v_lshlrev_b32_e32 v17, 11, v9
	v_and_b32_e32 v37, 0xf0f0f0f, v8
	v_lshlrev_b32_e32 v38, 18, v9
	v_lshlrev_b32_e32 v39, 25, v9
	v_lshrrev_b32_e32 v8, 4, v8
	v_lshrrev_b32_e32 v40, 12, v9
	;; [unrolled: 1-line block ×3, first 2 shown]
	v_and_b32_e32 v16, 16, v16
	v_and_b32_e32 v17, 0x1000, v17
	;; [unrolled: 1-line block ×5, first 2 shown]
	v_lshlrev_b32_e32 v42, 2, v9
	v_lshlrev_b32_e32 v9, 9, v9
	v_and_b32_e32 v40, 16, v40
	v_and_b32_e32 v41, 0x1000, v41
	v_or3_b32 v16, v16, v37, v17
	v_and_b32_e32 v17, 0x100000, v42
	v_and_b32_e32 v9, 0x10000000, v9
	v_or3_b32 v37, v37, v38, v39
	v_or3_b32 v38, v40, v8, v41
	v_and_b32_e32 v39, 0x1f00, v16
	v_lshlrev_b16 v16, 8, v16
	v_or3_b32 v8, v8, v17, v9
	v_lshrrev_b32_e32 v9, 16, v37
	v_lshlrev_b16 v17, 8, v38
	v_and_b32_e32 v38, 0x1f00, v38
	v_add_nc_u16 v37, 0xf000, v39
	v_lshrrev_b32_e32 v8, 16, v8
	v_and_b32_e32 v39, 0x1f00, v9
	v_add_nc_u16 v17, 0xf000, v17
	v_lshlrev_b16 v9, 8, v9
	v_add_nc_u16 v16, 0xf000, v16
	v_and_b32_e32 v40, 0x1f00, v8
	v_lshlrev_b16 v8, 8, v8
	v_or_b32_sdwa v17, v38, v17 dst_sel:DWORD dst_unused:UNUSED_PAD src0_sel:DWORD src1_sel:BYTE_1
	v_add_nc_u16 v38, 0xf000, v39
	v_add_nc_u16 v9, 0xf000, v9
	;; [unrolled: 1-line block ×6, first 2 shown]
	v_perm_b32 v16, v16, v37, 0xc0c0105
	v_perm_b32 v9, v9, v38, 0xc0c0105
	;; [unrolled: 1-line block ×3, first 2 shown]
	v_and_b32_e32 v17, 0xffff, v17
	v_and_b32_e32 v14, 0xffff, v14
	ds_write2_b32 v30, v2, v3 offset1:1
	v_lshl_or_b32 v2, v9, 16, v16
	v_lshl_or_b32 v12, v13, 16, v12
	;; [unrolled: 1-line block ×4, first 2 shown]
	ds_write2_b32 v31, v10, v5 offset1:1
	ds_write2_b32 v32, v12, v13 offset1:1
	s_waitcnt vmcnt(3)
	v_cvt_f32_f16_e32 v5, v6
	ds_write2_b32 v33, v2, v3 offset1:1
	s_waitcnt vmcnt(1)
	v_cvt_f32_f16_e32 v2, v11
	v_cvt_f32_f16_e32 v6, v7
	s_waitcnt vmcnt(0)
	v_cvt_f32_f16_e32 v3, v4
	ds_write_b32 v148, v5
	ds_write_b32 v149, v6
	;; [unrolled: 1-line block ×4, first 2 shown]
	s_cbranch_scc0 .LBB122_5
; %bb.7:                                ;   in Loop: Header=BB122_6 Depth=1
	v_add_nc_u32_e32 v14, s11, v106
	v_add_nc_u32_e32 v159, s11, v34
	;; [unrolled: 1-line block ×3, first 2 shown]
	v_mov_b32_e32 v161, v142
	v_mov_b32_e32 v162, v135
	v_add_nc_u32_e32 v2, v14, v126
	v_add_nc_u32_e32 v4, v14, v128
	;; [unrolled: 1-line block ×5, first 2 shown]
	v_mad_u64_u32 v[12:13], null, v159, 36, s[2:3]
	v_mad_i64_i32 v[2:3], null, v2, 36, v[35:36]
	v_add_nc_u32_e32 v15, v14, v132
	v_mad_i64_i32 v[4:5], null, v4, 36, v[35:36]
	v_add_nc_u32_e32 v16, v14, v133
	;; [unrolled: 2-line block ×3, first 2 shown]
	v_mad_i64_i32 v[8:9], null, v8, 36, v[35:36]
	v_mad_i64_i32 v[10:11], null, v10, 36, v[35:36]
	;; [unrolled: 1-line block ×5, first 2 shown]
	s_clause 0x8
	global_load_dword v12, v[12:13], off
	global_load_dword v2, v[2:3], off offset:4
	global_load_dword v3, v[4:5], off offset:4
	;; [unrolled: 1-line block ×8, first 2 shown]
	v_mov_b32_e32 v163, v141
	v_mov_b32_e32 v164, v140
	;; [unrolled: 1-line block ×5, first 2 shown]
	s_mov_b32 s0, -4
	s_waitcnt vmcnt(8)
	v_cvt_f32_f16_e32 v10, v12
	s_waitcnt vmcnt(7)
	ds_write_b32 v160, v2
	s_waitcnt vmcnt(6)
	ds_write_b32 v152, v3
	;; [unrolled: 2-line block ×8, first 2 shown]
	ds_write_b32 v125, v10
	s_waitcnt lgkmcnt(0)
	s_barrier
	buffer_gl0_inv
.LBB122_8:                              ;   Parent Loop BB122_6 Depth=1
                                        ; =>  This Inner Loop Header: Depth=2
	v_add_nc_u32_e32 v10, 0x2080, v162
	ds_read_b128 v[6:9], v161
	ds_read2_b32 v[37:38], v162 offset1:1
	ds_read_b128 v[2:5], v161 offset:16
	v_mov_b32_e32 v169, 0
	v_mov_b32_e32 v168, 0
	ds_read2_b32 v[39:40], v10 offset1:1
	v_add_nc_u32_e32 v10, 0x4100, v162
	v_mov_b32_e32 v170, 0
	v_mov_b32_e32 v171, 0
	;; [unrolled: 1-line block ×3, first 2 shown]
	ds_read2_b32 v[47:48], v162 offset0:2 offset1:3
	ds_read2_b32 v[41:42], v10 offset1:1
	v_add_nc_u32_e32 v10, 0x6180, v162
	v_mov_b32_e32 v173, 0
	v_mov_b32_e32 v174, 0
	ds_read2_b32 v[57:58], v162 offset0:4 offset1:5
	v_mov_b32_e32 v175, 0
	ds_read2_b32 v[49:50], v10 offset1:1
	v_mov_b32_e32 v176, 0
	v_mov_b32_e32 v198, 0
	;; [unrolled: 1-line block ×3, first 2 shown]
	s_waitcnt lgkmcnt(6)
	v_dot4c_i32_i8 v169, v37, v6
	s_add_i32 s0, s0, 4
	ds_read_b128 v[13:16], v161 offset:2048
	s_cmp_lt_u32 s0, 12
	s_waitcnt lgkmcnt(5)
	v_dot4c_i32_i8 v168, v39, v6
	v_dot4c_i32_i8 v169, v38, v2
	ds_read_b128 v[177:180], v161 offset:3072
	ds_read_b128 v[182:185], v161 offset:4112
	;; [unrolled: 1-line block ×3, first 2 shown]
	v_dot4c_i32_i8 v168, v40, v2
	s_waitcnt lgkmcnt(6)
	v_dot4c_i32_i8 v170, v41, v6
	v_dot4c_i32_i8 v169, v47, v7
	ds_read_b128 v[190:193], v161 offset:6160
	ds_read_b128 v[194:197], v161 offset:7184
	v_dot4c_i32_i8 v170, v42, v2
	s_waitcnt lgkmcnt(6)
	v_dot4c_i32_i8 v171, v49, v6
	v_dot4c_i32_i8 v169, v48, v3
	;; [unrolled: 1-line block ×3, first 2 shown]
	v_add_nc_u32_e32 v2, 0x2088, v162
	v_dot4c_i32_i8 v169, v57, v8
	s_waitcnt lgkmcnt(5)
	v_dot4c_i32_i8 v175, v49, v13
	s_waitcnt lgkmcnt(4)
	v_dot4c_i32_i8 v176, v49, v177
	ds_read2_b32 v[51:52], v2 offset1:1
	v_add_nc_u32_e32 v2, 0x4108, v162
	v_dot4c_i32_i8 v169, v58, v4
	ds_read2_b32 v[55:56], v2 offset1:1
	v_add_nc_u32_e32 v2, 0x6188, v162
	ds_read2_b32 v[59:60], v2 offset1:1
	v_add_nc_u32_e32 v2, 0x2090, v162
	;; [unrolled: 2-line block ×3, first 2 shown]
	s_waitcnt lgkmcnt(3)
	v_dot4c_i32_i8 v168, v51, v7
	ds_read2_b32 v[63:64], v2 offset1:1
	v_add_nc_u32_e32 v2, 0x6190, v162
	s_waitcnt lgkmcnt(3)
	v_dot4c_i32_i8 v170, v55, v7
	v_dot4c_i32_i8 v168, v52, v3
	ds_read2_b32 v[65:66], v2 offset1:1
	v_dot4c_i32_i8 v170, v56, v3
	s_waitcnt lgkmcnt(3)
	v_dot4c_i32_i8 v171, v59, v7
	v_dot4c_i32_i8 v171, v60, v3
	s_waitcnt lgkmcnt(2)
	v_dot4c_i32_i8 v168, v61, v8
	ds_read2_b32 v[2:3], v162 offset0:6 offset1:7
	v_dot4c_i32_i8 v168, v62, v4
	s_waitcnt lgkmcnt(2)
	v_dot4c_i32_i8 v170, v63, v8
	v_dot4c_i32_i8 v170, v64, v4
	s_waitcnt lgkmcnt(1)
	v_dot4c_i32_i8 v171, v65, v8
	v_dot4c_i32_i8 v171, v66, v4
	v_add_nc_u32_e32 v4, 0x2098, v162
	ds_read2_b32 v[43:44], v4 offset1:1
	v_add_nc_u32_e32 v4, 0x4118, v162
	s_waitcnt lgkmcnt(1)
	v_dot4c_i32_i8 v169, v2, v9
	ds_read2_b32 v[45:46], v4 offset1:1
	v_add_nc_u32_e32 v4, 0x6198, v162
	v_dot4c_i32_i8 v169, v3, v5
	v_add_nc_u32_e32 v162, 32, v162
	ds_read2_b32 v[53:54], v4 offset1:1
	v_mov_b32_e32 v4, 0
	s_waitcnt lgkmcnt(2)
	v_dot4c_i32_i8 v168, v43, v9
	v_dot4c_i32_i8 v168, v44, v5
	s_waitcnt lgkmcnt(1)
	v_dot4c_i32_i8 v170, v45, v9
	v_dot4c_i32_i8 v170, v46, v5
	s_waitcnt lgkmcnt(0)
	v_dot4c_i32_i8 v171, v53, v9
	ds_read_b128 v[9:12], v161 offset:1024
	v_dot4c_i32_i8 v171, v54, v5
	s_waitcnt lgkmcnt(0)
	v_dot4c_i32_i8 v4, v37, v9
	v_dot4c_i32_i8 v172, v39, v9
	;; [unrolled: 1-line block ×4, first 2 shown]
	ds_read_b128 v[6:9], v161 offset:1040
	s_waitcnt lgkmcnt(0)
	v_dot4c_i32_i8 v4, v38, v6
	v_dot4c_i32_i8 v172, v40, v6
	v_dot4c_i32_i8 v173, v42, v6
	v_dot4c_i32_i8 v174, v50, v6
	v_mov_b32_e32 v6, 0
	v_dot4c_i32_i8 v4, v47, v10
	v_dot4c_i32_i8 v172, v51, v10
	v_dot4c_i32_i8 v173, v55, v10
	v_dot4c_i32_i8 v174, v59, v10
	v_dot4c_i32_i8 v6, v37, v13
	v_dot4c_i32_i8 v4, v48, v7
	v_dot4c_i32_i8 v172, v52, v7
	v_dot4c_i32_i8 v173, v56, v7
	v_dot4c_i32_i8 v174, v60, v7
	v_mov_b32_e32 v7, 0
	v_dot4c_i32_i8 v4, v57, v11
	v_dot4c_i32_i8 v172, v61, v11
	v_dot4c_i32_i8 v173, v63, v11
	v_dot4c_i32_i8 v174, v65, v11
	v_dot4c_i32_i8 v7, v39, v13
	;; [unrolled: 10-line block ×3, first 2 shown]
	ds_read_b128 v[10:13], v161 offset:2064
	v_dot4c_i32_i8 v4, v3, v9
	v_dot4c_i32_i8 v172, v44, v9
	;; [unrolled: 1-line block ×4, first 2 shown]
	v_cvt_f32_i32_e32 v4, v4
	s_waitcnt lgkmcnt(0)
	v_dot4c_i32_i8 v6, v38, v10
	v_dot4c_i32_i8 v7, v40, v10
	;; [unrolled: 1-line block ×4, first 2 shown]
	v_mov_b32_e32 v10, 0
	v_dot4c_i32_i8 v6, v47, v14
	v_dot4c_i32_i8 v7, v51, v14
	;; [unrolled: 1-line block ×9, first 2 shown]
	v_mov_b32_e32 v11, 0
	v_dot4c_i32_i8 v6, v57, v15
	v_dot4c_i32_i8 v7, v61, v15
	;; [unrolled: 1-line block ×9, first 2 shown]
	v_mov_b32_e32 v12, 0
	v_dot4c_i32_i8 v6, v2, v16
	v_dot4c_i32_i8 v7, v43, v16
	;; [unrolled: 1-line block ×4, first 2 shown]
	ds_read_b128 v[14:17], v161 offset:3088
	v_dot4c_i32_i8 v12, v41, v177
	v_mov_b32_e32 v177, 0
	v_dot4c_i32_i8 v6, v3, v13
	v_dot4c_i32_i8 v7, v44, v13
	;; [unrolled: 1-line block ×4, first 2 shown]
	s_waitcnt lgkmcnt(0)
	v_dot4c_i32_i8 v10, v38, v14
	v_dot4c_i32_i8 v11, v40, v14
	v_dot4c_i32_i8 v12, v42, v14
	v_dot4c_i32_i8 v176, v50, v14
	v_mov_b32_e32 v14, 0
	v_dot4c_i32_i8 v10, v47, v178
	v_dot4c_i32_i8 v11, v51, v178
	v_dot4c_i32_i8 v12, v55, v178
	v_dot4c_i32_i8 v176, v59, v178
	v_dot4c_i32_i8 v10, v48, v15
	v_dot4c_i32_i8 v11, v52, v15
	v_dot4c_i32_i8 v12, v56, v15
	v_dot4c_i32_i8 v176, v60, v15
	v_mov_b32_e32 v15, 0
	v_dot4c_i32_i8 v10, v57, v179
	v_dot4c_i32_i8 v11, v61, v179
	v_dot4c_i32_i8 v12, v63, v179
	v_dot4c_i32_i8 v176, v65, v179
	v_dot4c_i32_i8 v10, v58, v16
	v_dot4c_i32_i8 v11, v62, v16
	v_dot4c_i32_i8 v12, v64, v16
	v_dot4c_i32_i8 v176, v66, v16
	v_mov_b32_e32 v16, 0
	v_dot4c_i32_i8 v10, v2, v180
	v_dot4c_i32_i8 v11, v43, v180
	v_dot4c_i32_i8 v12, v45, v180
	v_dot4c_i32_i8 v176, v53, v180
	ds_read_b128 v[178:181], v161 offset:4096
	v_dot4c_i32_i8 v10, v3, v17
	v_dot4c_i32_i8 v11, v44, v17
	v_dot4c_i32_i8 v12, v46, v17
	v_dot4c_i32_i8 v176, v54, v17
	s_waitcnt lgkmcnt(0)
	v_dot4c_i32_i8 v14, v37, v178
	v_dot4c_i32_i8 v15, v39, v178
	v_dot4c_i32_i8 v16, v41, v178
	v_dot4c_i32_i8 v177, v49, v178
	v_dot4c_i32_i8 v14, v38, v182
	v_dot4c_i32_i8 v15, v40, v182
	v_dot4c_i32_i8 v16, v42, v182
	v_dot4c_i32_i8 v177, v50, v182
	v_mov_b32_e32 v182, 0
	v_dot4c_i32_i8 v14, v47, v179
	v_dot4c_i32_i8 v15, v51, v179
	v_dot4c_i32_i8 v16, v55, v179
	v_dot4c_i32_i8 v177, v59, v179
	v_dot4c_i32_i8 v14, v48, v183
	v_dot4c_i32_i8 v15, v52, v183
	v_dot4c_i32_i8 v16, v56, v183
	v_dot4c_i32_i8 v177, v60, v183
	v_mov_b32_e32 v183, 0
	v_dot4c_i32_i8 v14, v57, v180
	v_dot4c_i32_i8 v15, v61, v180
	v_dot4c_i32_i8 v16, v63, v180
	v_dot4c_i32_i8 v177, v65, v180
	v_dot4c_i32_i8 v14, v58, v184
	v_dot4c_i32_i8 v15, v62, v184
	v_dot4c_i32_i8 v16, v64, v184
	v_dot4c_i32_i8 v177, v66, v184
	v_mov_b32_e32 v184, 0
	v_dot4c_i32_i8 v14, v2, v181
	v_dot4c_i32_i8 v15, v43, v181
	v_dot4c_i32_i8 v16, v45, v181
	v_dot4c_i32_i8 v177, v53, v181
	ds_read_b128 v[178:181], v161 offset:5120
	v_dot4c_i32_i8 v14, v3, v185
	v_dot4c_i32_i8 v15, v44, v185
	v_dot4c_i32_i8 v16, v46, v185
	v_dot4c_i32_i8 v177, v54, v185
	s_waitcnt lgkmcnt(0)
	v_dot4c_i32_i8 v182, v37, v178
	v_dot4c_i32_i8 v183, v39, v178
	v_dot4c_i32_i8 v184, v41, v178
	v_dot4c_i32_i8 v198, v49, v178
	;; [unrolled: 37-line block ×3, first 2 shown]
	v_dot4c_i32_i8 v186, v38, v190
	v_dot4c_i32_i8 v187, v40, v190
	;; [unrolled: 1-line block ×4, first 2 shown]
	v_mov_b32_e32 v190, 0
	v_dot4c_i32_i8 v186, v47, v179
	v_dot4c_i32_i8 v187, v51, v179
	;; [unrolled: 1-line block ×20, first 2 shown]
	ds_read_b128 v[178:181], v161 offset:7168
	v_dot4c_i32_i8 v186, v3, v193
	v_dot4c_i32_i8 v187, v44, v193
	;; [unrolled: 1-line block ×4, first 2 shown]
	v_add_nc_u32_e32 v161, 32, v161
	s_waitcnt lgkmcnt(0)
	v_dot4c_i32_i8 v190, v37, v178
	v_mov_b32_e32 v37, 0
	v_dot4c_i32_i8 v190, v38, v194
	v_mov_b32_e32 v38, 0
	;; [unrolled: 2-line block ×3, first 2 shown]
	v_dot4c_i32_i8 v190, v47, v179
	v_dot4c_i32_i8 v38, v41, v178
	;; [unrolled: 1-line block ×21, first 2 shown]
	ds_read_b32 v5, v164
	ds_read_b32 v9, v165
	;; [unrolled: 1-line block ×4, first 2 shown]
	ds_read2_b32 v[2:3], v163 offset1:32
	v_dot4c_i32_i8 v38, v64, v196
	v_dot4c_i32_i8 v37, v43, v181
	;; [unrolled: 1-line block ×3, first 2 shown]
	v_add_nc_u32_e32 v167, 4, v167
	v_add_nc_u32_e32 v166, 4, v166
	v_dot4c_i32_i8 v38, v45, v181
	v_dot4c_i32_i8 v37, v44, v197
	;; [unrolled: 1-line block ×3, first 2 shown]
	v_add_nc_u32_e32 v165, 4, v165
	v_add_nc_u32_e32 v164, 4, v164
	v_dot4c_i32_i8 v38, v46, v197
	v_dot4c_i32_i8 v39, v54, v197
	s_waitcnt lgkmcnt(0)
	v_mul_f32_e32 v40, v2, v5
	v_mul_f32_e32 v41, v2, v9
	v_mul_f32_e32 v42, v2, v13
	v_mul_f32_e32 v43, v2, v17
	v_mul_f32_e32 v44, v5, v3
	v_mul_f32_e32 v45, v9, v3
	v_mul_f32_e32 v46, v13, v3
	v_mul_f32_e32 v47, v17, v3
	ds_read2_b32 v[2:3], v163 offset0:64 offset1:96
	v_fmac_f32_e32 v117, v44, v4
	v_cvt_f32_i32_e32 v4, v6
	v_cvt_f32_i32_e32 v6, v188
	s_waitcnt lgkmcnt(0)
	v_mul_f32_e32 v48, v5, v2
	v_mul_f32_e32 v49, v9, v2
	;; [unrolled: 1-line block ×8, first 2 shown]
	ds_read2_b32 v[2:3], v163 offset0:128 offset1:160
	v_fmac_f32_e32 v105, v48, v4
	v_cvt_f32_i32_e32 v4, v10
	v_cvt_f32_i32_e32 v10, v38
	v_fmac_f32_e32 v89, v52, v4
	v_cvt_f32_i32_e32 v4, v14
	s_waitcnt lgkmcnt(0)
	v_mul_f32_e32 v56, v5, v2
	v_mul_f32_e32 v57, v9, v2
	;; [unrolled: 1-line block ×8, first 2 shown]
	ds_read2_b32 v[2:3], v163 offset0:192 offset1:224
	v_fmac_f32_e32 v84, v56, v4
	v_cvt_f32_i32_e32 v4, v182
	v_add_nc_u32_e32 v163, 4, v163
	v_fmac_f32_e32 v78, v60, v4
	v_cvt_f32_i32_e32 v4, v186
	s_waitcnt lgkmcnt(0)
	v_mul_f32_e32 v64, v5, v2
	v_mul_f32_e32 v5, v5, v3
	;; [unrolled: 1-line block ×5, first 2 shown]
	v_fmac_f32_e32 v74, v64, v4
	v_cvt_f32_i32_e32 v4, v190
	v_mul_f32_e32 v13, v13, v3
	v_mul_f32_e32 v2, v17, v2
	;; [unrolled: 1-line block ×3, first 2 shown]
	v_cvt_f32_i32_e32 v17, v169
	v_fmac_f32_e32 v70, v5, v4
	v_cvt_f32_i32_e32 v4, v168
	v_cvt_f32_i32_e32 v5, v187
	v_fmac_f32_e32 v72, v66, v6
	v_fmac_f32_e32 v81, v40, v17
	;; [unrolled: 1-line block ×4, first 2 shown]
	v_cvt_f32_i32_e32 v4, v170
	v_fmac_f32_e32 v73, v65, v5
	v_fmac_f32_e32 v119, v42, v4
	v_cvt_f32_i32_e32 v4, v171
	v_fmac_f32_e32 v118, v43, v4
	v_cvt_f32_i32_e32 v4, v172
	;; [unrolled: 2-line block ×5, first 2 shown]
	v_cvt_f32_i32_e32 v7, v199
	v_fmac_f32_e32 v101, v49, v4
	v_cvt_f32_i32_e32 v4, v8
	v_cvt_f32_i32_e32 v8, v37
	v_fmac_f32_e32 v71, v2, v7
	v_fmac_f32_e32 v97, v50, v4
	v_cvt_f32_i32_e32 v4, v175
	v_fmac_f32_e32 v69, v9, v8
	v_fmac_f32_e32 v94, v51, v4
	v_cvt_f32_i32_e32 v4, v11
	v_cvt_f32_i32_e32 v11, v39
	v_fmac_f32_e32 v88, v53, v4
	v_cvt_f32_i32_e32 v4, v12
	v_fmac_f32_e32 v67, v3, v11
	v_fmac_f32_e32 v86, v54, v4
	v_cvt_f32_i32_e32 v4, v176
	v_fmac_f32_e32 v85, v55, v4
	v_cvt_f32_i32_e32 v4, v15
	;; [unrolled: 2-line block ×7, first 2 shown]
	v_fmac_f32_e32 v75, v63, v4
	s_cbranch_scc1 .LBB122_8
; %bb.9:                                ;   in Loop: Header=BB122_6 Depth=1
	s_and_b32 s0, s9, -4
	s_cmp_eq_u32 s0, 4
	s_barrier
	buffer_gl0_inv
	s_cbranch_scc1 .LBB122_5
; %bb.10:                               ;   in Loop: Header=BB122_6 Depth=1
	v_add_nc_u32_e32 v14, s11, v136
	v_add_nc_u32_e32 v12, 4, v159
	v_mov_b32_e32 v159, v141
	v_mov_b32_e32 v161, v142
	;; [unrolled: 1-line block ×3, first 2 shown]
	v_add_nc_u32_e32 v2, v14, v126
	v_add_nc_u32_e32 v4, v14, v128
	;; [unrolled: 1-line block ×5, first 2 shown]
	v_mad_u64_u32 v[12:13], null, v12, 36, s[2:3]
	v_mad_i64_i32 v[2:3], null, v2, 36, v[35:36]
	v_add_nc_u32_e32 v15, v14, v132
	v_mad_i64_i32 v[4:5], null, v4, 36, v[35:36]
	v_add_nc_u32_e32 v16, v14, v133
	;; [unrolled: 2-line block ×3, first 2 shown]
	v_mad_i64_i32 v[8:9], null, v8, 36, v[35:36]
	v_mad_i64_i32 v[10:11], null, v10, 36, v[35:36]
	;; [unrolled: 1-line block ×5, first 2 shown]
	s_clause 0x8
	global_load_dword v12, v[12:13], off
	global_load_dword v2, v[2:3], off offset:4
	global_load_dword v3, v[4:5], off offset:4
	;; [unrolled: 1-line block ×8, first 2 shown]
	v_mov_b32_e32 v163, v146
	v_mov_b32_e32 v164, v145
	;; [unrolled: 1-line block ×4, first 2 shown]
	s_mov_b32 s0, 12
	s_waitcnt vmcnt(8)
	v_cvt_f32_f16_e32 v10, v12
	s_waitcnt vmcnt(7)
	ds_write_b32 v160, v2
	s_waitcnt vmcnt(6)
	ds_write_b32 v152, v3
	;; [unrolled: 2-line block ×8, first 2 shown]
	ds_write_b32 v125, v10
	s_waitcnt lgkmcnt(0)
	s_barrier
	buffer_gl0_inv
.LBB122_11:                             ;   Parent Loop BB122_6 Depth=1
                                        ; =>  This Inner Loop Header: Depth=2
	v_add_nc_u32_e32 v10, 0x2080, v162
	ds_read_b128 v[6:9], v161
	ds_read2_b32 v[37:38], v162 offset1:1
	ds_read_b128 v[2:5], v161 offset:16
	v_mov_b32_e32 v167, 0
	v_mov_b32_e32 v160, 0
	ds_read2_b32 v[39:40], v10 offset1:1
	v_add_nc_u32_e32 v10, 0x4100, v162
	v_mov_b32_e32 v168, 0
	v_mov_b32_e32 v169, 0
	;; [unrolled: 1-line block ×3, first 2 shown]
	ds_read2_b32 v[47:48], v162 offset0:2 offset1:3
	ds_read2_b32 v[41:42], v10 offset1:1
	v_add_nc_u32_e32 v10, 0x6180, v162
	v_mov_b32_e32 v171, 0
	v_mov_b32_e32 v172, 0
	ds_read2_b32 v[57:58], v162 offset0:4 offset1:5
	v_mov_b32_e32 v173, 0
	ds_read2_b32 v[49:50], v10 offset1:1
	v_mov_b32_e32 v174, 0
	v_mov_b32_e32 v196, 0
	;; [unrolled: 1-line block ×3, first 2 shown]
	s_waitcnt lgkmcnt(6)
	v_dot4c_i32_i8 v167, v37, v6
	s_add_i32 s0, s0, 4
	ds_read_b128 v[13:16], v161 offset:2048
	s_cmp_lt_u32 s0, 28
	s_waitcnt lgkmcnt(5)
	v_dot4c_i32_i8 v160, v39, v6
	v_dot4c_i32_i8 v167, v38, v2
	ds_read_b128 v[175:178], v161 offset:3072
	ds_read_b128 v[180:183], v161 offset:4112
	;; [unrolled: 1-line block ×3, first 2 shown]
	v_dot4c_i32_i8 v160, v40, v2
	s_waitcnt lgkmcnt(6)
	v_dot4c_i32_i8 v168, v41, v6
	v_dot4c_i32_i8 v167, v47, v7
	ds_read_b128 v[188:191], v161 offset:6160
	ds_read_b128 v[192:195], v161 offset:7184
	v_dot4c_i32_i8 v168, v42, v2
	s_waitcnt lgkmcnt(6)
	v_dot4c_i32_i8 v169, v49, v6
	v_dot4c_i32_i8 v167, v48, v3
	;; [unrolled: 1-line block ×3, first 2 shown]
	v_add_nc_u32_e32 v2, 0x2088, v162
	v_dot4c_i32_i8 v167, v57, v8
	s_waitcnt lgkmcnt(5)
	v_dot4c_i32_i8 v173, v49, v13
	s_waitcnt lgkmcnt(4)
	v_dot4c_i32_i8 v174, v49, v175
	ds_read2_b32 v[51:52], v2 offset1:1
	v_add_nc_u32_e32 v2, 0x4108, v162
	v_dot4c_i32_i8 v167, v58, v4
	ds_read2_b32 v[55:56], v2 offset1:1
	v_add_nc_u32_e32 v2, 0x6188, v162
	ds_read2_b32 v[59:60], v2 offset1:1
	v_add_nc_u32_e32 v2, 0x2090, v162
	;; [unrolled: 2-line block ×3, first 2 shown]
	s_waitcnt lgkmcnt(3)
	v_dot4c_i32_i8 v160, v51, v7
	ds_read2_b32 v[63:64], v2 offset1:1
	v_add_nc_u32_e32 v2, 0x6190, v162
	s_waitcnt lgkmcnt(3)
	v_dot4c_i32_i8 v168, v55, v7
	v_dot4c_i32_i8 v160, v52, v3
	ds_read2_b32 v[65:66], v2 offset1:1
	v_dot4c_i32_i8 v168, v56, v3
	s_waitcnt lgkmcnt(3)
	v_dot4c_i32_i8 v169, v59, v7
	v_dot4c_i32_i8 v169, v60, v3
	s_waitcnt lgkmcnt(2)
	v_dot4c_i32_i8 v160, v61, v8
	ds_read2_b32 v[2:3], v162 offset0:6 offset1:7
	v_dot4c_i32_i8 v160, v62, v4
	s_waitcnt lgkmcnt(2)
	v_dot4c_i32_i8 v168, v63, v8
	v_dot4c_i32_i8 v168, v64, v4
	s_waitcnt lgkmcnt(1)
	v_dot4c_i32_i8 v169, v65, v8
	v_dot4c_i32_i8 v169, v66, v4
	v_add_nc_u32_e32 v4, 0x2098, v162
	ds_read2_b32 v[43:44], v4 offset1:1
	v_add_nc_u32_e32 v4, 0x4118, v162
	s_waitcnt lgkmcnt(1)
	v_dot4c_i32_i8 v167, v2, v9
	ds_read2_b32 v[45:46], v4 offset1:1
	v_add_nc_u32_e32 v4, 0x6198, v162
	v_dot4c_i32_i8 v167, v3, v5
	v_add_nc_u32_e32 v162, 32, v162
	ds_read2_b32 v[53:54], v4 offset1:1
	v_mov_b32_e32 v4, 0
	s_waitcnt lgkmcnt(2)
	v_dot4c_i32_i8 v160, v43, v9
	v_dot4c_i32_i8 v160, v44, v5
	s_waitcnt lgkmcnt(1)
	v_dot4c_i32_i8 v168, v45, v9
	v_dot4c_i32_i8 v168, v46, v5
	s_waitcnt lgkmcnt(0)
	v_dot4c_i32_i8 v169, v53, v9
	ds_read_b128 v[9:12], v161 offset:1024
	v_dot4c_i32_i8 v169, v54, v5
	s_waitcnt lgkmcnt(0)
	v_dot4c_i32_i8 v4, v37, v9
	v_dot4c_i32_i8 v170, v39, v9
	;; [unrolled: 1-line block ×4, first 2 shown]
	ds_read_b128 v[6:9], v161 offset:1040
	s_waitcnt lgkmcnt(0)
	v_dot4c_i32_i8 v4, v38, v6
	v_dot4c_i32_i8 v170, v40, v6
	v_dot4c_i32_i8 v171, v42, v6
	v_dot4c_i32_i8 v172, v50, v6
	v_mov_b32_e32 v6, 0
	v_dot4c_i32_i8 v4, v47, v10
	v_dot4c_i32_i8 v170, v51, v10
	v_dot4c_i32_i8 v171, v55, v10
	v_dot4c_i32_i8 v172, v59, v10
	v_dot4c_i32_i8 v6, v37, v13
	v_dot4c_i32_i8 v4, v48, v7
	v_dot4c_i32_i8 v170, v52, v7
	v_dot4c_i32_i8 v171, v56, v7
	v_dot4c_i32_i8 v172, v60, v7
	v_mov_b32_e32 v7, 0
	v_dot4c_i32_i8 v4, v57, v11
	v_dot4c_i32_i8 v170, v61, v11
	v_dot4c_i32_i8 v171, v63, v11
	v_dot4c_i32_i8 v172, v65, v11
	v_dot4c_i32_i8 v7, v39, v13
	;; [unrolled: 10-line block ×3, first 2 shown]
	ds_read_b128 v[10:13], v161 offset:2064
	v_dot4c_i32_i8 v4, v3, v9
	v_dot4c_i32_i8 v170, v44, v9
	;; [unrolled: 1-line block ×4, first 2 shown]
	v_cvt_f32_i32_e32 v4, v4
	s_waitcnt lgkmcnt(0)
	v_dot4c_i32_i8 v6, v38, v10
	v_dot4c_i32_i8 v7, v40, v10
	;; [unrolled: 1-line block ×4, first 2 shown]
	v_mov_b32_e32 v10, 0
	v_dot4c_i32_i8 v6, v47, v14
	v_dot4c_i32_i8 v7, v51, v14
	;; [unrolled: 1-line block ×9, first 2 shown]
	v_mov_b32_e32 v11, 0
	v_dot4c_i32_i8 v6, v57, v15
	v_dot4c_i32_i8 v7, v61, v15
	;; [unrolled: 1-line block ×9, first 2 shown]
	v_mov_b32_e32 v12, 0
	v_dot4c_i32_i8 v6, v2, v16
	v_dot4c_i32_i8 v7, v43, v16
	;; [unrolled: 1-line block ×4, first 2 shown]
	ds_read_b128 v[14:17], v161 offset:3088
	v_dot4c_i32_i8 v12, v41, v175
	v_mov_b32_e32 v175, 0
	v_dot4c_i32_i8 v6, v3, v13
	v_dot4c_i32_i8 v7, v44, v13
	;; [unrolled: 1-line block ×4, first 2 shown]
	s_waitcnt lgkmcnt(0)
	v_dot4c_i32_i8 v10, v38, v14
	v_dot4c_i32_i8 v11, v40, v14
	v_dot4c_i32_i8 v12, v42, v14
	v_dot4c_i32_i8 v174, v50, v14
	v_mov_b32_e32 v14, 0
	v_dot4c_i32_i8 v10, v47, v176
	v_dot4c_i32_i8 v11, v51, v176
	v_dot4c_i32_i8 v12, v55, v176
	v_dot4c_i32_i8 v174, v59, v176
	v_dot4c_i32_i8 v10, v48, v15
	v_dot4c_i32_i8 v11, v52, v15
	v_dot4c_i32_i8 v12, v56, v15
	v_dot4c_i32_i8 v174, v60, v15
	v_mov_b32_e32 v15, 0
	v_dot4c_i32_i8 v10, v57, v177
	v_dot4c_i32_i8 v11, v61, v177
	v_dot4c_i32_i8 v12, v63, v177
	v_dot4c_i32_i8 v174, v65, v177
	v_dot4c_i32_i8 v10, v58, v16
	v_dot4c_i32_i8 v11, v62, v16
	v_dot4c_i32_i8 v12, v64, v16
	v_dot4c_i32_i8 v174, v66, v16
	v_mov_b32_e32 v16, 0
	v_dot4c_i32_i8 v10, v2, v178
	v_dot4c_i32_i8 v11, v43, v178
	v_dot4c_i32_i8 v12, v45, v178
	v_dot4c_i32_i8 v174, v53, v178
	ds_read_b128 v[176:179], v161 offset:4096
	v_dot4c_i32_i8 v10, v3, v17
	v_dot4c_i32_i8 v11, v44, v17
	v_dot4c_i32_i8 v12, v46, v17
	v_dot4c_i32_i8 v174, v54, v17
	s_waitcnt lgkmcnt(0)
	v_dot4c_i32_i8 v14, v37, v176
	v_dot4c_i32_i8 v15, v39, v176
	v_dot4c_i32_i8 v16, v41, v176
	v_dot4c_i32_i8 v175, v49, v176
	v_dot4c_i32_i8 v14, v38, v180
	v_dot4c_i32_i8 v15, v40, v180
	v_dot4c_i32_i8 v16, v42, v180
	v_dot4c_i32_i8 v175, v50, v180
	v_mov_b32_e32 v180, 0
	v_dot4c_i32_i8 v14, v47, v177
	v_dot4c_i32_i8 v15, v51, v177
	v_dot4c_i32_i8 v16, v55, v177
	v_dot4c_i32_i8 v175, v59, v177
	v_dot4c_i32_i8 v14, v48, v181
	v_dot4c_i32_i8 v15, v52, v181
	v_dot4c_i32_i8 v16, v56, v181
	v_dot4c_i32_i8 v175, v60, v181
	v_mov_b32_e32 v181, 0
	v_dot4c_i32_i8 v14, v57, v178
	v_dot4c_i32_i8 v15, v61, v178
	v_dot4c_i32_i8 v16, v63, v178
	v_dot4c_i32_i8 v175, v65, v178
	v_dot4c_i32_i8 v14, v58, v182
	v_dot4c_i32_i8 v15, v62, v182
	v_dot4c_i32_i8 v16, v64, v182
	v_dot4c_i32_i8 v175, v66, v182
	v_mov_b32_e32 v182, 0
	v_dot4c_i32_i8 v14, v2, v179
	v_dot4c_i32_i8 v15, v43, v179
	v_dot4c_i32_i8 v16, v45, v179
	v_dot4c_i32_i8 v175, v53, v179
	ds_read_b128 v[176:179], v161 offset:5120
	v_dot4c_i32_i8 v14, v3, v183
	v_dot4c_i32_i8 v15, v44, v183
	v_dot4c_i32_i8 v16, v46, v183
	v_dot4c_i32_i8 v175, v54, v183
	s_waitcnt lgkmcnt(0)
	v_dot4c_i32_i8 v180, v37, v176
	v_dot4c_i32_i8 v181, v39, v176
	v_dot4c_i32_i8 v182, v41, v176
	v_dot4c_i32_i8 v196, v49, v176
	v_dot4c_i32_i8 v180, v38, v184
	v_dot4c_i32_i8 v181, v40, v184
	v_dot4c_i32_i8 v182, v42, v184
	v_dot4c_i32_i8 v196, v50, v184
	v_mov_b32_e32 v184, 0
	v_dot4c_i32_i8 v180, v47, v177
	v_dot4c_i32_i8 v181, v51, v177
	v_dot4c_i32_i8 v182, v55, v177
	v_dot4c_i32_i8 v196, v59, v177
	v_dot4c_i32_i8 v180, v48, v185
	v_dot4c_i32_i8 v181, v52, v185
	v_dot4c_i32_i8 v182, v56, v185
	v_dot4c_i32_i8 v196, v60, v185
	v_mov_b32_e32 v185, 0
	v_dot4c_i32_i8 v180, v57, v178
	v_dot4c_i32_i8 v181, v61, v178
	v_dot4c_i32_i8 v182, v63, v178
	v_dot4c_i32_i8 v196, v65, v178
	v_dot4c_i32_i8 v180, v58, v186
	v_dot4c_i32_i8 v181, v62, v186
	v_dot4c_i32_i8 v182, v64, v186
	v_dot4c_i32_i8 v196, v66, v186
	v_mov_b32_e32 v186, 0
	v_dot4c_i32_i8 v180, v2, v179
	v_dot4c_i32_i8 v181, v43, v179
	v_dot4c_i32_i8 v182, v45, v179
	v_dot4c_i32_i8 v196, v53, v179
	ds_read_b128 v[176:179], v161 offset:6144
	v_dot4c_i32_i8 v180, v3, v187
	v_dot4c_i32_i8 v181, v44, v187
	v_dot4c_i32_i8 v182, v46, v187
	v_dot4c_i32_i8 v196, v54, v187
	s_waitcnt lgkmcnt(0)
	v_dot4c_i32_i8 v184, v37, v176
	v_dot4c_i32_i8 v185, v39, v176
	v_dot4c_i32_i8 v186, v41, v176
	v_dot4c_i32_i8 v197, v49, v176
	v_dot4c_i32_i8 v184, v38, v188
	v_dot4c_i32_i8 v185, v40, v188
	;; [unrolled: 1-line block ×4, first 2 shown]
	v_mov_b32_e32 v188, 0
	v_dot4c_i32_i8 v184, v47, v177
	v_dot4c_i32_i8 v185, v51, v177
	;; [unrolled: 1-line block ×20, first 2 shown]
	ds_read_b128 v[176:179], v161 offset:7168
	v_dot4c_i32_i8 v184, v3, v191
	v_dot4c_i32_i8 v185, v44, v191
	;; [unrolled: 1-line block ×4, first 2 shown]
	v_add_nc_u32_e32 v161, 32, v161
	s_waitcnt lgkmcnt(0)
	v_dot4c_i32_i8 v188, v37, v176
	v_mov_b32_e32 v37, 0
	v_dot4c_i32_i8 v188, v38, v192
	v_mov_b32_e32 v38, 0
	v_dot4c_i32_i8 v37, v39, v176
	v_mov_b32_e32 v39, 0
	v_dot4c_i32_i8 v188, v47, v177
	v_dot4c_i32_i8 v38, v41, v176
	;; [unrolled: 1-line block ×21, first 2 shown]
	ds_read_b32 v5, v163
	ds_read_b32 v9, v164
	;; [unrolled: 1-line block ×4, first 2 shown]
	ds_read2_b32 v[2:3], v159 offset1:32
	v_dot4c_i32_i8 v38, v64, v194
	v_dot4c_i32_i8 v37, v43, v179
	;; [unrolled: 1-line block ×3, first 2 shown]
	v_add_nc_u32_e32 v166, 4, v166
	v_add_nc_u32_e32 v165, 4, v165
	v_dot4c_i32_i8 v38, v45, v179
	v_dot4c_i32_i8 v37, v44, v195
	v_dot4c_i32_i8 v39, v53, v179
	v_add_nc_u32_e32 v164, 4, v164
	v_add_nc_u32_e32 v163, 4, v163
	v_dot4c_i32_i8 v38, v46, v195
	v_dot4c_i32_i8 v39, v54, v195
	s_waitcnt lgkmcnt(0)
	v_mul_f32_e32 v40, v2, v5
	v_mul_f32_e32 v41, v2, v9
	;; [unrolled: 1-line block ×8, first 2 shown]
	ds_read2_b32 v[2:3], v159 offset0:64 offset1:96
	v_fmac_f32_e32 v117, v44, v4
	v_cvt_f32_i32_e32 v4, v6
	v_cvt_f32_i32_e32 v6, v186
	s_waitcnt lgkmcnt(0)
	v_mul_f32_e32 v48, v5, v2
	v_mul_f32_e32 v49, v9, v2
	;; [unrolled: 1-line block ×8, first 2 shown]
	ds_read2_b32 v[2:3], v159 offset0:128 offset1:160
	v_fmac_f32_e32 v105, v48, v4
	v_cvt_f32_i32_e32 v4, v10
	v_cvt_f32_i32_e32 v10, v38
	v_fmac_f32_e32 v89, v52, v4
	v_cvt_f32_i32_e32 v4, v14
	s_waitcnt lgkmcnt(0)
	v_mul_f32_e32 v56, v5, v2
	v_mul_f32_e32 v57, v9, v2
	;; [unrolled: 1-line block ×8, first 2 shown]
	ds_read2_b32 v[2:3], v159 offset0:192 offset1:224
	v_fmac_f32_e32 v84, v56, v4
	v_cvt_f32_i32_e32 v4, v180
	v_add_nc_u32_e32 v159, 4, v159
	v_fmac_f32_e32 v78, v60, v4
	v_cvt_f32_i32_e32 v4, v184
	s_waitcnt lgkmcnt(0)
	v_mul_f32_e32 v64, v5, v2
	v_mul_f32_e32 v5, v5, v3
	;; [unrolled: 1-line block ×5, first 2 shown]
	v_fmac_f32_e32 v74, v64, v4
	v_cvt_f32_i32_e32 v4, v188
	v_mul_f32_e32 v13, v13, v3
	v_mul_f32_e32 v2, v17, v2
	;; [unrolled: 1-line block ×3, first 2 shown]
	v_cvt_f32_i32_e32 v17, v167
	v_fmac_f32_e32 v70, v5, v4
	v_cvt_f32_i32_e32 v4, v160
	v_cvt_f32_i32_e32 v5, v185
	v_fmac_f32_e32 v72, v66, v6
	v_fmac_f32_e32 v81, v40, v17
	;; [unrolled: 1-line block ×4, first 2 shown]
	v_cvt_f32_i32_e32 v4, v168
	v_fmac_f32_e32 v73, v65, v5
	v_fmac_f32_e32 v119, v42, v4
	v_cvt_f32_i32_e32 v4, v169
	v_fmac_f32_e32 v118, v43, v4
	v_cvt_f32_i32_e32 v4, v170
	;; [unrolled: 2-line block ×5, first 2 shown]
	v_cvt_f32_i32_e32 v7, v197
	v_fmac_f32_e32 v101, v49, v4
	v_cvt_f32_i32_e32 v4, v8
	v_cvt_f32_i32_e32 v8, v37
	v_fmac_f32_e32 v71, v2, v7
	v_fmac_f32_e32 v97, v50, v4
	v_cvt_f32_i32_e32 v4, v173
	v_fmac_f32_e32 v69, v9, v8
	v_fmac_f32_e32 v94, v51, v4
	v_cvt_f32_i32_e32 v4, v11
	v_cvt_f32_i32_e32 v11, v39
	v_fmac_f32_e32 v88, v53, v4
	v_cvt_f32_i32_e32 v4, v12
	v_fmac_f32_e32 v67, v3, v11
	v_fmac_f32_e32 v86, v54, v4
	v_cvt_f32_i32_e32 v4, v174
	v_fmac_f32_e32 v85, v55, v4
	v_cvt_f32_i32_e32 v4, v15
	;; [unrolled: 2-line block ×7, first 2 shown]
	v_fmac_f32_e32 v75, v63, v4
	s_cbranch_scc1 .LBB122_11
; %bb.12:                               ;   in Loop: Header=BB122_6 Depth=1
	s_barrier
	buffer_gl0_inv
	s_branch .LBB122_5
.LBB122_13:
	v_mov_b32_e32 v2, v79
.LBB122_14:
	s_mov_b32 s0, exec_lo
	v_cmpx_gt_u32_e64 s10, v2
	s_cbranch_execz .LBB122_65
; %bb.15:
	v_add_nc_u32_e32 v0, s6, v0
	v_mul_lo_u32 v5, v2, s14
	v_cmp_gt_u32_e32 vcc_lo, s14, v0
	s_and_saveexec_b32 s1, vcc_lo
	s_cbranch_execz .LBB122_17
; %bb.16:
	v_add_nc_u32_e32 v2, v0, v5
	v_mov_b32_e32 v3, 0
	v_lshlrev_b64 v[2:3], 2, v[2:3]
	s_waitcnt lgkmcnt(0)
	v_add_co_u32 v2, s0, s12, v2
	v_add_co_ci_u32_e64 v3, null, s13, v3, s0
	global_store_dword v[2:3], v81, off
.LBB122_17:
	s_or_b32 exec_lo, exec_lo, s1
	v_add_nc_u32_e32 v2, 32, v0
	v_cmp_gt_u32_e64 s0, s14, v2
	s_and_saveexec_b32 s2, s0
	s_cbranch_execz .LBB122_19
; %bb.18:
	v_add_nc_u32_e32 v3, v2, v5
	v_mov_b32_e32 v4, 0
	v_lshlrev_b64 v[3:4], 2, v[3:4]
	s_waitcnt lgkmcnt(0)
	v_add_co_u32 v3, s1, s12, v3
	v_add_co_ci_u32_e64 v4, null, s13, v4, s1
	global_store_dword v[3:4], v120, off
.LBB122_19:
	s_or_b32 exec_lo, exec_lo, s2
	v_add_nc_u32_e32 v3, 64, v0
	v_cmp_gt_u32_e64 s1, s14, v3
	s_and_saveexec_b32 s3, s1
	;; [unrolled: 14-line block ×3, first 2 shown]
	s_cbranch_execz .LBB122_23
; %bb.22:
	v_add_nc_u32_e32 v5, v4, v5
	v_mov_b32_e32 v6, 0
	v_lshlrev_b64 v[5:6], 2, v[5:6]
	s_waitcnt lgkmcnt(0)
	v_add_co_u32 v5, s3, s12, v5
	v_add_co_ci_u32_e64 v6, null, s13, v6, s3
	global_store_dword v[5:6], v118, off
.LBB122_23:
	s_or_b32 exec_lo, exec_lo, s4
	v_add3_u32 v5, v1, s7, 8
	v_cmp_gt_u32_e64 s3, s10, v5
	s_and_b32 exec_lo, exec_lo, s3
	s_cbranch_execz .LBB122_65
; %bb.24:
	v_mul_lo_u32 v5, v5, s14
	s_and_saveexec_b32 s4, vcc_lo
	s_cbranch_execnz .LBB122_66
; %bb.25:
	s_or_b32 exec_lo, exec_lo, s4
	s_and_saveexec_b32 s4, s0
	s_cbranch_execnz .LBB122_67
.LBB122_26:
	s_or_b32 exec_lo, exec_lo, s4
	s_and_saveexec_b32 s4, s1
	s_cbranch_execnz .LBB122_68
.LBB122_27:
	s_or_b32 exec_lo, exec_lo, s4
	s_and_saveexec_b32 s4, s2
	s_cbranch_execz .LBB122_29
.LBB122_28:
	v_add_nc_u32_e32 v5, v5, v4
	v_mov_b32_e32 v6, 0
	v_lshlrev_b64 v[5:6], 2, v[5:6]
	s_waitcnt lgkmcnt(0)
	v_add_co_u32 v5, s3, s12, v5
	v_add_co_ci_u32_e64 v6, null, s13, v6, s3
	global_store_dword v[5:6], v108, off
.LBB122_29:
	s_or_b32 exec_lo, exec_lo, s4
	v_add3_u32 v5, v1, s7, 16
	v_cmp_gt_u32_e64 s3, s10, v5
	s_and_b32 exec_lo, exec_lo, s3
	s_cbranch_execz .LBB122_65
; %bb.30:
	v_mul_lo_u32 v5, v5, s14
	s_and_saveexec_b32 s4, vcc_lo
	s_cbranch_execnz .LBB122_69
; %bb.31:
	s_or_b32 exec_lo, exec_lo, s4
	s_and_saveexec_b32 s4, s0
	s_cbranch_execnz .LBB122_70
.LBB122_32:
	s_or_b32 exec_lo, exec_lo, s4
	s_and_saveexec_b32 s4, s1
	s_cbranch_execnz .LBB122_71
.LBB122_33:
	s_or_b32 exec_lo, exec_lo, s4
	s_and_saveexec_b32 s4, s2
	s_cbranch_execz .LBB122_35
.LBB122_34:
	v_add_nc_u32_e32 v5, v5, v4
	v_mov_b32_e32 v6, 0
	v_lshlrev_b64 v[5:6], 2, v[5:6]
	s_waitcnt lgkmcnt(0)
	v_add_co_u32 v5, s3, s12, v5
	v_add_co_ci_u32_e64 v6, null, s13, v6, s3
	global_store_dword v[5:6], v94, off
.LBB122_35:
	s_or_b32 exec_lo, exec_lo, s4
	v_add3_u32 v5, v1, s7, 24
	v_cmp_gt_u32_e64 s3, s10, v5
	s_and_b32 exec_lo, exec_lo, s3
	s_cbranch_execz .LBB122_65
; %bb.36:
	v_mul_lo_u32 v5, v5, s14
	s_and_saveexec_b32 s4, vcc_lo
	s_cbranch_execnz .LBB122_72
; %bb.37:
	s_or_b32 exec_lo, exec_lo, s4
	s_and_saveexec_b32 s4, s0
	s_cbranch_execnz .LBB122_73
.LBB122_38:
	s_or_b32 exec_lo, exec_lo, s4
	s_and_saveexec_b32 s4, s1
	s_cbranch_execnz .LBB122_74
.LBB122_39:
	s_or_b32 exec_lo, exec_lo, s4
	s_and_saveexec_b32 s4, s2
	s_cbranch_execz .LBB122_41
.LBB122_40:
	v_add_nc_u32_e32 v5, v5, v4
	v_mov_b32_e32 v6, 0
	v_lshlrev_b64 v[5:6], 2, v[5:6]
	s_waitcnt lgkmcnt(0)
	v_add_co_u32 v5, s3, s12, v5
	v_add_co_ci_u32_e64 v6, null, s13, v6, s3
	global_store_dword v[5:6], v85, off
.LBB122_41:
	s_or_b32 exec_lo, exec_lo, s4
	v_add3_u32 v5, v1, s7, 32
	v_cmp_gt_u32_e64 s3, s10, v5
	s_and_b32 exec_lo, exec_lo, s3
	s_cbranch_execz .LBB122_65
; %bb.42:
	v_mul_lo_u32 v5, v5, s14
	s_and_saveexec_b32 s4, vcc_lo
	s_cbranch_execnz .LBB122_75
; %bb.43:
	s_or_b32 exec_lo, exec_lo, s4
	s_and_saveexec_b32 s4, s0
	s_cbranch_execnz .LBB122_76
.LBB122_44:
	s_or_b32 exec_lo, exec_lo, s4
	s_and_saveexec_b32 s4, s1
	s_cbranch_execnz .LBB122_77
.LBB122_45:
	s_or_b32 exec_lo, exec_lo, s4
	s_and_saveexec_b32 s4, s2
	s_cbranch_execz .LBB122_47
.LBB122_46:
	v_add_nc_u32_e32 v5, v5, v4
	v_mov_b32_e32 v6, 0
	v_lshlrev_b64 v[5:6], 2, v[5:6]
	s_waitcnt lgkmcnt(0)
	v_add_co_u32 v5, s3, s12, v5
	v_add_co_ci_u32_e64 v6, null, s13, v6, s3
	global_store_dword v[5:6], v80, off
.LBB122_47:
	s_or_b32 exec_lo, exec_lo, s4
	v_add3_u32 v5, v1, s7, 40
	v_cmp_gt_u32_e64 s3, s10, v5
	s_and_b32 exec_lo, exec_lo, s3
	s_cbranch_execz .LBB122_65
; %bb.48:
	v_mul_lo_u32 v5, v5, s14
	s_and_saveexec_b32 s4, vcc_lo
	s_cbranch_execnz .LBB122_78
; %bb.49:
	s_or_b32 exec_lo, exec_lo, s4
	s_and_saveexec_b32 s4, s0
	s_cbranch_execnz .LBB122_79
.LBB122_50:
	s_or_b32 exec_lo, exec_lo, s4
	s_and_saveexec_b32 s4, s1
	s_cbranch_execnz .LBB122_80
.LBB122_51:
	s_or_b32 exec_lo, exec_lo, s4
	s_and_saveexec_b32 s4, s2
	s_cbranch_execz .LBB122_53
.LBB122_52:
	v_add_nc_u32_e32 v5, v5, v4
	v_mov_b32_e32 v6, 0
	v_lshlrev_b64 v[5:6], 2, v[5:6]
	s_waitcnt lgkmcnt(0)
	v_add_co_u32 v5, s3, s12, v5
	v_add_co_ci_u32_e64 v6, null, s13, v6, s3
	global_store_dword v[5:6], v75, off
.LBB122_53:
	s_or_b32 exec_lo, exec_lo, s4
	v_add3_u32 v5, v1, s7, 48
	v_cmp_gt_u32_e64 s3, s10, v5
	s_and_b32 exec_lo, exec_lo, s3
	s_cbranch_execz .LBB122_65
; %bb.54:
	v_mul_lo_u32 v5, v5, s14
	s_and_saveexec_b32 s4, vcc_lo
	s_cbranch_execnz .LBB122_81
; %bb.55:
	s_or_b32 exec_lo, exec_lo, s4
	s_and_saveexec_b32 s4, s0
	s_cbranch_execnz .LBB122_82
.LBB122_56:
	s_or_b32 exec_lo, exec_lo, s4
	s_and_saveexec_b32 s4, s1
	s_cbranch_execnz .LBB122_83
.LBB122_57:
	s_or_b32 exec_lo, exec_lo, s4
	s_and_saveexec_b32 s4, s2
	s_cbranch_execz .LBB122_59
.LBB122_58:
	v_add_nc_u32_e32 v5, v5, v4
	v_mov_b32_e32 v6, 0
	v_lshlrev_b64 v[5:6], 2, v[5:6]
	s_waitcnt lgkmcnt(0)
	v_add_co_u32 v5, s3, s12, v5
	v_add_co_ci_u32_e64 v6, null, s13, v6, s3
	global_store_dword v[5:6], v71, off
.LBB122_59:
	s_or_b32 exec_lo, exec_lo, s4
	v_add3_u32 v1, v1, s7, 56
	v_cmp_gt_u32_e64 s3, s10, v1
	s_and_b32 exec_lo, exec_lo, s3
	s_cbranch_execz .LBB122_65
; %bb.60:
	v_mul_lo_u32 v1, v1, s14
	s_and_saveexec_b32 s3, vcc_lo
	s_cbranch_execnz .LBB122_84
; %bb.61:
	s_or_b32 exec_lo, exec_lo, s3
	s_and_saveexec_b32 s3, s0
	s_cbranch_execnz .LBB122_85
.LBB122_62:
	s_or_b32 exec_lo, exec_lo, s3
	s_and_saveexec_b32 s0, s1
	s_cbranch_execnz .LBB122_86
.LBB122_63:
	s_or_b32 exec_lo, exec_lo, s0
	s_and_b32 exec_lo, exec_lo, s2
	s_cbranch_execz .LBB122_65
.LBB122_64:
	v_add_nc_u32_e32 v0, v1, v4
	v_mov_b32_e32 v1, 0
	v_lshlrev_b64 v[0:1], 2, v[0:1]
	s_waitcnt lgkmcnt(0)
	v_add_co_u32 v0, vcc_lo, s12, v0
	v_add_co_ci_u32_e64 v1, null, s13, v1, vcc_lo
	global_store_dword v[0:1], v67, off
.LBB122_65:
	s_endpgm
.LBB122_66:
	v_add_nc_u32_e32 v6, v5, v0
	v_mov_b32_e32 v7, 0
	v_lshlrev_b64 v[6:7], 2, v[6:7]
	s_waitcnt lgkmcnt(0)
	v_add_co_u32 v6, s3, s12, v6
	v_add_co_ci_u32_e64 v7, null, s13, v7, s3
	global_store_dword v[6:7], v117, off
	s_or_b32 exec_lo, exec_lo, s4
	s_and_saveexec_b32 s4, s0
	s_cbranch_execz .LBB122_26
.LBB122_67:
	v_add_nc_u32_e32 v6, v5, v2
	v_mov_b32_e32 v7, 0
	v_lshlrev_b64 v[6:7], 2, v[6:7]
	s_waitcnt lgkmcnt(0)
	v_add_co_u32 v6, s3, s12, v6
	v_add_co_ci_u32_e64 v7, null, s13, v7, s3
	global_store_dword v[6:7], v116, off
	s_or_b32 exec_lo, exec_lo, s4
	s_and_saveexec_b32 s4, s1
	s_cbranch_execz .LBB122_27
.LBB122_68:
	v_add_nc_u32_e32 v6, v5, v3
	v_mov_b32_e32 v7, 0
	v_lshlrev_b64 v[6:7], 2, v[6:7]
	s_waitcnt lgkmcnt(0)
	v_add_co_u32 v6, s3, s12, v6
	v_add_co_ci_u32_e64 v7, null, s13, v7, s3
	global_store_dword v[6:7], v112, off
	s_or_b32 exec_lo, exec_lo, s4
	s_and_saveexec_b32 s4, s2
	s_cbranch_execnz .LBB122_28
	s_branch .LBB122_29
.LBB122_69:
	v_add_nc_u32_e32 v6, v5, v0
	v_mov_b32_e32 v7, 0
	v_lshlrev_b64 v[6:7], 2, v[6:7]
	s_waitcnt lgkmcnt(0)
	v_add_co_u32 v6, s3, s12, v6
	v_add_co_ci_u32_e64 v7, null, s13, v7, s3
	global_store_dword v[6:7], v105, off
	s_or_b32 exec_lo, exec_lo, s4
	s_and_saveexec_b32 s4, s0
	s_cbranch_execz .LBB122_32
.LBB122_70:
	v_add_nc_u32_e32 v6, v5, v2
	v_mov_b32_e32 v7, 0
	v_lshlrev_b64 v[6:7], 2, v[6:7]
	s_waitcnt lgkmcnt(0)
	v_add_co_u32 v6, s3, s12, v6
	v_add_co_ci_u32_e64 v7, null, s13, v7, s3
	global_store_dword v[6:7], v101, off
	s_or_b32 exec_lo, exec_lo, s4
	s_and_saveexec_b32 s4, s1
	s_cbranch_execz .LBB122_33
.LBB122_71:
	v_add_nc_u32_e32 v6, v5, v3
	v_mov_b32_e32 v7, 0
	v_lshlrev_b64 v[6:7], 2, v[6:7]
	s_waitcnt lgkmcnt(0)
	v_add_co_u32 v6, s3, s12, v6
	v_add_co_ci_u32_e64 v7, null, s13, v7, s3
	global_store_dword v[6:7], v97, off
	s_or_b32 exec_lo, exec_lo, s4
	s_and_saveexec_b32 s4, s2
	s_cbranch_execnz .LBB122_34
	s_branch .LBB122_35
.LBB122_72:
	v_add_nc_u32_e32 v6, v5, v0
	v_mov_b32_e32 v7, 0
	v_lshlrev_b64 v[6:7], 2, v[6:7]
	s_waitcnt lgkmcnt(0)
	v_add_co_u32 v6, s3, s12, v6
	v_add_co_ci_u32_e64 v7, null, s13, v7, s3
	global_store_dword v[6:7], v89, off
	s_or_b32 exec_lo, exec_lo, s4
	s_and_saveexec_b32 s4, s0
	s_cbranch_execz .LBB122_38
.LBB122_73:
	v_add_nc_u32_e32 v6, v5, v2
	v_mov_b32_e32 v7, 0
	v_lshlrev_b64 v[6:7], 2, v[6:7]
	s_waitcnt lgkmcnt(0)
	v_add_co_u32 v6, s3, s12, v6
	v_add_co_ci_u32_e64 v7, null, s13, v7, s3
	global_store_dword v[6:7], v88, off
	s_or_b32 exec_lo, exec_lo, s4
	s_and_saveexec_b32 s4, s1
	s_cbranch_execz .LBB122_39
.LBB122_74:
	v_add_nc_u32_e32 v6, v5, v3
	v_mov_b32_e32 v7, 0
	v_lshlrev_b64 v[6:7], 2, v[6:7]
	s_waitcnt lgkmcnt(0)
	v_add_co_u32 v6, s3, s12, v6
	v_add_co_ci_u32_e64 v7, null, s13, v7, s3
	global_store_dword v[6:7], v86, off
	s_or_b32 exec_lo, exec_lo, s4
	s_and_saveexec_b32 s4, s2
	s_cbranch_execnz .LBB122_40
	s_branch .LBB122_41
.LBB122_75:
	v_add_nc_u32_e32 v6, v5, v0
	v_mov_b32_e32 v7, 0
	v_lshlrev_b64 v[6:7], 2, v[6:7]
	s_waitcnt lgkmcnt(0)
	v_add_co_u32 v6, s3, s12, v6
	v_add_co_ci_u32_e64 v7, null, s13, v7, s3
	global_store_dword v[6:7], v84, off
	s_or_b32 exec_lo, exec_lo, s4
	s_and_saveexec_b32 s4, s0
	s_cbranch_execz .LBB122_44
.LBB122_76:
	v_add_nc_u32_e32 v6, v5, v2
	v_mov_b32_e32 v7, 0
	v_lshlrev_b64 v[6:7], 2, v[6:7]
	s_waitcnt lgkmcnt(0)
	v_add_co_u32 v6, s3, s12, v6
	v_add_co_ci_u32_e64 v7, null, s13, v7, s3
	global_store_dword v[6:7], v83, off
	s_or_b32 exec_lo, exec_lo, s4
	s_and_saveexec_b32 s4, s1
	s_cbranch_execz .LBB122_45
.LBB122_77:
	v_add_nc_u32_e32 v6, v5, v3
	v_mov_b32_e32 v7, 0
	v_lshlrev_b64 v[6:7], 2, v[6:7]
	s_waitcnt lgkmcnt(0)
	v_add_co_u32 v6, s3, s12, v6
	v_add_co_ci_u32_e64 v7, null, s13, v7, s3
	global_store_dword v[6:7], v82, off
	s_or_b32 exec_lo, exec_lo, s4
	s_and_saveexec_b32 s4, s2
	s_cbranch_execnz .LBB122_46
	s_branch .LBB122_47
.LBB122_78:
	v_add_nc_u32_e32 v6, v5, v0
	v_mov_b32_e32 v7, 0
	v_lshlrev_b64 v[6:7], 2, v[6:7]
	s_waitcnt lgkmcnt(0)
	v_add_co_u32 v6, s3, s12, v6
	v_add_co_ci_u32_e64 v7, null, s13, v7, s3
	global_store_dword v[6:7], v78, off
	s_or_b32 exec_lo, exec_lo, s4
	s_and_saveexec_b32 s4, s0
	s_cbranch_execz .LBB122_50
.LBB122_79:
	v_add_nc_u32_e32 v6, v5, v2
	v_mov_b32_e32 v7, 0
	v_lshlrev_b64 v[6:7], 2, v[6:7]
	s_waitcnt lgkmcnt(0)
	v_add_co_u32 v6, s3, s12, v6
	v_add_co_ci_u32_e64 v7, null, s13, v7, s3
	global_store_dword v[6:7], v77, off
	s_or_b32 exec_lo, exec_lo, s4
	s_and_saveexec_b32 s4, s1
	s_cbranch_execz .LBB122_51
.LBB122_80:
	v_add_nc_u32_e32 v6, v5, v3
	v_mov_b32_e32 v7, 0
	v_lshlrev_b64 v[6:7], 2, v[6:7]
	s_waitcnt lgkmcnt(0)
	v_add_co_u32 v6, s3, s12, v6
	v_add_co_ci_u32_e64 v7, null, s13, v7, s3
	global_store_dword v[6:7], v76, off
	s_or_b32 exec_lo, exec_lo, s4
	s_and_saveexec_b32 s4, s2
	s_cbranch_execnz .LBB122_52
	s_branch .LBB122_53
.LBB122_81:
	v_add_nc_u32_e32 v6, v5, v0
	v_mov_b32_e32 v7, 0
	v_lshlrev_b64 v[6:7], 2, v[6:7]
	s_waitcnt lgkmcnt(0)
	v_add_co_u32 v6, s3, s12, v6
	v_add_co_ci_u32_e64 v7, null, s13, v7, s3
	global_store_dword v[6:7], v74, off
	s_or_b32 exec_lo, exec_lo, s4
	s_and_saveexec_b32 s4, s0
	s_cbranch_execz .LBB122_56
.LBB122_82:
	v_add_nc_u32_e32 v6, v5, v2
	v_mov_b32_e32 v7, 0
	v_lshlrev_b64 v[6:7], 2, v[6:7]
	s_waitcnt lgkmcnt(0)
	v_add_co_u32 v6, s3, s12, v6
	v_add_co_ci_u32_e64 v7, null, s13, v7, s3
	global_store_dword v[6:7], v73, off
	s_or_b32 exec_lo, exec_lo, s4
	s_and_saveexec_b32 s4, s1
	s_cbranch_execz .LBB122_57
.LBB122_83:
	v_add_nc_u32_e32 v6, v5, v3
	v_mov_b32_e32 v7, 0
	v_lshlrev_b64 v[6:7], 2, v[6:7]
	s_waitcnt lgkmcnt(0)
	v_add_co_u32 v6, s3, s12, v6
	v_add_co_ci_u32_e64 v7, null, s13, v7, s3
	global_store_dword v[6:7], v72, off
	s_or_b32 exec_lo, exec_lo, s4
	s_and_saveexec_b32 s4, s2
	s_cbranch_execnz .LBB122_58
	s_branch .LBB122_59
.LBB122_84:
	v_add_nc_u32_e32 v5, v1, v0
	v_mov_b32_e32 v6, 0
	v_lshlrev_b64 v[5:6], 2, v[5:6]
	s_waitcnt lgkmcnt(0)
	v_add_co_u32 v5, vcc_lo, s12, v5
	v_add_co_ci_u32_e64 v6, null, s13, v6, vcc_lo
	global_store_dword v[5:6], v70, off
	s_or_b32 exec_lo, exec_lo, s3
	s_and_saveexec_b32 s3, s0
	s_cbranch_execz .LBB122_62
.LBB122_85:
	v_add_nc_u32_e32 v5, v1, v2
	v_mov_b32_e32 v6, 0
	v_lshlrev_b64 v[5:6], 2, v[5:6]
	s_waitcnt lgkmcnt(0)
	v_add_co_u32 v5, vcc_lo, s12, v5
	v_add_co_ci_u32_e64 v6, null, s13, v6, vcc_lo
	global_store_dword v[5:6], v69, off
	s_or_b32 exec_lo, exec_lo, s3
	s_and_saveexec_b32 s0, s1
	s_cbranch_execz .LBB122_63
.LBB122_86:
	v_add_nc_u32_e32 v2, v1, v3
	v_mov_b32_e32 v3, 0
	v_lshlrev_b64 v[2:3], 2, v[2:3]
	s_waitcnt lgkmcnt(0)
	v_add_co_u32 v2, vcc_lo, s12, v2
	v_add_co_ci_u32_e64 v3, null, s13, v3, vcc_lo
	global_store_dword v[2:3], v68, off
	s_or_b32 exec_lo, exec_lo, s0
	s_and_b32 exec_lo, exec_lo, s2
	s_cbranch_execnz .LBB122_64
	s_branch .LBB122_65
	.section	.rodata,"a",@progbits
	.p2align	6, 0x0
	.amdhsa_kernel _ZL12mul_mat_q5_0IfLb1EEvPKvS1_PT_iiiii
		.amdhsa_group_segment_fixed_size 46720
		.amdhsa_private_segment_fixed_size 0
		.amdhsa_kernarg_size 44
		.amdhsa_user_sgpr_count 6
		.amdhsa_user_sgpr_private_segment_buffer 1
		.amdhsa_user_sgpr_dispatch_ptr 0
		.amdhsa_user_sgpr_queue_ptr 0
		.amdhsa_user_sgpr_kernarg_segment_ptr 1
		.amdhsa_user_sgpr_dispatch_id 0
		.amdhsa_user_sgpr_flat_scratch_init 0
		.amdhsa_user_sgpr_private_segment_size 0
		.amdhsa_wavefront_size32 1
		.amdhsa_uses_dynamic_stack 0
		.amdhsa_system_sgpr_private_segment_wavefront_offset 0
		.amdhsa_system_sgpr_workgroup_id_x 1
		.amdhsa_system_sgpr_workgroup_id_y 1
		.amdhsa_system_sgpr_workgroup_id_z 0
		.amdhsa_system_sgpr_workgroup_info 0
		.amdhsa_system_vgpr_workitem_id 1
		.amdhsa_next_free_vgpr 200
		.amdhsa_next_free_sgpr 15
		.amdhsa_reserve_vcc 1
		.amdhsa_reserve_flat_scratch 0
		.amdhsa_float_round_mode_32 0
		.amdhsa_float_round_mode_16_64 0
		.amdhsa_float_denorm_mode_32 3
		.amdhsa_float_denorm_mode_16_64 3
		.amdhsa_dx10_clamp 1
		.amdhsa_ieee_mode 1
		.amdhsa_fp16_overflow 0
		.amdhsa_workgroup_processor_mode 1
		.amdhsa_memory_ordered 1
		.amdhsa_forward_progress 1
		.amdhsa_shared_vgpr_count 0
		.amdhsa_exception_fp_ieee_invalid_op 0
		.amdhsa_exception_fp_denorm_src 0
		.amdhsa_exception_fp_ieee_div_zero 0
		.amdhsa_exception_fp_ieee_overflow 0
		.amdhsa_exception_fp_ieee_underflow 0
		.amdhsa_exception_fp_ieee_inexact 0
		.amdhsa_exception_int_div_zero 0
	.end_amdhsa_kernel
	.section	.text._ZL12mul_mat_q5_0IfLb1EEvPKvS1_PT_iiiii,"axG",@progbits,_ZL12mul_mat_q5_0IfLb1EEvPKvS1_PT_iiiii,comdat
.Lfunc_end122:
	.size	_ZL12mul_mat_q5_0IfLb1EEvPKvS1_PT_iiiii, .Lfunc_end122-_ZL12mul_mat_q5_0IfLb1EEvPKvS1_PT_iiiii
                                        ; -- End function
	.set _ZL12mul_mat_q5_0IfLb1EEvPKvS1_PT_iiiii.num_vgpr, 200
	.set _ZL12mul_mat_q5_0IfLb1EEvPKvS1_PT_iiiii.num_agpr, 0
	.set _ZL12mul_mat_q5_0IfLb1EEvPKvS1_PT_iiiii.numbered_sgpr, 15
	.set _ZL12mul_mat_q5_0IfLb1EEvPKvS1_PT_iiiii.num_named_barrier, 0
	.set _ZL12mul_mat_q5_0IfLb1EEvPKvS1_PT_iiiii.private_seg_size, 0
	.set _ZL12mul_mat_q5_0IfLb1EEvPKvS1_PT_iiiii.uses_vcc, 1
	.set _ZL12mul_mat_q5_0IfLb1EEvPKvS1_PT_iiiii.uses_flat_scratch, 0
	.set _ZL12mul_mat_q5_0IfLb1EEvPKvS1_PT_iiiii.has_dyn_sized_stack, 0
	.set _ZL12mul_mat_q5_0IfLb1EEvPKvS1_PT_iiiii.has_recursion, 0
	.set _ZL12mul_mat_q5_0IfLb1EEvPKvS1_PT_iiiii.has_indirect_call, 0
	.section	.AMDGPU.csdata,"",@progbits
; Kernel info:
; codeLenInByte = 16112
; TotalNumSgprs: 17
; NumVgprs: 200
; ScratchSize: 0
; MemoryBound: 0
; FloatMode: 240
; IeeeMode: 1
; LDSByteSize: 46720 bytes/workgroup (compile time only)
; SGPRBlocks: 0
; VGPRBlocks: 24
; NumSGPRsForWavesPerEU: 17
; NumVGPRsForWavesPerEU: 200
; Occupancy: 4
; WaveLimiterHint : 0
; COMPUTE_PGM_RSRC2:SCRATCH_EN: 0
; COMPUTE_PGM_RSRC2:USER_SGPR: 6
; COMPUTE_PGM_RSRC2:TRAP_HANDLER: 0
; COMPUTE_PGM_RSRC2:TGID_X_EN: 1
; COMPUTE_PGM_RSRC2:TGID_Y_EN: 1
; COMPUTE_PGM_RSRC2:TGID_Z_EN: 0
; COMPUTE_PGM_RSRC2:TIDIG_COMP_CNT: 1
	.section	.text._ZL12mul_mat_q5_1IfLb0EEvPKvS1_PT_iiiii,"axG",@progbits,_ZL12mul_mat_q5_1IfLb0EEvPKvS1_PT_iiiii,comdat
	.globl	_ZL12mul_mat_q5_1IfLb0EEvPKvS1_PT_iiiii ; -- Begin function _ZL12mul_mat_q5_1IfLb0EEvPKvS1_PT_iiiii
	.p2align	8
	.type	_ZL12mul_mat_q5_1IfLb0EEvPKvS1_PT_iiiii,@function
_ZL12mul_mat_q5_1IfLb0EEvPKvS1_PT_iiiii: ; @_ZL12mul_mat_q5_1IfLb0EEvPKvS1_PT_iiiii
; %bb.0:
	s_clause 0x1
	s_load_dword s14, s[4:5], 0x18
	s_load_dwordx4 s[8:11], s[4:5], 0x20
	s_lshl_b32 s7, s7, 6
	v_add_nc_u32_e32 v66, s7, v1
	s_waitcnt lgkmcnt(0)
	s_cmp_gt_i32 s14, 31
	s_cbranch_scc1 .LBB123_2
; %bb.1:
	v_add_nc_u32_e32 v2, s7, v1
	s_mov_b32 s0, 0
	s_branch .LBB123_3
.LBB123_2:
	s_mov_b32 s0, -1
                                        ; implicit-def: $vgpr2
.LBB123_3:
	s_load_dwordx2 s[12:13], s[4:5], 0x10
	v_mov_b32_e32 v51, 0
	v_mov_b32_e32 v55, 0
	;; [unrolled: 1-line block ×32, first 2 shown]
	s_andn2_b32 vcc_lo, exec_lo, s0
	s_lshl_b32 s6, s6, 7
	s_cbranch_vccnz .LBB123_14
; %bb.4:
	s_load_dwordx4 s[0:3], s[4:5], 0x0
	s_ashr_i32 s4, s14, 31
	s_ashr_i32 s5, s9, 31
	s_lshr_b32 s4, s4, 27
	s_lshr_b32 s5, s5, 27
	s_add_i32 s11, s14, s4
	s_add_i32 s5, s9, s5
	s_ashr_i32 s4, s11, 5
	v_lshlrev_b32_e32 v5, 3, v0
	s_mul_i32 s9, s4, s6
	s_ashr_i32 s14, s5, 5
	s_mul_i32 s5, s9, 24
	v_add_nc_u32_e32 v6, 8, v66
	v_add_nc_u32_e32 v7, 16, v66
	;; [unrolled: 1-line block ×6, first 2 shown]
	s_mul_hi_i32 s9, s9, 24
	v_mul_lo_u32 v80, s4, v1
	s_waitcnt lgkmcnt(0)
	s_add_u32 s5, s0, s5
	s_addc_u32 s9, s1, s9
	s_add_i32 s1, s8, -1
	v_cvt_f64_u32_e32 v[3:4], v66
	v_add_nc_u32_e32 v17, 56, v66
	v_mad_u32_u24 v90, 0x104, v1, v5
	v_cvt_f64_u32_e32 v[5:6], v6
	v_cvt_f64_u32_e32 v[7:8], v7
	;; [unrolled: 1-line block ×6, first 2 shown]
	v_cvt_f64_i32_e32 v[19:20], s1
	s_lshl_b32 s0, s4, 3
	v_cvt_f64_u32_e32 v[17:18], v17
	v_add_nc_u32_e32 v84, s0, v80
	v_lshrrev_b32_e32 v74, 2, v0
	v_lshrrev_b32_e32 v79, 3, v0
	v_and_b32_e32 v78, 7, v0
	v_and_b32_e32 v2, 3, v0
	v_add_nc_u32_e32 v86, s0, v84
	s_andn2_b32 s11, s11, 31
	v_lshl_add_u32 v21, v1, 2, v79
	v_lshlrev_b32_e32 v22, 2, v78
	v_lshlrev_b32_e32 v88, 2, v2
	v_add_nc_u32_e32 v89, s0, v86
	v_mov_b32_e32 v68, 0
	v_mul_lo_u32 v114, s4, v21
	v_and_b32_e32 v23, 0x7fc, v21
	v_lshlrev_b32_e32 v24, 5, v21
	v_add_nc_u32_e32 v91, s0, v89
	v_add_nc_u32_e32 v25, 32, v21
	;; [unrolled: 1-line block ×4, first 2 shown]
	v_min_f64 v[3:4], v[3:4], v[19:20]
	v_min_f64 v[5:6], v[5:6], v[19:20]
	;; [unrolled: 1-line block ×7, first 2 shown]
	v_add_nc_u32_e32 v93, s0, v91
	v_min_f64 v[17:18], v[17:18], v[19:20]
	v_lshl_add_u32 v20, v1, 3, v74
	v_and_b32_e32 v19, 0xffc, v21
	v_and_b32_e32 v27, 0xffc, v25
	v_add_nc_u32_e32 v96, s0, v93
	v_and_b32_e32 v28, 0xffc, v26
	v_add_nc_u32_e32 v119, s11, v114
	v_add3_u32 v23, v23, v22, 0xa200
	v_add3_u32 v27, v27, v22, 0xa200
	v_add_nc_u32_e32 v100, s0, v96
	v_lshlrev_b32_e32 v25, 5, v25
	v_add_nc_u32_e32 v121, s11, v119
	v_add3_u32 v28, v28, v22, 0xa200
	v_lshlrev_b32_e32 v26, 5, v26
	v_add_nc_u32_e32 v104, s0, v100
	v_cvt_i32_f64_e32 v3, v[3:4]
	v_cvt_i32_f64_e32 v4, v[5:6]
	;; [unrolled: 1-line block ×7, first 2 shown]
	v_add_nc_u32_e32 v110, s0, v104
	v_cvt_i32_f64_e32 v16, v[17:18]
	v_and_b32_e32 v7, 63, v20
	v_add3_u32 v5, v19, v22, 0xa200
	v_lshlrev_b32_e32 v11, 2, v0
	v_add_nc_u32_e32 v115, s0, v110
	v_and_b32_e32 v15, 31, v0
	v_or_b32_e32 v13, s7, v7
	v_lshl_or_b32 v7, v7, 4, v88
	v_lshlrev_b32_e32 v17, 7, v1
	v_add_nc_u32_e32 v116, s0, v115
	v_and_b32_e32 v20, 0xfc, v0
	v_min_i32_e32 v13, s1, v13
	v_and_b32_e32 v11, 28, v11
	v_lshlrev_b32_e32 v9, 5, v21
	v_add_nc_u32_e32 v117, s0, v116
	v_lshl_or_b32 v15, v15, 2, 0x8200
	v_mad_u64_u32 v[18:19], null, v13, s14, v[2:3]
	v_add_nc_u32_e32 v13, 64, v0
	v_mul_lo_u32 v130, s14, v12
	v_mul_lo_u32 v131, s14, v14
	v_add_nc_u32_e32 v12, 0x60, v0
	v_add_nc_u32_e32 v14, 32, v0
	;; [unrolled: 1-line block ×3, first 2 shown]
	v_mul_lo_u32 v132, s14, v16
	v_lshlrev_b32_e32 v16, 5, v0
	v_and_b32_e32 v12, 0x1fc, v12
	v_and_b32_e32 v13, 0x1fc, v13
	;; [unrolled: 1-line block ×3, first 2 shown]
	v_add_nc_u32_e32 v120, s0, v118
	v_add_nc_u32_e32 v124, 0xb280, v7
	v_mul_lo_u32 v125, s14, v3
	v_mul_lo_u32 v126, s14, v4
	v_add_nc_u32_e32 v2, 0x400, v17
	v_mul_lo_u32 v127, s14, v6
	v_add_nc_u32_e32 v3, 0x800, v17
	;; [unrolled: 2-line block ×4, first 2 shown]
	v_add_nc_u32_e32 v7, 0x1400, v17
	v_add_nc_u32_e32 v8, 0x1800, v17
	;; [unrolled: 1-line block ×3, first 2 shown]
	v_lshrrev_b32_e32 v134, 3, v14
	v_add_nc_u32_e32 v12, v16, v12
	v_add_nc_u32_e32 v13, v16, v13
	;; [unrolled: 1-line block ×5, first 2 shown]
	v_add_co_u32 v19, s0, s2, v11
	v_add_co_ci_u32_e64 v20, null, s3, 0, s0
	s_movk_i32 s0, 0x80
	v_add_nc_u32_e32 v94, 0x820, v90
	v_add_nc_u32_e32 v95, 0x1040, v90
	;; [unrolled: 1-line block ×16, first 2 shown]
	v_mul_u32_u24_e32 v133, 0x104, v0
	v_add_nc_u32_e32 v135, 0xae00, v12
	v_add_nc_u32_e32 v136, 0xaa00, v13
	;; [unrolled: 1-line block ×4, first 2 shown]
	v_lshl_add_u32 v139, v1, 4, 0xb280
	v_add_nc_u32_e32 v140, 0x8200, v17
	v_add_nc_u32_e32 v141, 0xae10, v12
	;; [unrolled: 1-line block ×5, first 2 shown]
	v_mad_u32_u24 v145, 0x104, v0, s0
	v_add_nc_u32_e32 v146, v23, v24
	v_add_nc_u32_e32 v147, v27, v25
	;; [unrolled: 1-line block ×12, first 2 shown]
	v_mov_b32_e32 v85, 0
	v_mov_b32_e32 v77, 0
	;; [unrolled: 1-line block ×31, first 2 shown]
	s_add_i32 s11, s4, 3
	s_mov_b32 s14, 0
	s_branch .LBB123_6
.LBB123_5:                              ;   in Loop: Header=BB123_6 Depth=1
	s_add_i32 s14, s14, 8
	s_add_i32 s11, s11, -8
	s_cmp_ge_i32 s14, s4
	s_cbranch_scc1 .LBB123_13
.LBB123_6:                              ; =>This Loop Header: Depth=1
                                        ;     Child Loop BB123_8 Depth 2
                                        ;     Child Loop BB123_11 Depth 2
	s_mul_i32 s0, s14, 24
	s_mul_hi_u32 s1, s14, 24
	s_add_u32 s0, s5, s0
	s_addc_u32 s1, s9, s1
	s_cmp_gt_u32 s11, 3
	v_mad_u64_u32 v[2:3], null, v74, 24, s[0:1]
	v_mad_u64_u32 v[4:5], null, v80, 24, v[2:3]
	;; [unrolled: 1-line block ×5, first 2 shown]
	v_add_co_u32 v12, vcc_lo, v4, v88
	v_add_co_ci_u32_e64 v13, null, 0, v5, vcc_lo
	v_add_co_u32 v14, vcc_lo, v6, v88
	v_add_co_ci_u32_e64 v15, null, 0, v7, vcc_lo
	;; [unrolled: 2-line block ×4, first 2 shown]
	v_mad_u64_u32 v[23:24], null, v91, 24, v[2:3]
	s_clause 0x7
	global_load_dword v31, v[12:13], off offset:8
	global_load_dword v32, v[14:15], off offset:8
	;; [unrolled: 1-line block ×8, first 2 shown]
	v_mad_u64_u32 v[4:5], null, v93, 24, v[2:3]
	v_mad_u64_u32 v[8:9], null, v96, 24, v[2:3]
	;; [unrolled: 1-line block ×3, first 2 shown]
	v_add_co_u32 v6, vcc_lo, v23, v88
	v_add_co_ci_u32_e64 v7, null, 0, v24, vcc_lo
	v_add_co_u32 v12, vcc_lo, v4, v88
	v_add_co_ci_u32_e64 v13, null, 0, v5, vcc_lo
	v_add_co_u32 v14, vcc_lo, v8, v88
	v_mad_u64_u32 v[21:22], null, v104, 24, v[2:3]
	v_add_co_ci_u32_e64 v15, null, 0, v9, vcc_lo
	v_add_co_u32 v16, vcc_lo, v10, v88
	v_add_co_ci_u32_e64 v17, null, 0, v11, vcc_lo
	v_mad_u64_u32 v[29:30], null, v116, 24, v[2:3]
	s_clause 0x7
	global_load_dword v39, v[10:11], off offset:4
	global_load_dword v40, v[8:9], off offset:4
	global_load_dword v41, v[4:5], off offset:4
	global_load_dword v23, v[23:24], off offset:4
	global_load_dword v24, v[6:7], off offset:8
	global_load_dword v42, v[12:13], off offset:8
	global_load_dword v43, v[14:15], off offset:8
	global_load_dword v16, v[16:17], off offset:8
	v_mad_u64_u32 v[27:28], null, v115, 24, v[2:3]
	v_mad_u64_u32 v[25:26], null, v110, 24, v[2:3]
	v_add_co_u32 v4, vcc_lo, v21, v88
	v_add_co_ci_u32_e64 v5, null, 0, v22, vcc_lo
	s_clause 0x4
	global_load_dword v17, v[29:30], off offset:4
	global_load_dword v44, v[27:28], off offset:4
	;; [unrolled: 1-line block ×5, first 2 shown]
	v_mad_u64_u32 v[8:9], null, v122, 24, v[2:3]
	v_add_co_u32 v4, vcc_lo, v25, v88
	v_add_co_ci_u32_e64 v5, null, 0, v26, vcc_lo
	v_mad_u64_u32 v[6:7], null, v118, 24, v[2:3]
	v_mad_u64_u32 v[10:11], null, v78, 24, s[0:1]
	global_load_dword v25, v[4:5], off offset:8
	v_add_co_u32 v4, vcc_lo, v27, v88
	v_add_co_ci_u32_e64 v5, null, 0, v28, vcc_lo
	v_mad_u64_u32 v[14:15], null, v121, 24, v[10:11]
	global_load_dword v26, v[4:5], off offset:8
	v_add_co_u32 v4, vcc_lo, v29, v88
	v_add_co_ci_u32_e64 v5, null, 0, v30, vcc_lo
	global_load_dword v27, v[4:5], off offset:8
	v_mad_u64_u32 v[4:5], null, v117, 24, v[2:3]
	v_mad_u64_u32 v[2:3], null, v120, 24, v[2:3]
	v_add_co_u32 v12, vcc_lo, v4, v88
	v_add_co_ci_u32_e64 v13, null, 0, v5, vcc_lo
	s_clause 0x4
	global_load_dword v28, v[8:9], off offset:4
	global_load_dword v29, v[2:3], off offset:4
	;; [unrolled: 1-line block ×5, first 2 shown]
	v_add_co_u32 v6, vcc_lo, v6, v88
	v_add_co_ci_u32_e64 v7, null, 0, v7, vcc_lo
	v_add_co_u32 v2, vcc_lo, v2, v88
	v_mad_u64_u32 v[4:5], null, v114, 24, v[10:11]
	v_add_co_ci_u32_e64 v3, null, 0, v3, vcc_lo
	v_add_co_u32 v8, vcc_lo, v8, v88
	v_mad_u64_u32 v[12:13], null, v119, 24, v[10:11]
	v_add_co_ci_u32_e64 v9, null, 0, v9, vcc_lo
	v_mad_u64_u32 v[10:11], null, v123, 24, v[10:11]
	s_clause 0x6
	global_load_dword v6, v[6:7], off offset:8
	global_load_dword v2, v[2:3], off offset:8
	;; [unrolled: 1-line block ×3, first 2 shown]
	global_load_dword v4, v[4:5], off
	global_load_dword v5, v[12:13], off
	;; [unrolled: 1-line block ×4, first 2 shown]
	s_waitcnt vmcnt(35)
	v_and_b32_e32 v10, 0xf0f0f0f, v31
	v_lshrrev_b32_e32 v11, 4, v31
	s_waitcnt vmcnt(34)
	v_and_b32_e32 v13, 0xf0f0f0f, v32
	v_lshrrev_b32_e32 v14, 4, v32
	s_waitcnt vmcnt(33)
	v_and_b32_e32 v31, 0xf0f0f0f, v33
	s_waitcnt vmcnt(30)
	v_ashrrev_i32_e32 v15, v88, v36
	s_waitcnt vmcnt(29)
	v_ashrrev_i32_e32 v12, v88, v37
	;; [unrolled: 2-line block ×3, first 2 shown]
	v_lshrrev_b32_e32 v32, 4, v33
	v_ashrrev_i32_e32 v33, v88, v35
	v_lshlrev_b32_e32 v171, 4, v15
	v_lshlrev_b32_e32 v164, 4, v12
	;; [unrolled: 1-line block ×4, first 2 shown]
	v_lshrrev_b32_e32 v161, 12, v9
	v_lshrrev_b32_e32 v162, 5, v9
	v_lshlrev_b32_e32 v165, 11, v12
	v_lshrrev_b32_e32 v168, 12, v12
	v_lshrrev_b32_e32 v169, 5, v12
	v_lshlrev_b32_e32 v172, 11, v15
	v_lshrrev_b32_e32 v175, 12, v15
	v_lshrrev_b32_e32 v176, 5, v15
	v_and_b32_e32 v35, 0xf0f0f0f, v34
	v_lshrrev_b32_e32 v34, 4, v34
	v_lshlrev_b32_e32 v178, 4, v33
	v_lshlrev_b32_e32 v179, 11, v33
	v_lshrrev_b32_e32 v182, 12, v33
	v_lshrrev_b32_e32 v183, 5, v33
	s_waitcnt vmcnt(26)
	v_ashrrev_i32_e32 v40, v88, v40
	s_waitcnt vmcnt(25)
	v_ashrrev_i32_e32 v37, v88, v41
	;; [unrolled: 2-line block ×3, first 2 shown]
	s_waitcnt vmcnt(23)
	v_and_b32_e32 v36, 0xf0f0f0f, v24
	v_lshrrev_b32_e32 v24, 4, v24
	s_waitcnt vmcnt(22)
	v_and_b32_e32 v38, 0xf0f0f0f, v42
	v_lshrrev_b32_e32 v41, 4, v42
	v_lshlrev_b32_e32 v185, 4, v23
	v_lshlrev_b32_e32 v186, 11, v23
	v_lshrrev_b32_e32 v189, 12, v23
	v_lshrrev_b32_e32 v190, 5, v23
	s_waitcnt vmcnt(21)
	v_and_b32_e32 v42, 0xf0f0f0f, v43
	v_lshrrev_b32_e32 v43, 4, v43
	v_lshlrev_b32_e32 v159, 18, v9
	v_lshlrev_b32_e32 v160, 25, v9
	v_and_b32_e32 v11, 0xf0f0f0f, v11
	v_lshlrev_b32_e32 v163, 2, v9
	v_lshlrev_b32_e32 v9, 9, v9
	v_lshlrev_b32_e32 v192, 4, v37
	v_lshlrev_b32_e32 v193, 11, v37
	v_lshrrev_b32_e32 v196, 12, v37
	v_lshrrev_b32_e32 v197, 5, v37
	v_lshlrev_b32_e32 v199, 4, v40
	v_lshlrev_b32_e32 v200, 11, v40
	v_lshrrev_b32_e32 v203, 12, v40
	v_lshrrev_b32_e32 v204, 5, v40
	v_and_b32_e32 v50, 16, v50
	v_and_b32_e32 v158, 0x1000, v158
	v_and_b32_e32 v161, 16, v161
	v_and_b32_e32 v162, 0x1000, v162
	v_lshlrev_b32_e32 v166, 18, v12
	v_lshlrev_b32_e32 v167, 25, v12
	v_and_b32_e32 v14, 0xf0f0f0f, v14
	v_lshlrev_b32_e32 v170, 2, v12
	v_lshlrev_b32_e32 v12, 9, v12
	v_and_b32_e32 v164, 16, v164
	v_and_b32_e32 v165, 0x1000, v165
	v_and_b32_e32 v168, 16, v168
	v_and_b32_e32 v169, 0x1000, v169
	v_lshlrev_b32_e32 v173, 18, v15
	v_lshlrev_b32_e32 v174, 25, v15
	v_and_b32_e32 v32, 0xf0f0f0f, v32
	v_lshlrev_b32_e32 v177, 2, v15
	v_lshlrev_b32_e32 v15, 9, v15
	v_and_b32_e32 v171, 16, v171
	v_and_b32_e32 v172, 0x1000, v172
	v_and_b32_e32 v175, 16, v175
	v_and_b32_e32 v176, 0x1000, v176
	v_lshlrev_b32_e32 v180, 18, v33
	v_lshlrev_b32_e32 v181, 25, v33
	v_and_b32_e32 v34, 0xf0f0f0f, v34
	v_lshlrev_b32_e32 v184, 2, v33
	v_lshlrev_b32_e32 v33, 9, v33
	v_and_b32_e32 v178, 16, v178
	v_and_b32_e32 v179, 0x1000, v179
	v_and_b32_e32 v182, 16, v182
	v_and_b32_e32 v183, 0x1000, v183
	v_lshlrev_b32_e32 v187, 18, v23
	v_lshlrev_b32_e32 v188, 25, v23
	v_and_b32_e32 v24, 0xf0f0f0f, v24
	v_lshlrev_b32_e32 v191, 2, v23
	v_lshlrev_b32_e32 v23, 9, v23
	v_and_b32_e32 v185, 16, v185
	v_and_b32_e32 v186, 0x1000, v186
	;; [unrolled: 1-line block ×4, first 2 shown]
	v_ashrrev_i32_e32 v39, v88, v39
	s_waitcnt vmcnt(16)
	v_ashrrev_i32_e32 v21, v88, v21
	v_ashrrev_i32_e32 v45, v88, v45
	v_lshlrev_b32_e32 v194, 18, v37
	v_lshlrev_b32_e32 v195, 25, v37
	v_and_b32_e32 v41, 0xf0f0f0f, v41
	v_lshlrev_b32_e32 v198, 2, v37
	v_lshlrev_b32_e32 v37, 9, v37
	v_lshlrev_b32_e32 v201, 18, v40
	v_lshlrev_b32_e32 v202, 25, v40
	v_and_b32_e32 v43, 0xf0f0f0f, v43
	v_lshlrev_b32_e32 v205, 2, v40
	v_lshlrev_b32_e32 v40, 9, v40
	v_and_b32_e32 v159, 0x100000, v159
	v_and_b32_e32 v160, 0x10000000, v160
	v_and_b32_e32 v163, 0x100000, v163
	v_and_b32_e32 v9, 0x10000000, v9
	v_and_b32_e32 v192, 16, v192
	v_and_b32_e32 v193, 0x1000, v193
	v_and_b32_e32 v196, 16, v196
	v_and_b32_e32 v197, 0x1000, v197
	v_and_b32_e32 v199, 16, v199
	v_and_b32_e32 v200, 0x1000, v200
	v_and_b32_e32 v203, 16, v203
	v_and_b32_e32 v204, 0x1000, v204
	v_or3_b32 v10, v50, v10, v158
	v_or3_b32 v11, v161, v11, v162
	v_and_b32_e32 v166, 0x100000, v166
	v_and_b32_e32 v167, 0x10000000, v167
	v_and_b32_e32 v170, 0x100000, v170
	v_and_b32_e32 v12, 0x10000000, v12
	v_or3_b32 v13, v164, v13, v165
	v_or3_b32 v14, v168, v14, v169
	v_and_b32_e32 v173, 0x100000, v173
	v_and_b32_e32 v174, 0x10000000, v174
	v_and_b32_e32 v177, 0x100000, v177
	v_and_b32_e32 v15, 0x10000000, v15
	;; [unrolled: 6-line block ×4, first 2 shown]
	v_or3_b32 v36, v185, v36, v186
	v_or3_b32 v24, v189, v24, v190
	v_and_b32_e32 v48, 0xf0f0f0f, v16
	v_lshrrev_b32_e32 v16, 4, v16
	s_waitcnt vmcnt(15)
	v_and_b32_e32 v49, 0xf0f0f0f, v22
	v_lshrrev_b32_e32 v22, 4, v22
	v_lshlrev_b32_e32 v206, 4, v39
	v_lshlrev_b32_e32 v207, 11, v39
	v_lshrrev_b32_e32 v210, 12, v39
	v_lshrrev_b32_e32 v211, 5, v39
	;; [unrolled: 1-line block ×4, first 2 shown]
	v_lshlrev_b32_e32 v220, 4, v45
	v_lshlrev_b32_e32 v221, 11, v45
	v_and_b32_e32 v194, 0x100000, v194
	v_and_b32_e32 v195, 0x10000000, v195
	;; [unrolled: 1-line block ×8, first 2 shown]
	v_or3_b32 v38, v192, v38, v193
	v_or3_b32 v41, v196, v41, v197
	v_or3_b32 v42, v199, v42, v200
	v_or3_b32 v43, v203, v43, v204
	v_or3_b32 v10, v10, v159, v160
	v_or3_b32 v9, v11, v163, v9
	v_or3_b32 v11, v13, v166, v167
	v_or3_b32 v12, v14, v170, v12
	v_or3_b32 v13, v31, v173, v174
	v_or3_b32 v14, v32, v177, v15
	v_or3_b32 v15, v35, v180, v181
	v_or3_b32 v31, v34, v184, v33
	v_or3_b32 v32, v36, v187, v188
	v_or3_b32 v23, v24, v191, v23
	v_lshlrev_b32_e32 v208, 18, v39
	v_lshlrev_b32_e32 v209, 25, v39
	v_and_b32_e32 v16, 0xf0f0f0f, v16
	v_lshlrev_b32_e32 v212, 2, v39
	v_lshlrev_b32_e32 v39, 9, v39
	;; [unrolled: 1-line block ×6, first 2 shown]
	v_and_b32_e32 v22, 0xf0f0f0f, v22
	v_lshlrev_b32_e32 v219, 2, v21
	v_lshlrev_b32_e32 v21, 9, v21
	v_and_b32_e32 v206, 16, v206
	v_and_b32_e32 v207, 0x1000, v207
	;; [unrolled: 1-line block ×6, first 2 shown]
	v_or3_b32 v24, v38, v194, v195
	v_or3_b32 v33, v41, v198, v37
	;; [unrolled: 1-line block ×4, first 2 shown]
	ds_write2_b32 v90, v10, v9 offset1:1
	ds_write2_b32 v94, v11, v12 offset1:1
	;; [unrolled: 1-line block ×7, first 2 shown]
	s_waitcnt vmcnt(14)
	v_and_b32_e32 v9, 0xf0f0f0f, v25
	v_and_b32_e32 v10, 16, v220
	;; [unrolled: 1-line block ×9, first 2 shown]
	v_or3_b32 v48, v206, v48, v207
	v_or3_b32 v16, v210, v16, v211
	v_or3_b32 v22, v217, v22, v218
	v_or3_b32 v9, v10, v9, v11
	v_lshrrev_b32_e32 v10, 4, v25
	v_lshrrev_b32_e32 v11, 12, v45
	;; [unrolled: 1-line block ×3, first 2 shown]
	v_and_b32_e32 v213, 16, v213
	v_and_b32_e32 v214, 0x1000, v214
	v_or3_b32 v36, v48, v208, v209
	v_or3_b32 v16, v16, v212, v39
	;; [unrolled: 1-line block ×3, first 2 shown]
	v_and_b32_e32 v10, 0xf0f0f0f, v10
	v_and_b32_e32 v11, 16, v11
	;; [unrolled: 1-line block ×3, first 2 shown]
	v_ashrrev_i32_e32 v21, v88, v44
	v_and_b32_e32 v215, 0x100000, v215
	v_and_b32_e32 v216, 0x10000000, v216
	v_or3_b32 v49, v213, v49, v214
	ds_write2_b32 v102, v36, v16 offset1:1
	v_lshlrev_b32_e32 v14, 18, v45
	v_lshlrev_b32_e32 v16, 25, v45
	v_or3_b32 v10, v11, v10, v15
	v_lshlrev_b32_e32 v11, 4, v21
	v_lshlrev_b32_e32 v15, 11, v21
	v_or3_b32 v12, v49, v215, v216
	v_and_b32_e32 v14, 0x100000, v14
	v_and_b32_e32 v16, 0x10000000, v16
	s_waitcnt vmcnt(13)
	v_and_b32_e32 v24, 0xf0f0f0f, v26
	v_and_b32_e32 v11, 16, v11
	;; [unrolled: 1-line block ×3, first 2 shown]
	v_lshlrev_b32_e32 v22, 2, v45
	v_lshlrev_b32_e32 v23, 9, v45
	ds_write2_b32 v103, v12, v13 offset1:1
	v_or3_b32 v9, v9, v14, v16
	v_or3_b32 v11, v11, v24, v15
	v_lshrrev_b32_e32 v13, 4, v26
	v_lshrrev_b32_e32 v14, 12, v21
	;; [unrolled: 1-line block ×3, first 2 shown]
	v_and_b32_e32 v22, 0x100000, v22
	v_and_b32_e32 v23, 0x10000000, v23
	;; [unrolled: 1-line block ×5, first 2 shown]
	v_ashrrev_i32_e32 v17, v88, v17
	v_or3_b32 v10, v10, v22, v23
	v_lshlrev_b32_e32 v12, 18, v21
	v_lshlrev_b32_e32 v16, 25, v21
	;; [unrolled: 1-line block ×4, first 2 shown]
	v_or3_b32 v13, v14, v13, v15
	v_lshlrev_b32_e32 v14, 4, v17
	v_lshlrev_b32_e32 v15, 11, v17
	v_and_b32_e32 v12, 0x100000, v12
	v_and_b32_e32 v16, 0x10000000, v16
	;; [unrolled: 1-line block ×4, first 2 shown]
	s_waitcnt vmcnt(12)
	v_and_b32_e32 v23, 0xf0f0f0f, v27
	v_and_b32_e32 v14, 16, v14
	;; [unrolled: 1-line block ×3, first 2 shown]
	ds_write2_b32 v105, v9, v10 offset1:1
	v_or3_b32 v9, v11, v12, v16
	v_or3_b32 v10, v13, v22, v21
	v_lshrrev_b32_e32 v13, 4, v27
	v_or3_b32 v12, v14, v23, v15
	v_lshrrev_b32_e32 v14, 12, v17
	v_lshrrev_b32_e32 v15, 5, v17
	s_waitcnt vmcnt(8)
	v_ashrrev_i32_e32 v21, v88, v46
	v_and_b32_e32 v13, 0xf0f0f0f, v13
	v_lshlrev_b32_e32 v11, 18, v17
	v_and_b32_e32 v14, 16, v14
	v_and_b32_e32 v15, 0x1000, v15
	v_lshlrev_b32_e32 v16, 25, v17
	v_lshlrev_b32_e32 v22, 2, v17
	;; [unrolled: 1-line block ×3, first 2 shown]
	v_and_b32_e32 v11, 0x100000, v11
	v_or3_b32 v13, v14, v13, v15
	v_lshlrev_b32_e32 v14, 4, v21
	v_lshlrev_b32_e32 v15, 11, v21
	v_and_b32_e32 v16, 0x10000000, v16
	v_and_b32_e32 v22, 0x100000, v22
	;; [unrolled: 1-line block ×3, first 2 shown]
	s_waitcnt vmcnt(7)
	v_and_b32_e32 v23, 0xf0f0f0f, v47
	v_and_b32_e32 v14, 16, v14
	;; [unrolled: 1-line block ×3, first 2 shown]
	ds_write2_b32 v106, v9, v10 offset1:1
	v_or3_b32 v9, v12, v11, v16
	v_or3_b32 v10, v13, v22, v17
	v_lshrrev_b32_e32 v13, 4, v47
	v_or3_b32 v12, v14, v23, v15
	v_lshrrev_b32_e32 v14, 12, v21
	v_lshrrev_b32_e32 v15, 5, v21
	v_ashrrev_i32_e32 v17, v88, v30
	v_and_b32_e32 v13, 0xf0f0f0f, v13
	v_lshlrev_b32_e32 v11, 18, v21
	v_and_b32_e32 v14, 16, v14
	v_and_b32_e32 v15, 0x1000, v15
	v_lshlrev_b32_e32 v16, 25, v21
	v_lshlrev_b32_e32 v22, 2, v21
	v_lshlrev_b32_e32 v21, 9, v21
	v_and_b32_e32 v11, 0x100000, v11
	v_or3_b32 v13, v14, v13, v15
	v_lshlrev_b32_e32 v14, 4, v17
	v_lshlrev_b32_e32 v15, 11, v17
	v_and_b32_e32 v16, 0x10000000, v16
	v_and_b32_e32 v22, 0x100000, v22
	;; [unrolled: 1-line block ×3, first 2 shown]
	s_waitcnt vmcnt(6)
	v_and_b32_e32 v23, 0xf0f0f0f, v6
	v_and_b32_e32 v14, 16, v14
	;; [unrolled: 1-line block ×3, first 2 shown]
	v_lshlrev_b32_e32 v24, 18, v17
	v_lshlrev_b32_e32 v25, 25, v17
	v_or3_b32 v11, v12, v11, v16
	v_or3_b32 v12, v13, v22, v21
	;; [unrolled: 1-line block ×3, first 2 shown]
	v_and_b32_e32 v14, 0x100000, v24
	v_and_b32_e32 v15, 0x10000000, v25
	v_lshrrev_b32_e32 v16, 12, v17
	v_lshrrev_b32_e32 v21, 5, v17
	v_ashrrev_i32_e32 v22, v88, v29
	v_lshrrev_b32_e32 v6, 4, v6
	v_or3_b32 v13, v13, v14, v15
	v_and_b32_e32 v14, 16, v16
	v_and_b32_e32 v15, 0x1000, v21
	v_lshlrev_b32_e32 v16, 4, v22
	v_lshlrev_b32_e32 v21, 11, v22
	s_waitcnt vmcnt(5)
	v_and_b32_e32 v24, 0xf0f0f0f, v2
	v_and_b32_e32 v6, 0xf0f0f0f, v6
	v_lshlrev_b32_e32 v23, 2, v17
	v_and_b32_e32 v16, 16, v16
	v_and_b32_e32 v21, 0x1000, v21
	v_lshrrev_b32_e32 v2, 4, v2
	v_or3_b32 v6, v14, v6, v15
	v_and_b32_e32 v14, 0x100000, v23
	v_lshrrev_b32_e32 v23, 5, v22
	v_or3_b32 v16, v16, v24, v21
	v_ashrrev_i32_e32 v24, v88, v28
	v_lshrrev_b32_e32 v21, 12, v22
	v_and_b32_e32 v2, 0xf0f0f0f, v2
	v_and_b32_e32 v23, 0x1000, v23
	s_waitcnt vmcnt(4)
	v_and_b32_e32 v29, 0xf0f0f0f, v3
	v_lshlrev_b32_e32 v26, 4, v24
	v_lshlrev_b32_e32 v27, 11, v24
	v_and_b32_e32 v21, 16, v21
	v_lshlrev_b32_e32 v17, 9, v17
	v_lshlrev_b32_e32 v25, 18, v22
	v_and_b32_e32 v26, 16, v26
	v_and_b32_e32 v27, 0x1000, v27
	v_lshlrev_b32_e32 v28, 2, v22
	v_or3_b32 v2, v21, v2, v23
	v_lshrrev_b32_e32 v3, 4, v3
	v_and_b32_e32 v15, 0x10000000, v17
	v_or3_b32 v23, v26, v29, v27
	v_lshrrev_b32_e32 v26, 12, v24
	v_lshrrev_b32_e32 v27, 5, v24
	v_and_b32_e32 v17, 0x100000, v25
	v_lshlrev_b32_e32 v25, 25, v22
	v_lshlrev_b32_e32 v22, 9, v22
	v_and_b32_e32 v21, 0x100000, v28
	v_lshlrev_b32_e32 v28, 18, v24
	v_lshlrev_b32_e32 v29, 25, v24
	v_and_b32_e32 v3, 0xf0f0f0f, v3
	v_and_b32_e32 v26, 16, v26
	v_and_b32_e32 v27, 0x1000, v27
	v_lshlrev_b32_e32 v30, 2, v24
	v_lshlrev_b32_e32 v24, 9, v24
	v_and_b32_e32 v25, 0x10000000, v25
	v_and_b32_e32 v22, 0x10000000, v22
	;; [unrolled: 1-line block ×4, first 2 shown]
	v_or3_b32 v3, v26, v3, v27
	v_and_b32_e32 v26, 0x100000, v30
	v_and_b32_e32 v24, 0x10000000, v24
	v_or3_b32 v6, v6, v14, v15
	v_or3_b32 v14, v16, v17, v25
	;; [unrolled: 1-line block ×5, first 2 shown]
	ds_write2_b32 v107, v9, v10 offset1:1
	ds_write2_b32 v108, v11, v12 offset1:1
	;; [unrolled: 1-line block ×5, first 2 shown]
	s_waitcnt vmcnt(3)
	ds_write_b32 v146, v4
	s_waitcnt vmcnt(2)
	ds_write_b32 v147, v5
	;; [unrolled: 2-line block ×4, first 2 shown]
	s_cbranch_scc0 .LBB123_5
; %bb.7:                                ;   in Loop: Header=BB123_6 Depth=1
	v_add_nc_u32_e32 v14, s14, v79
	v_add_nc_u32_e32 v158, s14, v18
	v_mov_b32_e32 v159, v140
	v_mov_b32_e32 v160, v133
	;; [unrolled: 1-line block ×3, first 2 shown]
	v_add_nc_u32_e32 v2, v14, v125
	v_add_nc_u32_e32 v4, v14, v126
	;; [unrolled: 1-line block ×5, first 2 shown]
	v_mad_u64_u32 v[12:13], null, v158, 36, s[2:3]
	v_mad_i64_i32 v[2:3], null, v2, 36, v[19:20]
	v_add_nc_u32_e32 v15, v14, v130
	v_mad_i64_i32 v[4:5], null, v4, 36, v[19:20]
	v_add_nc_u32_e32 v16, v14, v131
	;; [unrolled: 2-line block ×3, first 2 shown]
	v_mad_i64_i32 v[8:9], null, v8, 36, v[19:20]
	v_mad_i64_i32 v[10:11], null, v10, 36, v[19:20]
	;; [unrolled: 1-line block ×5, first 2 shown]
	s_clause 0x8
	global_load_dword v12, v[12:13], off
	global_load_dword v2, v[2:3], off offset:4
	global_load_dword v3, v[4:5], off offset:4
	;; [unrolled: 1-line block ×8, first 2 shown]
	v_mov_b32_e32 v162, v138
	v_mov_b32_e32 v163, v137
	;; [unrolled: 1-line block ×4, first 2 shown]
	s_mov_b32 s0, -4
	s_waitcnt vmcnt(8)
	ds_write_b32 v124, v12
	s_waitcnt vmcnt(7)
	ds_write_b32 v150, v2
	;; [unrolled: 2-line block ×9, first 2 shown]
	s_waitcnt lgkmcnt(0)
	s_barrier
	buffer_gl0_inv
.LBB123_8:                              ;   Parent Loop BB123_6 Depth=1
                                        ; =>  This Inner Loop Header: Depth=2
	v_add_nc_u32_e32 v10, 0x2080, v160
	ds_read_b128 v[6:9], v159
	ds_read2_b32 v[21:22], v160 offset1:1
	ds_read_b128 v[2:5], v159 offset:16
	v_mov_b32_e32 v167, 0
	v_mov_b32_e32 v166, 0
	ds_read2_b32 v[23:24], v10 offset1:1
	v_add_nc_u32_e32 v10, 0x4100, v160
	v_mov_b32_e32 v168, 0
	v_mov_b32_e32 v169, 0
	;; [unrolled: 1-line block ×3, first 2 shown]
	ds_read2_b32 v[31:32], v160 offset0:2 offset1:3
	ds_read2_b32 v[25:26], v10 offset1:1
	v_add_nc_u32_e32 v10, 0x6180, v160
	v_mov_b32_e32 v171, 0
	v_mov_b32_e32 v172, 0
	ds_read2_b32 v[41:42], v160 offset0:4 offset1:5
	v_mov_b32_e32 v173, 0
	ds_read2_b32 v[33:34], v10 offset1:1
	v_mov_b32_e32 v174, 0
	v_mov_b32_e32 v196, 0
	;; [unrolled: 1-line block ×3, first 2 shown]
	s_waitcnt lgkmcnt(6)
	v_dot4c_i32_i8 v167, v21, v6
	s_add_i32 s0, s0, 4
	ds_read_b128 v[13:16], v159 offset:2048
	s_cmp_lt_u32 s0, 12
	s_waitcnt lgkmcnt(5)
	v_dot4c_i32_i8 v166, v23, v6
	v_dot4c_i32_i8 v167, v22, v2
	ds_read_b128 v[175:178], v159 offset:3072
	ds_read_b128 v[180:183], v159 offset:4112
	;; [unrolled: 1-line block ×3, first 2 shown]
	v_dot4c_i32_i8 v166, v24, v2
	s_waitcnt lgkmcnt(6)
	v_dot4c_i32_i8 v168, v25, v6
	v_dot4c_i32_i8 v167, v31, v7
	ds_read_b128 v[188:191], v159 offset:6160
	ds_read_b128 v[192:195], v159 offset:7184
	v_dot4c_i32_i8 v168, v26, v2
	s_waitcnt lgkmcnt(6)
	v_dot4c_i32_i8 v169, v33, v6
	v_dot4c_i32_i8 v167, v32, v3
	;; [unrolled: 1-line block ×3, first 2 shown]
	v_add_nc_u32_e32 v2, 0x2088, v160
	v_dot4c_i32_i8 v167, v41, v8
	s_waitcnt lgkmcnt(5)
	v_dot4c_i32_i8 v173, v33, v13
	s_waitcnt lgkmcnt(4)
	v_dot4c_i32_i8 v174, v33, v175
	ds_read2_b32 v[35:36], v2 offset1:1
	v_add_nc_u32_e32 v2, 0x4108, v160
	v_dot4c_i32_i8 v167, v42, v4
	ds_read2_b32 v[39:40], v2 offset1:1
	v_add_nc_u32_e32 v2, 0x6188, v160
	ds_read2_b32 v[43:44], v2 offset1:1
	v_add_nc_u32_e32 v2, 0x2090, v160
	;; [unrolled: 2-line block ×3, first 2 shown]
	s_waitcnt lgkmcnt(3)
	v_dot4c_i32_i8 v166, v35, v7
	ds_read2_b32 v[47:48], v2 offset1:1
	v_add_nc_u32_e32 v2, 0x6190, v160
	s_waitcnt lgkmcnt(3)
	v_dot4c_i32_i8 v168, v39, v7
	v_dot4c_i32_i8 v166, v36, v3
	ds_read2_b32 v[49:50], v2 offset1:1
	v_dot4c_i32_i8 v168, v40, v3
	s_waitcnt lgkmcnt(3)
	v_dot4c_i32_i8 v169, v43, v7
	v_dot4c_i32_i8 v169, v44, v3
	s_waitcnt lgkmcnt(2)
	v_dot4c_i32_i8 v166, v45, v8
	ds_read2_b32 v[2:3], v160 offset0:6 offset1:7
	v_dot4c_i32_i8 v166, v46, v4
	s_waitcnt lgkmcnt(2)
	v_dot4c_i32_i8 v168, v47, v8
	v_dot4c_i32_i8 v168, v48, v4
	s_waitcnt lgkmcnt(1)
	v_dot4c_i32_i8 v169, v49, v8
	v_dot4c_i32_i8 v169, v50, v4
	v_add_nc_u32_e32 v4, 0x2098, v160
	ds_read2_b32 v[27:28], v4 offset1:1
	v_add_nc_u32_e32 v4, 0x4118, v160
	s_waitcnt lgkmcnt(1)
	v_dot4c_i32_i8 v167, v2, v9
	ds_read2_b32 v[29:30], v4 offset1:1
	v_add_nc_u32_e32 v4, 0x6198, v160
	v_dot4c_i32_i8 v167, v3, v5
	v_add_nc_u32_e32 v160, 32, v160
	ds_read2_b32 v[37:38], v4 offset1:1
	v_mov_b32_e32 v4, 0
	s_waitcnt lgkmcnt(2)
	v_dot4c_i32_i8 v166, v27, v9
	v_dot4c_i32_i8 v166, v28, v5
	s_waitcnt lgkmcnt(1)
	v_dot4c_i32_i8 v168, v29, v9
	v_dot4c_i32_i8 v168, v30, v5
	s_waitcnt lgkmcnt(0)
	v_dot4c_i32_i8 v169, v37, v9
	ds_read_b128 v[9:12], v159 offset:1024
	v_dot4c_i32_i8 v169, v38, v5
	s_waitcnt lgkmcnt(0)
	v_dot4c_i32_i8 v4, v21, v9
	v_dot4c_i32_i8 v170, v23, v9
	v_dot4c_i32_i8 v171, v25, v9
	v_dot4c_i32_i8 v172, v33, v9
	ds_read_b128 v[6:9], v159 offset:1040
	s_waitcnt lgkmcnt(0)
	v_dot4c_i32_i8 v4, v22, v6
	v_dot4c_i32_i8 v170, v24, v6
	v_dot4c_i32_i8 v171, v26, v6
	v_dot4c_i32_i8 v172, v34, v6
	v_mov_b32_e32 v6, 0
	v_dot4c_i32_i8 v4, v31, v10
	v_dot4c_i32_i8 v170, v35, v10
	v_dot4c_i32_i8 v171, v39, v10
	v_dot4c_i32_i8 v172, v43, v10
	v_dot4c_i32_i8 v6, v21, v13
	v_dot4c_i32_i8 v4, v32, v7
	v_dot4c_i32_i8 v170, v36, v7
	v_dot4c_i32_i8 v171, v40, v7
	v_dot4c_i32_i8 v172, v44, v7
	v_mov_b32_e32 v7, 0
	v_dot4c_i32_i8 v4, v41, v11
	v_dot4c_i32_i8 v170, v45, v11
	v_dot4c_i32_i8 v171, v47, v11
	v_dot4c_i32_i8 v172, v49, v11
	v_dot4c_i32_i8 v7, v23, v13
	;; [unrolled: 10-line block ×3, first 2 shown]
	ds_read_b128 v[10:13], v159 offset:2064
	v_dot4c_i32_i8 v4, v3, v9
	v_dot4c_i32_i8 v170, v28, v9
	;; [unrolled: 1-line block ×4, first 2 shown]
	v_cvt_f32_i32_e32 v4, v4
	s_waitcnt lgkmcnt(0)
	v_dot4c_i32_i8 v6, v22, v10
	v_dot4c_i32_i8 v7, v24, v10
	;; [unrolled: 1-line block ×4, first 2 shown]
	v_mov_b32_e32 v10, 0
	v_dot4c_i32_i8 v6, v31, v14
	v_dot4c_i32_i8 v7, v35, v14
	v_dot4c_i32_i8 v8, v39, v14
	v_dot4c_i32_i8 v173, v43, v14
	v_dot4c_i32_i8 v10, v21, v175
	v_dot4c_i32_i8 v6, v32, v11
	v_dot4c_i32_i8 v7, v36, v11
	v_dot4c_i32_i8 v8, v40, v11
	v_dot4c_i32_i8 v173, v44, v11
	v_mov_b32_e32 v11, 0
	v_dot4c_i32_i8 v6, v41, v15
	v_dot4c_i32_i8 v7, v45, v15
	v_dot4c_i32_i8 v8, v47, v15
	v_dot4c_i32_i8 v173, v49, v15
	v_dot4c_i32_i8 v11, v23, v175
	v_dot4c_i32_i8 v6, v42, v12
	v_dot4c_i32_i8 v7, v46, v12
	v_dot4c_i32_i8 v8, v48, v12
	v_dot4c_i32_i8 v173, v50, v12
	v_mov_b32_e32 v12, 0
	v_dot4c_i32_i8 v6, v2, v16
	v_dot4c_i32_i8 v7, v27, v16
	;; [unrolled: 1-line block ×4, first 2 shown]
	ds_read_b128 v[14:17], v159 offset:3088
	v_dot4c_i32_i8 v12, v25, v175
	v_mov_b32_e32 v175, 0
	v_dot4c_i32_i8 v6, v3, v13
	v_dot4c_i32_i8 v7, v28, v13
	;; [unrolled: 1-line block ×4, first 2 shown]
	v_cvt_f32_i32_e32 v6, v6
	s_waitcnt lgkmcnt(0)
	v_dot4c_i32_i8 v10, v22, v14
	v_dot4c_i32_i8 v11, v24, v14
	v_dot4c_i32_i8 v12, v26, v14
	v_dot4c_i32_i8 v174, v34, v14
	v_mov_b32_e32 v14, 0
	v_dot4c_i32_i8 v10, v31, v176
	v_dot4c_i32_i8 v11, v35, v176
	v_dot4c_i32_i8 v12, v39, v176
	v_dot4c_i32_i8 v174, v43, v176
	v_dot4c_i32_i8 v10, v32, v15
	v_dot4c_i32_i8 v11, v36, v15
	v_dot4c_i32_i8 v12, v40, v15
	v_dot4c_i32_i8 v174, v44, v15
	v_mov_b32_e32 v15, 0
	v_dot4c_i32_i8 v10, v41, v177
	v_dot4c_i32_i8 v11, v45, v177
	v_dot4c_i32_i8 v12, v47, v177
	v_dot4c_i32_i8 v174, v49, v177
	;; [unrolled: 9-line block ×3, first 2 shown]
	ds_read_b128 v[176:179], v159 offset:4096
	v_dot4c_i32_i8 v10, v3, v17
	v_dot4c_i32_i8 v11, v28, v17
	;; [unrolled: 1-line block ×4, first 2 shown]
	v_cvt_f32_i32_e32 v10, v10
	s_waitcnt lgkmcnt(0)
	v_dot4c_i32_i8 v15, v21, v176
	v_dot4c_i32_i8 v14, v23, v176
	;; [unrolled: 1-line block ×4, first 2 shown]
	v_mov_b32_e32 v176, 0
	v_dot4c_i32_i8 v15, v22, v180
	v_dot4c_i32_i8 v14, v24, v180
	;; [unrolled: 1-line block ×12, first 2 shown]
	v_mov_b32_e32 v181, 0
	v_dot4c_i32_i8 v15, v41, v178
	v_dot4c_i32_i8 v14, v45, v178
	;; [unrolled: 1-line block ×8, first 2 shown]
	v_mov_b32_e32 v182, 0
	v_dot4c_i32_i8 v15, v2, v179
	v_dot4c_i32_i8 v14, v27, v179
	;; [unrolled: 1-line block ×4, first 2 shown]
	ds_read_b128 v[177:180], v159 offset:5120
	v_dot4c_i32_i8 v15, v3, v183
	v_dot4c_i32_i8 v14, v28, v183
	;; [unrolled: 1-line block ×4, first 2 shown]
	v_cvt_f32_i32_e32 v15, v15
	v_cvt_f32_i32_e32 v14, v14
	s_waitcnt lgkmcnt(0)
	v_dot4c_i32_i8 v181, v21, v177
	v_dot4c_i32_i8 v176, v23, v177
	v_dot4c_i32_i8 v182, v25, v177
	v_dot4c_i32_i8 v196, v33, v177
	v_dot4c_i32_i8 v181, v22, v184
	v_dot4c_i32_i8 v176, v24, v184
	v_dot4c_i32_i8 v182, v26, v184
	v_dot4c_i32_i8 v196, v34, v184
	v_mov_b32_e32 v184, 0
	v_dot4c_i32_i8 v181, v31, v178
	v_dot4c_i32_i8 v176, v35, v178
	v_dot4c_i32_i8 v182, v39, v178
	v_dot4c_i32_i8 v196, v43, v178
	v_dot4c_i32_i8 v181, v32, v185
	v_dot4c_i32_i8 v176, v36, v185
	v_dot4c_i32_i8 v182, v40, v185
	v_dot4c_i32_i8 v196, v44, v185
	v_mov_b32_e32 v185, 0
	;; [unrolled: 9-line block ×3, first 2 shown]
	v_dot4c_i32_i8 v181, v2, v180
	v_dot4c_i32_i8 v176, v27, v180
	;; [unrolled: 1-line block ×4, first 2 shown]
	ds_read_b128 v[177:180], v159 offset:6144
	v_dot4c_i32_i8 v181, v3, v187
	v_dot4c_i32_i8 v176, v28, v187
	;; [unrolled: 1-line block ×4, first 2 shown]
	s_waitcnt lgkmcnt(0)
	v_dot4c_i32_i8 v184, v21, v177
	v_dot4c_i32_i8 v185, v23, v177
	;; [unrolled: 1-line block ×8, first 2 shown]
	v_mov_b32_e32 v188, 0
	v_dot4c_i32_i8 v184, v31, v178
	v_dot4c_i32_i8 v185, v35, v178
	v_dot4c_i32_i8 v186, v39, v178
	v_dot4c_i32_i8 v197, v43, v178
	v_dot4c_i32_i8 v184, v32, v189
	v_dot4c_i32_i8 v185, v36, v189
	v_dot4c_i32_i8 v186, v40, v189
	v_dot4c_i32_i8 v197, v44, v189
	v_dot4c_i32_i8 v184, v41, v179
	v_dot4c_i32_i8 v185, v45, v179
	v_dot4c_i32_i8 v186, v47, v179
	v_dot4c_i32_i8 v197, v49, v179
	v_dot4c_i32_i8 v184, v42, v190
	v_dot4c_i32_i8 v185, v46, v190
	v_dot4c_i32_i8 v186, v48, v190
	v_dot4c_i32_i8 v197, v50, v190
	v_dot4c_i32_i8 v184, v2, v180
	v_dot4c_i32_i8 v185, v27, v180
	v_dot4c_i32_i8 v186, v29, v180
	v_dot4c_i32_i8 v197, v37, v180
	ds_read_b128 v[177:180], v159 offset:7168
	v_dot4c_i32_i8 v184, v3, v191
	v_dot4c_i32_i8 v185, v28, v191
	;; [unrolled: 1-line block ×4, first 2 shown]
	v_add_nc_u32_e32 v159, 32, v159
	s_waitcnt lgkmcnt(0)
	v_dot4c_i32_i8 v188, v21, v177
	v_mov_b32_e32 v21, 0
	v_dot4c_i32_i8 v188, v22, v192
	v_mov_b32_e32 v22, 0
	;; [unrolled: 2-line block ×3, first 2 shown]
	v_dot4c_i32_i8 v188, v31, v178
	v_dot4c_i32_i8 v22, v25, v177
	;; [unrolled: 1-line block ×21, first 2 shown]
	ds_read_b32 v5, v162
	ds_read_b32 v9, v163
	;; [unrolled: 1-line block ×4, first 2 shown]
	ds_read2_b32 v[2:3], v161 offset1:32
	v_dot4c_i32_i8 v22, v48, v194
	v_dot4c_i32_i8 v21, v27, v180
	;; [unrolled: 1-line block ×3, first 2 shown]
	v_add_nc_u32_e32 v165, 4, v165
	v_add_nc_u32_e32 v164, 4, v164
	v_dot4c_i32_i8 v22, v29, v180
	v_dot4c_i32_i8 v21, v28, v195
	;; [unrolled: 1-line block ×3, first 2 shown]
	v_add_nc_u32_e32 v163, 4, v163
	v_add_nc_u32_e32 v162, 4, v162
	v_dot4c_i32_i8 v22, v30, v195
	v_dot4c_i32_i8 v23, v38, v195
	s_waitcnt lgkmcnt(0)
	v_pk_mul_f16 v24, v2, v5
	v_pk_mul_f16 v25, v2, v9
	v_pk_mul_f16 v26, v2, v13
	v_pk_mul_f16 v27, v2, v17
	v_pk_mul_f16 v28, v5, v3
	v_pk_mul_f16 v29, v9, v3
	v_pk_mul_f16 v30, v13, v3
	v_pk_mul_f16 v31, v17, v3
	ds_read2_b32 v[2:3], v161 offset0:64 offset1:96
	v_fma_mix_f32 v4, v4, v28, v28 op_sel:[0,0,1] op_sel_hi:[0,1,1]
	v_cvt_f32_i32_e32 v28, v184
	v_add_f32_e32 v85, v85, v4
	v_cvt_f32_i32_e32 v4, v170
	v_fma_mix_f32 v4, v4, v29, v29 op_sel:[0,0,1] op_sel_hi:[0,1,1]
	v_cvt_f32_i32_e32 v29, v172
	v_add_f32_e32 v83, v83, v4
	v_fma_mix_f32 v29, v29, v31, v31 op_sel:[0,0,1] op_sel_hi:[0,1,1]
	v_cvt_f32_i32_e32 v31, v196
	s_waitcnt lgkmcnt(0)
	v_pk_mul_f16 v32, v5, v2
	v_pk_mul_f16 v33, v9, v2
	;; [unrolled: 1-line block ×8, first 2 shown]
	ds_read2_b32 v[2:3], v161 offset0:128 offset1:160
	v_fma_mix_f32 v6, v6, v32, v32 op_sel:[0,0,1] op_sel_hi:[0,1,1]
	v_cvt_f32_i32_e32 v32, v188
	v_fma_mix_f32 v10, v10, v36, v36 op_sel:[0,0,1] op_sel_hi:[0,1,1]
	v_add_f32_e32 v81, v81, v29
	v_add_f32_e32 v77, v77, v6
	v_cvt_f32_i32_e32 v6, v7
	v_cvt_f32_i32_e32 v7, v8
	;; [unrolled: 1-line block ×3, first 2 shown]
	v_add_f32_e32 v72, v72, v10
	v_cvt_f32_i32_e32 v10, v11
	v_fma_mix_f32 v6, v6, v33, v33 op_sel:[0,0,1] op_sel_hi:[0,1,1]
	v_cvt_f32_i32_e32 v11, v12
	v_cvt_f32_i32_e32 v12, v174
	;; [unrolled: 1-line block ×3, first 2 shown]
	v_fma_mix_f32 v7, v7, v34, v34 op_sel:[0,0,1] op_sel_hi:[0,1,1]
	v_fma_mix_f32 v8, v8, v35, v35 op_sel:[0,0,1] op_sel_hi:[0,1,1]
	;; [unrolled: 1-line block ×4, first 2 shown]
	s_waitcnt lgkmcnt(0)
	v_pk_mul_f16 v40, v5, v2
	v_pk_mul_f16 v41, v9, v2
	;; [unrolled: 1-line block ×8, first 2 shown]
	ds_read2_b32 v[2:3], v161 offset0:192 offset1:224
	v_fma_mix_f32 v15, v15, v40, v40 op_sel:[0,0,1] op_sel_hi:[0,1,1]
	v_fma_mix_f32 v12, v12, v39, v39 op_sel:[0,0,1] op_sel_hi:[0,1,1]
	v_fma_mix_f32 v14, v14, v41, v41 op_sel:[0,0,1] op_sel_hi:[0,1,1]
	v_fma_mix_f32 v31, v31, v47, v47 op_sel:[0,0,1] op_sel_hi:[0,1,1]
	v_add_f32_e32 v76, v76, v6
	v_add_f32_e32 v67, v67, v15
	v_cvt_f32_i32_e32 v15, v16
	v_cvt_f32_i32_e32 v16, v175
	v_add_f32_e32 v75, v75, v7
	v_add_f32_e32 v73, v73, v8
	;; [unrolled: 1-line block ×3, first 2 shown]
	v_fma_mix_f32 v15, v15, v42, v42 op_sel:[0,0,1] op_sel_hi:[0,1,1]
	v_fma_mix_f32 v16, v16, v43, v43 op_sel:[0,0,1] op_sel_hi:[0,1,1]
	v_add_nc_u32_e32 v161, 4, v161
	v_add_f32_e32 v70, v70, v11
	v_add_f32_e32 v69, v69, v12
	;; [unrolled: 1-line block ×5, first 2 shown]
	s_waitcnt lgkmcnt(0)
	v_pk_mul_f16 v48, v5, v2
	v_pk_mul_f16 v5, v5, v3
	;; [unrolled: 1-line block ×8, first 2 shown]
	v_cvt_f32_i32_e32 v17, v167
	v_fma_mix_f32 v5, v32, v5, v5 op_sel:[0,0,1] op_sel_hi:[0,1,1]
	v_fma_mix_f32 v28, v28, v48, v48 op_sel:[0,0,1] op_sel_hi:[0,1,1]
	v_cvt_f32_i32_e32 v32, v186
	v_fma_mix_f32 v2, v33, v2, v2 op_sel:[0,0,1] op_sel_hi:[0,1,1]
	v_fma_mix_f32 v17, v24, v17, v24 op_sel:[0,0,1] op_sel_hi:[1,0,1]
	v_cvt_f32_i32_e32 v24, v181
	v_add_f32_e32 v54, v54, v5
	v_cvt_f32_i32_e32 v5, v21
	v_add_f32_e32 v58, v58, v28
	v_add_f32_e32 v68, v68, v17
	v_cvt_f32_i32_e32 v17, v166
	v_fma_mix_f32 v24, v24, v44, v44 op_sel:[0,0,1] op_sel_hi:[0,1,1]
	v_fma_mix_f32 v5, v5, v9, v9 op_sel:[0,0,1] op_sel_hi:[0,1,1]
	v_cvt_f32_i32_e32 v9, v22
	v_cvt_f32_i32_e32 v28, v185
	v_fma_mix_f32 v17, v25, v17, v25 op_sel:[0,0,1] op_sel_hi:[1,0,1]
	v_cvt_f32_i32_e32 v25, v168
	v_add_f32_e32 v62, v62, v24
	v_cvt_f32_i32_e32 v24, v176
	v_fma_mix_f32 v9, v9, v13, v13 op_sel:[0,0,1] op_sel_hi:[0,1,1]
	v_cvt_f32_i32_e32 v13, v23
	v_fma_mix_f32 v25, v26, v25, v26 op_sel:[0,0,1] op_sel_hi:[1,0,1]
	;; [unrolled: 2-line block ×3, first 2 shown]
	v_fma_mix_f32 v28, v28, v49, v49 op_sel:[0,0,1] op_sel_hi:[0,1,1]
	v_fma_mix_f32 v32, v32, v50, v50 op_sel:[0,0,1] op_sel_hi:[0,1,1]
	;; [unrolled: 1-line block ×4, first 2 shown]
	v_cvt_f32_i32_e32 v27, v171
	v_add_f32_e32 v109, v109, v17
	v_add_f32_e32 v92, v92, v25
	v_add_f32_e32 v61, v61, v24
	v_add_f32_e32 v87, v87, v26
	v_fma_mix_f32 v27, v27, v30, v30 op_sel:[0,0,1] op_sel_hi:[0,1,1]
	v_cvt_f32_i32_e32 v30, v182
	v_add_f32_e32 v59, v59, v31
	v_add_f32_e32 v57, v57, v28
	;; [unrolled: 1-line block ×4, first 2 shown]
	v_fma_mix_f32 v30, v30, v46, v46 op_sel:[0,0,1] op_sel_hi:[0,1,1]
	v_add_f32_e32 v55, v55, v2
	v_add_f32_e32 v53, v53, v5
	;; [unrolled: 1-line block ×5, first 2 shown]
	s_cbranch_scc1 .LBB123_8
; %bb.9:                                ;   in Loop: Header=BB123_6 Depth=1
	s_and_b32 s0, s11, -4
	s_cmp_eq_u32 s0, 4
	s_barrier
	buffer_gl0_inv
	s_cbranch_scc1 .LBB123_5
; %bb.10:                               ;   in Loop: Header=BB123_6 Depth=1
	v_add_nc_u32_e32 v14, s14, v134
	v_add_nc_u32_e32 v12, 4, v158
	v_mov_b32_e32 v158, v139
	v_mov_b32_e32 v159, v140
	;; [unrolled: 1-line block ×3, first 2 shown]
	v_add_nc_u32_e32 v2, v14, v125
	v_add_nc_u32_e32 v4, v14, v126
	;; [unrolled: 1-line block ×5, first 2 shown]
	v_mad_u64_u32 v[12:13], null, v12, 36, s[2:3]
	v_mad_i64_i32 v[2:3], null, v2, 36, v[19:20]
	v_add_nc_u32_e32 v15, v14, v130
	v_mad_i64_i32 v[4:5], null, v4, 36, v[19:20]
	v_add_nc_u32_e32 v16, v14, v131
	v_mad_i64_i32 v[6:7], null, v6, 36, v[19:20]
	v_add_nc_u32_e32 v21, v14, v132
	v_mad_i64_i32 v[8:9], null, v8, 36, v[19:20]
	v_mad_i64_i32 v[10:11], null, v10, 36, v[19:20]
	v_mad_i64_i32 v[14:15], null, v15, 36, v[19:20]
	v_mad_i64_i32 v[16:17], null, v16, 36, v[19:20]
	v_mad_i64_i32 v[21:22], null, v21, 36, v[19:20]
	s_clause 0x8
	global_load_dword v12, v[12:13], off
	global_load_dword v2, v[2:3], off offset:4
	global_load_dword v3, v[4:5], off offset:4
	;; [unrolled: 1-line block ×8, first 2 shown]
	v_mov_b32_e32 v161, v144
	v_mov_b32_e32 v162, v143
	v_mov_b32_e32 v163, v142
	v_mov_b32_e32 v164, v141
	s_mov_b32 s0, 12
	s_waitcnt vmcnt(8)
	ds_write_b32 v124, v12
	s_waitcnt vmcnt(7)
	ds_write_b32 v150, v2
	;; [unrolled: 2-line block ×9, first 2 shown]
	s_waitcnt lgkmcnt(0)
	s_barrier
	buffer_gl0_inv
.LBB123_11:                             ;   Parent Loop BB123_6 Depth=1
                                        ; =>  This Inner Loop Header: Depth=2
	v_add_nc_u32_e32 v10, 0x2080, v160
	ds_read_b128 v[6:9], v159
	ds_read2_b32 v[21:22], v160 offset1:1
	ds_read_b128 v[2:5], v159 offset:16
	v_mov_b32_e32 v166, 0
	v_mov_b32_e32 v165, 0
	ds_read2_b32 v[23:24], v10 offset1:1
	v_add_nc_u32_e32 v10, 0x4100, v160
	v_mov_b32_e32 v167, 0
	v_mov_b32_e32 v168, 0
	;; [unrolled: 1-line block ×3, first 2 shown]
	ds_read2_b32 v[31:32], v160 offset0:2 offset1:3
	ds_read2_b32 v[25:26], v10 offset1:1
	v_add_nc_u32_e32 v10, 0x6180, v160
	v_mov_b32_e32 v170, 0
	v_mov_b32_e32 v171, 0
	ds_read2_b32 v[41:42], v160 offset0:4 offset1:5
	v_mov_b32_e32 v172, 0
	ds_read2_b32 v[33:34], v10 offset1:1
	v_mov_b32_e32 v173, 0
	v_mov_b32_e32 v195, 0
	v_mov_b32_e32 v196, 0
	s_waitcnt lgkmcnt(6)
	v_dot4c_i32_i8 v166, v21, v6
	s_add_i32 s0, s0, 4
	ds_read_b128 v[13:16], v159 offset:2048
	s_cmp_lt_u32 s0, 28
	s_waitcnt lgkmcnt(5)
	v_dot4c_i32_i8 v165, v23, v6
	v_dot4c_i32_i8 v166, v22, v2
	ds_read_b128 v[174:177], v159 offset:3072
	ds_read_b128 v[179:182], v159 offset:4112
	;; [unrolled: 1-line block ×3, first 2 shown]
	v_dot4c_i32_i8 v165, v24, v2
	s_waitcnt lgkmcnt(6)
	v_dot4c_i32_i8 v167, v25, v6
	v_dot4c_i32_i8 v166, v31, v7
	ds_read_b128 v[187:190], v159 offset:6160
	ds_read_b128 v[191:194], v159 offset:7184
	v_dot4c_i32_i8 v167, v26, v2
	s_waitcnt lgkmcnt(6)
	v_dot4c_i32_i8 v168, v33, v6
	v_dot4c_i32_i8 v166, v32, v3
	;; [unrolled: 1-line block ×3, first 2 shown]
	v_add_nc_u32_e32 v2, 0x2088, v160
	v_dot4c_i32_i8 v166, v41, v8
	s_waitcnt lgkmcnt(5)
	v_dot4c_i32_i8 v172, v33, v13
	s_waitcnt lgkmcnt(4)
	v_dot4c_i32_i8 v173, v33, v174
	ds_read2_b32 v[35:36], v2 offset1:1
	v_add_nc_u32_e32 v2, 0x4108, v160
	v_dot4c_i32_i8 v166, v42, v4
	ds_read2_b32 v[39:40], v2 offset1:1
	v_add_nc_u32_e32 v2, 0x6188, v160
	ds_read2_b32 v[43:44], v2 offset1:1
	v_add_nc_u32_e32 v2, 0x2090, v160
	;; [unrolled: 2-line block ×3, first 2 shown]
	s_waitcnt lgkmcnt(3)
	v_dot4c_i32_i8 v165, v35, v7
	ds_read2_b32 v[47:48], v2 offset1:1
	v_add_nc_u32_e32 v2, 0x6190, v160
	s_waitcnt lgkmcnt(3)
	v_dot4c_i32_i8 v167, v39, v7
	v_dot4c_i32_i8 v165, v36, v3
	ds_read2_b32 v[49:50], v2 offset1:1
	v_dot4c_i32_i8 v167, v40, v3
	s_waitcnt lgkmcnt(3)
	v_dot4c_i32_i8 v168, v43, v7
	v_dot4c_i32_i8 v168, v44, v3
	s_waitcnt lgkmcnt(2)
	v_dot4c_i32_i8 v165, v45, v8
	ds_read2_b32 v[2:3], v160 offset0:6 offset1:7
	v_dot4c_i32_i8 v165, v46, v4
	s_waitcnt lgkmcnt(2)
	v_dot4c_i32_i8 v167, v47, v8
	v_dot4c_i32_i8 v167, v48, v4
	s_waitcnt lgkmcnt(1)
	v_dot4c_i32_i8 v168, v49, v8
	v_dot4c_i32_i8 v168, v50, v4
	v_add_nc_u32_e32 v4, 0x2098, v160
	ds_read2_b32 v[27:28], v4 offset1:1
	v_add_nc_u32_e32 v4, 0x4118, v160
	s_waitcnt lgkmcnt(1)
	v_dot4c_i32_i8 v166, v2, v9
	ds_read2_b32 v[29:30], v4 offset1:1
	v_add_nc_u32_e32 v4, 0x6198, v160
	v_dot4c_i32_i8 v166, v3, v5
	v_add_nc_u32_e32 v160, 32, v160
	ds_read2_b32 v[37:38], v4 offset1:1
	v_mov_b32_e32 v4, 0
	s_waitcnt lgkmcnt(2)
	v_dot4c_i32_i8 v165, v27, v9
	v_dot4c_i32_i8 v165, v28, v5
	s_waitcnt lgkmcnt(1)
	v_dot4c_i32_i8 v167, v29, v9
	v_dot4c_i32_i8 v167, v30, v5
	s_waitcnt lgkmcnt(0)
	v_dot4c_i32_i8 v168, v37, v9
	ds_read_b128 v[9:12], v159 offset:1024
	v_dot4c_i32_i8 v168, v38, v5
	s_waitcnt lgkmcnt(0)
	v_dot4c_i32_i8 v4, v21, v9
	v_dot4c_i32_i8 v169, v23, v9
	;; [unrolled: 1-line block ×4, first 2 shown]
	ds_read_b128 v[6:9], v159 offset:1040
	s_waitcnt lgkmcnt(0)
	v_dot4c_i32_i8 v4, v22, v6
	v_dot4c_i32_i8 v169, v24, v6
	v_dot4c_i32_i8 v170, v26, v6
	v_dot4c_i32_i8 v171, v34, v6
	v_mov_b32_e32 v6, 0
	v_dot4c_i32_i8 v4, v31, v10
	v_dot4c_i32_i8 v169, v35, v10
	v_dot4c_i32_i8 v170, v39, v10
	v_dot4c_i32_i8 v171, v43, v10
	v_dot4c_i32_i8 v6, v21, v13
	v_dot4c_i32_i8 v4, v32, v7
	v_dot4c_i32_i8 v169, v36, v7
	v_dot4c_i32_i8 v170, v40, v7
	v_dot4c_i32_i8 v171, v44, v7
	v_mov_b32_e32 v7, 0
	v_dot4c_i32_i8 v4, v41, v11
	v_dot4c_i32_i8 v169, v45, v11
	v_dot4c_i32_i8 v170, v47, v11
	v_dot4c_i32_i8 v171, v49, v11
	v_dot4c_i32_i8 v7, v23, v13
	;; [unrolled: 10-line block ×3, first 2 shown]
	ds_read_b128 v[10:13], v159 offset:2064
	v_dot4c_i32_i8 v4, v3, v9
	v_dot4c_i32_i8 v169, v28, v9
	;; [unrolled: 1-line block ×4, first 2 shown]
	v_cvt_f32_i32_e32 v4, v4
	s_waitcnt lgkmcnt(0)
	v_dot4c_i32_i8 v6, v22, v10
	v_dot4c_i32_i8 v7, v24, v10
	;; [unrolled: 1-line block ×4, first 2 shown]
	v_mov_b32_e32 v10, 0
	v_dot4c_i32_i8 v6, v31, v14
	v_dot4c_i32_i8 v7, v35, v14
	;; [unrolled: 1-line block ×9, first 2 shown]
	v_mov_b32_e32 v11, 0
	v_dot4c_i32_i8 v6, v41, v15
	v_dot4c_i32_i8 v7, v45, v15
	;; [unrolled: 1-line block ×9, first 2 shown]
	v_mov_b32_e32 v12, 0
	v_dot4c_i32_i8 v6, v2, v16
	v_dot4c_i32_i8 v7, v27, v16
	;; [unrolled: 1-line block ×4, first 2 shown]
	ds_read_b128 v[14:17], v159 offset:3088
	v_dot4c_i32_i8 v12, v25, v174
	v_mov_b32_e32 v174, 0
	v_dot4c_i32_i8 v6, v3, v13
	v_dot4c_i32_i8 v7, v28, v13
	;; [unrolled: 1-line block ×4, first 2 shown]
	v_cvt_f32_i32_e32 v6, v6
	s_waitcnt lgkmcnt(0)
	v_dot4c_i32_i8 v10, v22, v14
	v_dot4c_i32_i8 v11, v24, v14
	v_dot4c_i32_i8 v12, v26, v14
	v_dot4c_i32_i8 v173, v34, v14
	v_mov_b32_e32 v14, 0
	v_dot4c_i32_i8 v10, v31, v175
	v_dot4c_i32_i8 v11, v35, v175
	v_dot4c_i32_i8 v12, v39, v175
	v_dot4c_i32_i8 v173, v43, v175
	v_dot4c_i32_i8 v10, v32, v15
	v_dot4c_i32_i8 v11, v36, v15
	v_dot4c_i32_i8 v12, v40, v15
	v_dot4c_i32_i8 v173, v44, v15
	v_mov_b32_e32 v15, 0
	v_dot4c_i32_i8 v10, v41, v176
	v_dot4c_i32_i8 v11, v45, v176
	v_dot4c_i32_i8 v12, v47, v176
	v_dot4c_i32_i8 v173, v49, v176
	;; [unrolled: 9-line block ×3, first 2 shown]
	ds_read_b128 v[175:178], v159 offset:4096
	v_dot4c_i32_i8 v10, v3, v17
	v_dot4c_i32_i8 v11, v28, v17
	v_dot4c_i32_i8 v12, v30, v17
	v_dot4c_i32_i8 v173, v38, v17
	v_cvt_f32_i32_e32 v10, v10
	s_waitcnt lgkmcnt(0)
	v_dot4c_i32_i8 v15, v21, v175
	v_dot4c_i32_i8 v14, v23, v175
	;; [unrolled: 1-line block ×4, first 2 shown]
	v_mov_b32_e32 v175, 0
	v_dot4c_i32_i8 v15, v22, v179
	v_dot4c_i32_i8 v14, v24, v179
	;; [unrolled: 1-line block ×12, first 2 shown]
	v_mov_b32_e32 v180, 0
	v_dot4c_i32_i8 v15, v41, v177
	v_dot4c_i32_i8 v14, v45, v177
	;; [unrolled: 1-line block ×8, first 2 shown]
	v_mov_b32_e32 v181, 0
	v_dot4c_i32_i8 v15, v2, v178
	v_dot4c_i32_i8 v14, v27, v178
	;; [unrolled: 1-line block ×4, first 2 shown]
	ds_read_b128 v[176:179], v159 offset:5120
	v_dot4c_i32_i8 v15, v3, v182
	v_dot4c_i32_i8 v14, v28, v182
	;; [unrolled: 1-line block ×4, first 2 shown]
	v_cvt_f32_i32_e32 v15, v15
	v_cvt_f32_i32_e32 v14, v14
	s_waitcnt lgkmcnt(0)
	v_dot4c_i32_i8 v180, v21, v176
	v_dot4c_i32_i8 v175, v23, v176
	v_dot4c_i32_i8 v181, v25, v176
	v_dot4c_i32_i8 v195, v33, v176
	v_dot4c_i32_i8 v180, v22, v183
	v_dot4c_i32_i8 v175, v24, v183
	v_dot4c_i32_i8 v181, v26, v183
	v_dot4c_i32_i8 v195, v34, v183
	v_mov_b32_e32 v183, 0
	v_dot4c_i32_i8 v180, v31, v177
	v_dot4c_i32_i8 v175, v35, v177
	v_dot4c_i32_i8 v181, v39, v177
	v_dot4c_i32_i8 v195, v43, v177
	v_dot4c_i32_i8 v180, v32, v184
	v_dot4c_i32_i8 v175, v36, v184
	v_dot4c_i32_i8 v181, v40, v184
	v_dot4c_i32_i8 v195, v44, v184
	v_mov_b32_e32 v184, 0
	;; [unrolled: 9-line block ×3, first 2 shown]
	v_dot4c_i32_i8 v180, v2, v179
	v_dot4c_i32_i8 v175, v27, v179
	;; [unrolled: 1-line block ×4, first 2 shown]
	ds_read_b128 v[176:179], v159 offset:6144
	v_dot4c_i32_i8 v180, v3, v186
	v_dot4c_i32_i8 v175, v28, v186
	;; [unrolled: 1-line block ×4, first 2 shown]
	s_waitcnt lgkmcnt(0)
	v_dot4c_i32_i8 v183, v21, v176
	v_dot4c_i32_i8 v184, v23, v176
	;; [unrolled: 1-line block ×8, first 2 shown]
	v_mov_b32_e32 v187, 0
	v_dot4c_i32_i8 v183, v31, v177
	v_dot4c_i32_i8 v184, v35, v177
	;; [unrolled: 1-line block ×20, first 2 shown]
	ds_read_b128 v[176:179], v159 offset:7168
	v_dot4c_i32_i8 v183, v3, v190
	v_dot4c_i32_i8 v184, v28, v190
	;; [unrolled: 1-line block ×4, first 2 shown]
	v_add_nc_u32_e32 v159, 32, v159
	s_waitcnt lgkmcnt(0)
	v_dot4c_i32_i8 v187, v21, v176
	v_mov_b32_e32 v21, 0
	v_dot4c_i32_i8 v187, v22, v191
	v_mov_b32_e32 v22, 0
	;; [unrolled: 2-line block ×3, first 2 shown]
	v_dot4c_i32_i8 v187, v31, v177
	v_dot4c_i32_i8 v22, v25, v176
	;; [unrolled: 1-line block ×21, first 2 shown]
	ds_read_b32 v5, v161
	ds_read_b32 v9, v162
	ds_read_b32 v13, v163
	ds_read_b32 v17, v164
	ds_read2_b32 v[2:3], v158 offset1:32
	v_dot4c_i32_i8 v22, v48, v193
	v_dot4c_i32_i8 v21, v27, v179
	;; [unrolled: 1-line block ×3, first 2 shown]
	v_add_nc_u32_e32 v164, 4, v164
	v_add_nc_u32_e32 v163, 4, v163
	v_dot4c_i32_i8 v22, v29, v179
	v_dot4c_i32_i8 v21, v28, v194
	;; [unrolled: 1-line block ×3, first 2 shown]
	v_add_nc_u32_e32 v162, 4, v162
	v_add_nc_u32_e32 v161, 4, v161
	v_dot4c_i32_i8 v22, v30, v194
	v_dot4c_i32_i8 v23, v38, v194
	s_waitcnt lgkmcnt(0)
	v_pk_mul_f16 v24, v2, v5
	v_pk_mul_f16 v25, v2, v9
	;; [unrolled: 1-line block ×8, first 2 shown]
	ds_read2_b32 v[2:3], v158 offset0:64 offset1:96
	v_fma_mix_f32 v4, v4, v28, v28 op_sel:[0,0,1] op_sel_hi:[0,1,1]
	v_cvt_f32_i32_e32 v28, v183
	v_add_f32_e32 v85, v85, v4
	v_cvt_f32_i32_e32 v4, v169
	v_fma_mix_f32 v4, v4, v29, v29 op_sel:[0,0,1] op_sel_hi:[0,1,1]
	v_cvt_f32_i32_e32 v29, v171
	v_add_f32_e32 v83, v83, v4
	v_fma_mix_f32 v29, v29, v31, v31 op_sel:[0,0,1] op_sel_hi:[0,1,1]
	v_cvt_f32_i32_e32 v31, v195
	s_waitcnt lgkmcnt(0)
	v_pk_mul_f16 v32, v5, v2
	v_pk_mul_f16 v33, v9, v2
	;; [unrolled: 1-line block ×8, first 2 shown]
	ds_read2_b32 v[2:3], v158 offset0:128 offset1:160
	v_fma_mix_f32 v6, v6, v32, v32 op_sel:[0,0,1] op_sel_hi:[0,1,1]
	v_cvt_f32_i32_e32 v32, v187
	v_fma_mix_f32 v10, v10, v36, v36 op_sel:[0,0,1] op_sel_hi:[0,1,1]
	v_add_f32_e32 v81, v81, v29
	v_add_f32_e32 v77, v77, v6
	v_cvt_f32_i32_e32 v6, v7
	v_cvt_f32_i32_e32 v7, v8
	;; [unrolled: 1-line block ×3, first 2 shown]
	v_add_f32_e32 v72, v72, v10
	v_cvt_f32_i32_e32 v10, v11
	v_fma_mix_f32 v6, v6, v33, v33 op_sel:[0,0,1] op_sel_hi:[0,1,1]
	v_cvt_f32_i32_e32 v11, v12
	v_cvt_f32_i32_e32 v12, v173
	;; [unrolled: 1-line block ×3, first 2 shown]
	v_fma_mix_f32 v7, v7, v34, v34 op_sel:[0,0,1] op_sel_hi:[0,1,1]
	v_fma_mix_f32 v8, v8, v35, v35 op_sel:[0,0,1] op_sel_hi:[0,1,1]
	;; [unrolled: 1-line block ×4, first 2 shown]
	s_waitcnt lgkmcnt(0)
	v_pk_mul_f16 v40, v5, v2
	v_pk_mul_f16 v41, v9, v2
	;; [unrolled: 1-line block ×8, first 2 shown]
	ds_read2_b32 v[2:3], v158 offset0:192 offset1:224
	v_fma_mix_f32 v15, v15, v40, v40 op_sel:[0,0,1] op_sel_hi:[0,1,1]
	v_fma_mix_f32 v12, v12, v39, v39 op_sel:[0,0,1] op_sel_hi:[0,1,1]
	;; [unrolled: 1-line block ×4, first 2 shown]
	v_add_f32_e32 v76, v76, v6
	v_add_f32_e32 v67, v67, v15
	v_cvt_f32_i32_e32 v15, v16
	v_cvt_f32_i32_e32 v16, v174
	v_add_f32_e32 v75, v75, v7
	v_add_f32_e32 v73, v73, v8
	;; [unrolled: 1-line block ×3, first 2 shown]
	v_fma_mix_f32 v15, v15, v42, v42 op_sel:[0,0,1] op_sel_hi:[0,1,1]
	v_fma_mix_f32 v16, v16, v43, v43 op_sel:[0,0,1] op_sel_hi:[0,1,1]
	v_add_nc_u32_e32 v158, 4, v158
	v_add_f32_e32 v70, v70, v11
	v_add_f32_e32 v69, v69, v12
	;; [unrolled: 1-line block ×5, first 2 shown]
	s_waitcnt lgkmcnt(0)
	v_pk_mul_f16 v48, v5, v2
	v_pk_mul_f16 v5, v5, v3
	;; [unrolled: 1-line block ×8, first 2 shown]
	v_cvt_f32_i32_e32 v17, v166
	v_fma_mix_f32 v5, v32, v5, v5 op_sel:[0,0,1] op_sel_hi:[0,1,1]
	v_fma_mix_f32 v28, v28, v48, v48 op_sel:[0,0,1] op_sel_hi:[0,1,1]
	v_cvt_f32_i32_e32 v32, v185
	v_fma_mix_f32 v2, v33, v2, v2 op_sel:[0,0,1] op_sel_hi:[0,1,1]
	v_fma_mix_f32 v17, v24, v17, v24 op_sel:[0,0,1] op_sel_hi:[1,0,1]
	v_cvt_f32_i32_e32 v24, v180
	v_add_f32_e32 v54, v54, v5
	v_cvt_f32_i32_e32 v5, v21
	v_add_f32_e32 v58, v58, v28
	v_add_f32_e32 v68, v68, v17
	v_cvt_f32_i32_e32 v17, v165
	v_fma_mix_f32 v24, v24, v44, v44 op_sel:[0,0,1] op_sel_hi:[0,1,1]
	v_fma_mix_f32 v5, v5, v9, v9 op_sel:[0,0,1] op_sel_hi:[0,1,1]
	v_cvt_f32_i32_e32 v9, v22
	v_cvt_f32_i32_e32 v28, v184
	v_fma_mix_f32 v17, v25, v17, v25 op_sel:[0,0,1] op_sel_hi:[1,0,1]
	v_cvt_f32_i32_e32 v25, v167
	v_add_f32_e32 v62, v62, v24
	v_cvt_f32_i32_e32 v24, v175
	v_fma_mix_f32 v9, v9, v13, v13 op_sel:[0,0,1] op_sel_hi:[0,1,1]
	v_cvt_f32_i32_e32 v13, v23
	v_fma_mix_f32 v25, v26, v25, v26 op_sel:[0,0,1] op_sel_hi:[1,0,1]
	;; [unrolled: 2-line block ×3, first 2 shown]
	v_fma_mix_f32 v28, v28, v49, v49 op_sel:[0,0,1] op_sel_hi:[0,1,1]
	v_fma_mix_f32 v32, v32, v50, v50 op_sel:[0,0,1] op_sel_hi:[0,1,1]
	;; [unrolled: 1-line block ×4, first 2 shown]
	v_cvt_f32_i32_e32 v27, v170
	v_add_f32_e32 v109, v109, v17
	v_add_f32_e32 v92, v92, v25
	;; [unrolled: 1-line block ×4, first 2 shown]
	v_fma_mix_f32 v27, v27, v30, v30 op_sel:[0,0,1] op_sel_hi:[0,1,1]
	v_cvt_f32_i32_e32 v30, v181
	v_add_f32_e32 v59, v59, v31
	v_add_f32_e32 v57, v57, v28
	;; [unrolled: 1-line block ×4, first 2 shown]
	v_fma_mix_f32 v30, v30, v46, v46 op_sel:[0,0,1] op_sel_hi:[0,1,1]
	v_add_f32_e32 v55, v55, v2
	v_add_f32_e32 v53, v53, v5
	;; [unrolled: 1-line block ×5, first 2 shown]
	s_cbranch_scc1 .LBB123_11
; %bb.12:                               ;   in Loop: Header=BB123_6 Depth=1
	s_barrier
	buffer_gl0_inv
	s_branch .LBB123_5
.LBB123_13:
	v_mov_b32_e32 v2, v66
.LBB123_14:
	s_mov_b32 s0, exec_lo
	v_cmpx_gt_u32_e64 s8, v2
	s_cbranch_execz .LBB123_65
; %bb.15:
	v_add_nc_u32_e32 v0, s6, v0
	v_mul_lo_u32 v5, v2, s10
	v_cmp_gt_u32_e32 vcc_lo, s10, v0
	s_and_saveexec_b32 s1, vcc_lo
	s_cbranch_execz .LBB123_17
; %bb.16:
	v_add_nc_u32_e32 v2, v0, v5
	v_mov_b32_e32 v3, 0
	v_lshlrev_b64 v[2:3], 2, v[2:3]
	s_waitcnt lgkmcnt(0)
	v_add_co_u32 v2, s0, s12, v2
	v_add_co_ci_u32_e64 v3, null, s13, v3, s0
	global_store_dword v[2:3], v68, off
.LBB123_17:
	s_or_b32 exec_lo, exec_lo, s1
	v_add_nc_u32_e32 v2, 32, v0
	v_cmp_gt_u32_e64 s0, s10, v2
	s_and_saveexec_b32 s2, s0
	s_cbranch_execz .LBB123_19
; %bb.18:
	v_add_nc_u32_e32 v3, v2, v5
	v_mov_b32_e32 v4, 0
	v_lshlrev_b64 v[3:4], 2, v[3:4]
	s_waitcnt lgkmcnt(0)
	v_add_co_u32 v3, s1, s12, v3
	v_add_co_ci_u32_e64 v4, null, s13, v4, s1
	global_store_dword v[3:4], v109, off
.LBB123_19:
	s_or_b32 exec_lo, exec_lo, s2
	v_add_nc_u32_e32 v3, 64, v0
	v_cmp_gt_u32_e64 s1, s10, v3
	s_and_saveexec_b32 s3, s1
	;; [unrolled: 14-line block ×3, first 2 shown]
	s_cbranch_execz .LBB123_23
; %bb.22:
	v_add_nc_u32_e32 v5, v4, v5
	v_mov_b32_e32 v6, 0
	v_lshlrev_b64 v[5:6], 2, v[5:6]
	s_waitcnt lgkmcnt(0)
	v_add_co_u32 v5, s3, s12, v5
	v_add_co_ci_u32_e64 v6, null, s13, v6, s3
	global_store_dword v[5:6], v87, off
.LBB123_23:
	s_or_b32 exec_lo, exec_lo, s4
	v_add3_u32 v5, v1, s7, 8
	v_cmp_gt_u32_e64 s3, s8, v5
	s_and_b32 exec_lo, exec_lo, s3
	s_cbranch_execz .LBB123_65
; %bb.24:
	v_mul_lo_u32 v5, v5, s10
	s_and_saveexec_b32 s4, vcc_lo
	s_cbranch_execnz .LBB123_66
; %bb.25:
	s_or_b32 exec_lo, exec_lo, s4
	s_and_saveexec_b32 s4, s0
	s_cbranch_execnz .LBB123_67
.LBB123_26:
	s_or_b32 exec_lo, exec_lo, s4
	s_and_saveexec_b32 s4, s1
	s_cbranch_execnz .LBB123_68
.LBB123_27:
	s_or_b32 exec_lo, exec_lo, s4
	s_and_saveexec_b32 s4, s2
	s_cbranch_execz .LBB123_29
.LBB123_28:
	v_add_nc_u32_e32 v5, v5, v4
	v_mov_b32_e32 v6, 0
	v_lshlrev_b64 v[5:6], 2, v[5:6]
	s_waitcnt lgkmcnt(0)
	v_add_co_u32 v5, s3, s12, v5
	v_add_co_ci_u32_e64 v6, null, s13, v6, s3
	global_store_dword v[5:6], v81, off
.LBB123_29:
	s_or_b32 exec_lo, exec_lo, s4
	v_add3_u32 v5, v1, s7, 16
	v_cmp_gt_u32_e64 s3, s8, v5
	s_and_b32 exec_lo, exec_lo, s3
	s_cbranch_execz .LBB123_65
; %bb.30:
	v_mul_lo_u32 v5, v5, s10
	s_and_saveexec_b32 s4, vcc_lo
	s_cbranch_execnz .LBB123_69
; %bb.31:
	s_or_b32 exec_lo, exec_lo, s4
	s_and_saveexec_b32 s4, s0
	s_cbranch_execnz .LBB123_70
.LBB123_32:
	s_or_b32 exec_lo, exec_lo, s4
	s_and_saveexec_b32 s4, s1
	s_cbranch_execnz .LBB123_71
.LBB123_33:
	s_or_b32 exec_lo, exec_lo, s4
	s_and_saveexec_b32 s4, s2
	s_cbranch_execz .LBB123_35
.LBB123_34:
	v_add_nc_u32_e32 v5, v5, v4
	v_mov_b32_e32 v6, 0
	v_lshlrev_b64 v[5:6], 2, v[5:6]
	s_waitcnt lgkmcnt(0)
	v_add_co_u32 v5, s3, s12, v5
	v_add_co_ci_u32_e64 v6, null, s13, v6, s3
	global_store_dword v[5:6], v73, off
.LBB123_35:
	s_or_b32 exec_lo, exec_lo, s4
	v_add3_u32 v5, v1, s7, 24
	v_cmp_gt_u32_e64 s3, s8, v5
	s_and_b32 exec_lo, exec_lo, s3
	s_cbranch_execz .LBB123_65
; %bb.36:
	v_mul_lo_u32 v5, v5, s10
	s_and_saveexec_b32 s4, vcc_lo
	s_cbranch_execnz .LBB123_72
; %bb.37:
	s_or_b32 exec_lo, exec_lo, s4
	s_and_saveexec_b32 s4, s0
	s_cbranch_execnz .LBB123_73
.LBB123_38:
	s_or_b32 exec_lo, exec_lo, s4
	s_and_saveexec_b32 s4, s1
	s_cbranch_execnz .LBB123_74
.LBB123_39:
	s_or_b32 exec_lo, exec_lo, s4
	s_and_saveexec_b32 s4, s2
	s_cbranch_execz .LBB123_41
.LBB123_40:
	v_add_nc_u32_e32 v5, v5, v4
	v_mov_b32_e32 v6, 0
	v_lshlrev_b64 v[5:6], 2, v[5:6]
	s_waitcnt lgkmcnt(0)
	v_add_co_u32 v5, s3, s12, v5
	v_add_co_ci_u32_e64 v6, null, s13, v6, s3
	global_store_dword v[5:6], v69, off
.LBB123_41:
	s_or_b32 exec_lo, exec_lo, s4
	v_add3_u32 v5, v1, s7, 32
	v_cmp_gt_u32_e64 s3, s8, v5
	s_and_b32 exec_lo, exec_lo, s3
	s_cbranch_execz .LBB123_65
; %bb.42:
	v_mul_lo_u32 v5, v5, s10
	s_and_saveexec_b32 s4, vcc_lo
	s_cbranch_execnz .LBB123_75
; %bb.43:
	s_or_b32 exec_lo, exec_lo, s4
	s_and_saveexec_b32 s4, s0
	s_cbranch_execnz .LBB123_76
.LBB123_44:
	s_or_b32 exec_lo, exec_lo, s4
	s_and_saveexec_b32 s4, s1
	s_cbranch_execnz .LBB123_77
.LBB123_45:
	s_or_b32 exec_lo, exec_lo, s4
	s_and_saveexec_b32 s4, s2
	s_cbranch_execz .LBB123_47
.LBB123_46:
	v_add_nc_u32_e32 v5, v5, v4
	v_mov_b32_e32 v6, 0
	v_lshlrev_b64 v[5:6], 2, v[5:6]
	s_waitcnt lgkmcnt(0)
	v_add_co_u32 v5, s3, s12, v5
	v_add_co_ci_u32_e64 v6, null, s13, v6, s3
	global_store_dword v[5:6], v63, off
.LBB123_47:
	s_or_b32 exec_lo, exec_lo, s4
	v_add3_u32 v5, v1, s7, 40
	v_cmp_gt_u32_e64 s3, s8, v5
	s_and_b32 exec_lo, exec_lo, s3
	s_cbranch_execz .LBB123_65
; %bb.48:
	v_mul_lo_u32 v5, v5, s10
	s_and_saveexec_b32 s4, vcc_lo
	s_cbranch_execnz .LBB123_78
; %bb.49:
	s_or_b32 exec_lo, exec_lo, s4
	s_and_saveexec_b32 s4, s0
	s_cbranch_execnz .LBB123_79
.LBB123_50:
	s_or_b32 exec_lo, exec_lo, s4
	s_and_saveexec_b32 s4, s1
	s_cbranch_execnz .LBB123_80
.LBB123_51:
	s_or_b32 exec_lo, exec_lo, s4
	s_and_saveexec_b32 s4, s2
	s_cbranch_execz .LBB123_53
.LBB123_52:
	v_add_nc_u32_e32 v5, v5, v4
	v_mov_b32_e32 v6, 0
	v_lshlrev_b64 v[5:6], 2, v[5:6]
	s_waitcnt lgkmcnt(0)
	v_add_co_u32 v5, s3, s12, v5
	v_add_co_ci_u32_e64 v6, null, s13, v6, s3
	global_store_dword v[5:6], v59, off
.LBB123_53:
	s_or_b32 exec_lo, exec_lo, s4
	v_add3_u32 v5, v1, s7, 48
	v_cmp_gt_u32_e64 s3, s8, v5
	s_and_b32 exec_lo, exec_lo, s3
	s_cbranch_execz .LBB123_65
; %bb.54:
	v_mul_lo_u32 v5, v5, s10
	s_and_saveexec_b32 s4, vcc_lo
	s_cbranch_execnz .LBB123_81
; %bb.55:
	s_or_b32 exec_lo, exec_lo, s4
	s_and_saveexec_b32 s4, s0
	s_cbranch_execnz .LBB123_82
.LBB123_56:
	s_or_b32 exec_lo, exec_lo, s4
	s_and_saveexec_b32 s4, s1
	s_cbranch_execnz .LBB123_83
.LBB123_57:
	s_or_b32 exec_lo, exec_lo, s4
	s_and_saveexec_b32 s4, s2
	s_cbranch_execz .LBB123_59
.LBB123_58:
	v_add_nc_u32_e32 v5, v5, v4
	v_mov_b32_e32 v6, 0
	v_lshlrev_b64 v[5:6], 2, v[5:6]
	s_waitcnt lgkmcnt(0)
	v_add_co_u32 v5, s3, s12, v5
	v_add_co_ci_u32_e64 v6, null, s13, v6, s3
	global_store_dword v[5:6], v55, off
.LBB123_59:
	s_or_b32 exec_lo, exec_lo, s4
	v_add3_u32 v1, v1, s7, 56
	v_cmp_gt_u32_e64 s3, s8, v1
	s_and_b32 exec_lo, exec_lo, s3
	s_cbranch_execz .LBB123_65
; %bb.60:
	v_mul_lo_u32 v1, v1, s10
	s_and_saveexec_b32 s3, vcc_lo
	s_cbranch_execnz .LBB123_84
; %bb.61:
	s_or_b32 exec_lo, exec_lo, s3
	s_and_saveexec_b32 s3, s0
	s_cbranch_execnz .LBB123_85
.LBB123_62:
	s_or_b32 exec_lo, exec_lo, s3
	s_and_saveexec_b32 s0, s1
	s_cbranch_execnz .LBB123_86
.LBB123_63:
	s_or_b32 exec_lo, exec_lo, s0
	s_and_b32 exec_lo, exec_lo, s2
	s_cbranch_execz .LBB123_65
.LBB123_64:
	v_add_nc_u32_e32 v0, v1, v4
	v_mov_b32_e32 v1, 0
	v_lshlrev_b64 v[0:1], 2, v[0:1]
	s_waitcnt lgkmcnt(0)
	v_add_co_u32 v0, vcc_lo, s12, v0
	v_add_co_ci_u32_e64 v1, null, s13, v1, vcc_lo
	global_store_dword v[0:1], v51, off
.LBB123_65:
	s_endpgm
.LBB123_66:
	v_add_nc_u32_e32 v6, v5, v0
	v_mov_b32_e32 v7, 0
	v_lshlrev_b64 v[6:7], 2, v[6:7]
	s_waitcnt lgkmcnt(0)
	v_add_co_u32 v6, s3, s12, v6
	v_add_co_ci_u32_e64 v7, null, s13, v7, s3
	global_store_dword v[6:7], v85, off
	s_or_b32 exec_lo, exec_lo, s4
	s_and_saveexec_b32 s4, s0
	s_cbranch_execz .LBB123_26
.LBB123_67:
	v_add_nc_u32_e32 v6, v5, v2
	v_mov_b32_e32 v7, 0
	v_lshlrev_b64 v[6:7], 2, v[6:7]
	s_waitcnt lgkmcnt(0)
	v_add_co_u32 v6, s3, s12, v6
	v_add_co_ci_u32_e64 v7, null, s13, v7, s3
	global_store_dword v[6:7], v83, off
	s_or_b32 exec_lo, exec_lo, s4
	s_and_saveexec_b32 s4, s1
	s_cbranch_execz .LBB123_27
.LBB123_68:
	v_add_nc_u32_e32 v6, v5, v3
	v_mov_b32_e32 v7, 0
	v_lshlrev_b64 v[6:7], 2, v[6:7]
	s_waitcnt lgkmcnt(0)
	v_add_co_u32 v6, s3, s12, v6
	v_add_co_ci_u32_e64 v7, null, s13, v7, s3
	global_store_dword v[6:7], v82, off
	s_or_b32 exec_lo, exec_lo, s4
	s_and_saveexec_b32 s4, s2
	s_cbranch_execnz .LBB123_28
	s_branch .LBB123_29
.LBB123_69:
	v_add_nc_u32_e32 v6, v5, v0
	v_mov_b32_e32 v7, 0
	v_lshlrev_b64 v[6:7], 2, v[6:7]
	s_waitcnt lgkmcnt(0)
	v_add_co_u32 v6, s3, s12, v6
	v_add_co_ci_u32_e64 v7, null, s13, v7, s3
	global_store_dword v[6:7], v77, off
	s_or_b32 exec_lo, exec_lo, s4
	s_and_saveexec_b32 s4, s0
	s_cbranch_execz .LBB123_32
.LBB123_70:
	v_add_nc_u32_e32 v6, v5, v2
	v_mov_b32_e32 v7, 0
	v_lshlrev_b64 v[6:7], 2, v[6:7]
	s_waitcnt lgkmcnt(0)
	v_add_co_u32 v6, s3, s12, v6
	v_add_co_ci_u32_e64 v7, null, s13, v7, s3
	global_store_dword v[6:7], v76, off
	s_or_b32 exec_lo, exec_lo, s4
	s_and_saveexec_b32 s4, s1
	s_cbranch_execz .LBB123_33
.LBB123_71:
	v_add_nc_u32_e32 v6, v5, v3
	v_mov_b32_e32 v7, 0
	v_lshlrev_b64 v[6:7], 2, v[6:7]
	s_waitcnt lgkmcnt(0)
	v_add_co_u32 v6, s3, s12, v6
	v_add_co_ci_u32_e64 v7, null, s13, v7, s3
	global_store_dword v[6:7], v75, off
	s_or_b32 exec_lo, exec_lo, s4
	s_and_saveexec_b32 s4, s2
	s_cbranch_execnz .LBB123_34
	s_branch .LBB123_35
.LBB123_72:
	v_add_nc_u32_e32 v6, v5, v0
	v_mov_b32_e32 v7, 0
	v_lshlrev_b64 v[6:7], 2, v[6:7]
	s_waitcnt lgkmcnt(0)
	v_add_co_u32 v6, s3, s12, v6
	v_add_co_ci_u32_e64 v7, null, s13, v7, s3
	global_store_dword v[6:7], v72, off
	s_or_b32 exec_lo, exec_lo, s4
	s_and_saveexec_b32 s4, s0
	s_cbranch_execz .LBB123_38
.LBB123_73:
	v_add_nc_u32_e32 v6, v5, v2
	v_mov_b32_e32 v7, 0
	v_lshlrev_b64 v[6:7], 2, v[6:7]
	s_waitcnt lgkmcnt(0)
	v_add_co_u32 v6, s3, s12, v6
	v_add_co_ci_u32_e64 v7, null, s13, v7, s3
	global_store_dword v[6:7], v71, off
	s_or_b32 exec_lo, exec_lo, s4
	s_and_saveexec_b32 s4, s1
	s_cbranch_execz .LBB123_39
.LBB123_74:
	v_add_nc_u32_e32 v6, v5, v3
	v_mov_b32_e32 v7, 0
	v_lshlrev_b64 v[6:7], 2, v[6:7]
	s_waitcnt lgkmcnt(0)
	v_add_co_u32 v6, s3, s12, v6
	v_add_co_ci_u32_e64 v7, null, s13, v7, s3
	global_store_dword v[6:7], v70, off
	s_or_b32 exec_lo, exec_lo, s4
	s_and_saveexec_b32 s4, s2
	s_cbranch_execnz .LBB123_40
	s_branch .LBB123_41
.LBB123_75:
	v_add_nc_u32_e32 v6, v5, v0
	v_mov_b32_e32 v7, 0
	v_lshlrev_b64 v[6:7], 2, v[6:7]
	s_waitcnt lgkmcnt(0)
	v_add_co_u32 v6, s3, s12, v6
	v_add_co_ci_u32_e64 v7, null, s13, v7, s3
	global_store_dword v[6:7], v67, off
	s_or_b32 exec_lo, exec_lo, s4
	s_and_saveexec_b32 s4, s0
	s_cbranch_execz .LBB123_44
.LBB123_76:
	v_add_nc_u32_e32 v6, v5, v2
	v_mov_b32_e32 v7, 0
	v_lshlrev_b64 v[6:7], 2, v[6:7]
	s_waitcnt lgkmcnt(0)
	v_add_co_u32 v6, s3, s12, v6
	v_add_co_ci_u32_e64 v7, null, s13, v7, s3
	global_store_dword v[6:7], v65, off
	s_or_b32 exec_lo, exec_lo, s4
	s_and_saveexec_b32 s4, s1
	s_cbranch_execz .LBB123_45
.LBB123_77:
	v_add_nc_u32_e32 v6, v5, v3
	v_mov_b32_e32 v7, 0
	v_lshlrev_b64 v[6:7], 2, v[6:7]
	s_waitcnt lgkmcnt(0)
	v_add_co_u32 v6, s3, s12, v6
	v_add_co_ci_u32_e64 v7, null, s13, v7, s3
	global_store_dword v[6:7], v64, off
	s_or_b32 exec_lo, exec_lo, s4
	s_and_saveexec_b32 s4, s2
	s_cbranch_execnz .LBB123_46
	s_branch .LBB123_47
.LBB123_78:
	v_add_nc_u32_e32 v6, v5, v0
	v_mov_b32_e32 v7, 0
	v_lshlrev_b64 v[6:7], 2, v[6:7]
	s_waitcnt lgkmcnt(0)
	v_add_co_u32 v6, s3, s12, v6
	v_add_co_ci_u32_e64 v7, null, s13, v7, s3
	global_store_dword v[6:7], v62, off
	s_or_b32 exec_lo, exec_lo, s4
	s_and_saveexec_b32 s4, s0
	s_cbranch_execz .LBB123_50
.LBB123_79:
	v_add_nc_u32_e32 v6, v5, v2
	v_mov_b32_e32 v7, 0
	v_lshlrev_b64 v[6:7], 2, v[6:7]
	s_waitcnt lgkmcnt(0)
	v_add_co_u32 v6, s3, s12, v6
	v_add_co_ci_u32_e64 v7, null, s13, v7, s3
	global_store_dword v[6:7], v61, off
	s_or_b32 exec_lo, exec_lo, s4
	s_and_saveexec_b32 s4, s1
	s_cbranch_execz .LBB123_51
.LBB123_80:
	v_add_nc_u32_e32 v6, v5, v3
	v_mov_b32_e32 v7, 0
	v_lshlrev_b64 v[6:7], 2, v[6:7]
	s_waitcnt lgkmcnt(0)
	v_add_co_u32 v6, s3, s12, v6
	v_add_co_ci_u32_e64 v7, null, s13, v7, s3
	global_store_dword v[6:7], v60, off
	s_or_b32 exec_lo, exec_lo, s4
	s_and_saveexec_b32 s4, s2
	s_cbranch_execnz .LBB123_52
	s_branch .LBB123_53
.LBB123_81:
	v_add_nc_u32_e32 v6, v5, v0
	v_mov_b32_e32 v7, 0
	v_lshlrev_b64 v[6:7], 2, v[6:7]
	s_waitcnt lgkmcnt(0)
	v_add_co_u32 v6, s3, s12, v6
	v_add_co_ci_u32_e64 v7, null, s13, v7, s3
	global_store_dword v[6:7], v58, off
	s_or_b32 exec_lo, exec_lo, s4
	s_and_saveexec_b32 s4, s0
	s_cbranch_execz .LBB123_56
.LBB123_82:
	v_add_nc_u32_e32 v6, v5, v2
	v_mov_b32_e32 v7, 0
	v_lshlrev_b64 v[6:7], 2, v[6:7]
	s_waitcnt lgkmcnt(0)
	v_add_co_u32 v6, s3, s12, v6
	v_add_co_ci_u32_e64 v7, null, s13, v7, s3
	global_store_dword v[6:7], v57, off
	s_or_b32 exec_lo, exec_lo, s4
	s_and_saveexec_b32 s4, s1
	s_cbranch_execz .LBB123_57
.LBB123_83:
	v_add_nc_u32_e32 v6, v5, v3
	v_mov_b32_e32 v7, 0
	v_lshlrev_b64 v[6:7], 2, v[6:7]
	s_waitcnt lgkmcnt(0)
	v_add_co_u32 v6, s3, s12, v6
	v_add_co_ci_u32_e64 v7, null, s13, v7, s3
	global_store_dword v[6:7], v56, off
	s_or_b32 exec_lo, exec_lo, s4
	s_and_saveexec_b32 s4, s2
	s_cbranch_execnz .LBB123_58
	s_branch .LBB123_59
.LBB123_84:
	v_add_nc_u32_e32 v5, v1, v0
	v_mov_b32_e32 v6, 0
	v_lshlrev_b64 v[5:6], 2, v[5:6]
	s_waitcnt lgkmcnt(0)
	v_add_co_u32 v5, vcc_lo, s12, v5
	v_add_co_ci_u32_e64 v6, null, s13, v6, vcc_lo
	global_store_dword v[5:6], v54, off
	s_or_b32 exec_lo, exec_lo, s3
	s_and_saveexec_b32 s3, s0
	s_cbranch_execz .LBB123_62
.LBB123_85:
	v_add_nc_u32_e32 v5, v1, v2
	v_mov_b32_e32 v6, 0
	v_lshlrev_b64 v[5:6], 2, v[5:6]
	s_waitcnt lgkmcnt(0)
	v_add_co_u32 v5, vcc_lo, s12, v5
	v_add_co_ci_u32_e64 v6, null, s13, v6, vcc_lo
	global_store_dword v[5:6], v53, off
	s_or_b32 exec_lo, exec_lo, s3
	s_and_saveexec_b32 s0, s1
	s_cbranch_execz .LBB123_63
.LBB123_86:
	v_add_nc_u32_e32 v2, v1, v3
	v_mov_b32_e32 v3, 0
	v_lshlrev_b64 v[2:3], 2, v[2:3]
	s_waitcnt lgkmcnt(0)
	v_add_co_u32 v2, vcc_lo, s12, v2
	v_add_co_ci_u32_e64 v3, null, s13, v3, vcc_lo
	global_store_dword v[2:3], v52, off
	s_or_b32 exec_lo, exec_lo, s0
	s_and_b32 exec_lo, exec_lo, s2
	s_cbranch_execnz .LBB123_64
	s_branch .LBB123_65
	.section	.rodata,"a",@progbits
	.p2align	6, 0x0
	.amdhsa_kernel _ZL12mul_mat_q5_1IfLb0EEvPKvS1_PT_iiiii
		.amdhsa_group_segment_fixed_size 46720
		.amdhsa_private_segment_fixed_size 0
		.amdhsa_kernarg_size 44
		.amdhsa_user_sgpr_count 6
		.amdhsa_user_sgpr_private_segment_buffer 1
		.amdhsa_user_sgpr_dispatch_ptr 0
		.amdhsa_user_sgpr_queue_ptr 0
		.amdhsa_user_sgpr_kernarg_segment_ptr 1
		.amdhsa_user_sgpr_dispatch_id 0
		.amdhsa_user_sgpr_flat_scratch_init 0
		.amdhsa_user_sgpr_private_segment_size 0
		.amdhsa_wavefront_size32 1
		.amdhsa_uses_dynamic_stack 0
		.amdhsa_system_sgpr_private_segment_wavefront_offset 0
		.amdhsa_system_sgpr_workgroup_id_x 1
		.amdhsa_system_sgpr_workgroup_id_y 1
		.amdhsa_system_sgpr_workgroup_id_z 0
		.amdhsa_system_sgpr_workgroup_info 0
		.amdhsa_system_vgpr_workitem_id 1
		.amdhsa_next_free_vgpr 222
		.amdhsa_next_free_sgpr 15
		.amdhsa_reserve_vcc 1
		.amdhsa_reserve_flat_scratch 0
		.amdhsa_float_round_mode_32 0
		.amdhsa_float_round_mode_16_64 0
		.amdhsa_float_denorm_mode_32 3
		.amdhsa_float_denorm_mode_16_64 3
		.amdhsa_dx10_clamp 1
		.amdhsa_ieee_mode 1
		.amdhsa_fp16_overflow 0
		.amdhsa_workgroup_processor_mode 1
		.amdhsa_memory_ordered 1
		.amdhsa_forward_progress 1
		.amdhsa_shared_vgpr_count 0
		.amdhsa_exception_fp_ieee_invalid_op 0
		.amdhsa_exception_fp_denorm_src 0
		.amdhsa_exception_fp_ieee_div_zero 0
		.amdhsa_exception_fp_ieee_overflow 0
		.amdhsa_exception_fp_ieee_underflow 0
		.amdhsa_exception_fp_ieee_inexact 0
		.amdhsa_exception_int_div_zero 0
	.end_amdhsa_kernel
	.section	.text._ZL12mul_mat_q5_1IfLb0EEvPKvS1_PT_iiiii,"axG",@progbits,_ZL12mul_mat_q5_1IfLb0EEvPKvS1_PT_iiiii,comdat
.Lfunc_end123:
	.size	_ZL12mul_mat_q5_1IfLb0EEvPKvS1_PT_iiiii, .Lfunc_end123-_ZL12mul_mat_q5_1IfLb0EEvPKvS1_PT_iiiii
                                        ; -- End function
	.set _ZL12mul_mat_q5_1IfLb0EEvPKvS1_PT_iiiii.num_vgpr, 222
	.set _ZL12mul_mat_q5_1IfLb0EEvPKvS1_PT_iiiii.num_agpr, 0
	.set _ZL12mul_mat_q5_1IfLb0EEvPKvS1_PT_iiiii.numbered_sgpr, 15
	.set _ZL12mul_mat_q5_1IfLb0EEvPKvS1_PT_iiiii.num_named_barrier, 0
	.set _ZL12mul_mat_q5_1IfLb0EEvPKvS1_PT_iiiii.private_seg_size, 0
	.set _ZL12mul_mat_q5_1IfLb0EEvPKvS1_PT_iiiii.uses_vcc, 1
	.set _ZL12mul_mat_q5_1IfLb0EEvPKvS1_PT_iiiii.uses_flat_scratch, 0
	.set _ZL12mul_mat_q5_1IfLb0EEvPKvS1_PT_iiiii.has_dyn_sized_stack, 0
	.set _ZL12mul_mat_q5_1IfLb0EEvPKvS1_PT_iiiii.has_recursion, 0
	.set _ZL12mul_mat_q5_1IfLb0EEvPKvS1_PT_iiiii.has_indirect_call, 0
	.section	.AMDGPU.csdata,"",@progbits
; Kernel info:
; codeLenInByte = 12808
; TotalNumSgprs: 17
; NumVgprs: 222
; ScratchSize: 0
; MemoryBound: 0
; FloatMode: 240
; IeeeMode: 1
; LDSByteSize: 46720 bytes/workgroup (compile time only)
; SGPRBlocks: 0
; VGPRBlocks: 27
; NumSGPRsForWavesPerEU: 17
; NumVGPRsForWavesPerEU: 222
; Occupancy: 4
; WaveLimiterHint : 0
; COMPUTE_PGM_RSRC2:SCRATCH_EN: 0
; COMPUTE_PGM_RSRC2:USER_SGPR: 6
; COMPUTE_PGM_RSRC2:TRAP_HANDLER: 0
; COMPUTE_PGM_RSRC2:TGID_X_EN: 1
; COMPUTE_PGM_RSRC2:TGID_Y_EN: 1
; COMPUTE_PGM_RSRC2:TGID_Z_EN: 0
; COMPUTE_PGM_RSRC2:TIDIG_COMP_CNT: 1
	.section	.text._ZL12mul_mat_q5_1IfLb1EEvPKvS1_PT_iiiii,"axG",@progbits,_ZL12mul_mat_q5_1IfLb1EEvPKvS1_PT_iiiii,comdat
	.globl	_ZL12mul_mat_q5_1IfLb1EEvPKvS1_PT_iiiii ; -- Begin function _ZL12mul_mat_q5_1IfLb1EEvPKvS1_PT_iiiii
	.p2align	8
	.type	_ZL12mul_mat_q5_1IfLb1EEvPKvS1_PT_iiiii,@function
_ZL12mul_mat_q5_1IfLb1EEvPKvS1_PT_iiiii: ; @_ZL12mul_mat_q5_1IfLb1EEvPKvS1_PT_iiiii
; %bb.0:
	s_clause 0x1
	s_load_dwordx4 s[8:11], s[4:5], 0x18
	s_load_dword s14, s[4:5], 0x28
	s_lshl_b32 s7, s7, 6
	v_add_nc_u32_e32 v79, s7, v1
	s_waitcnt lgkmcnt(0)
	s_cmp_gt_i32 s8, 31
	s_cbranch_scc1 .LBB124_2
; %bb.1:
	v_add_nc_u32_e32 v2, s7, v1
	s_mov_b32 s0, 0
	s_branch .LBB124_3
.LBB124_2:
	s_mov_b32 s0, -1
                                        ; implicit-def: $vgpr2
.LBB124_3:
	s_load_dwordx2 s[12:13], s[4:5], 0x10
	v_mov_b32_e32 v67, 0
	v_mov_b32_e32 v71, 0
	;; [unrolled: 1-line block ×32, first 2 shown]
	s_andn2_b32 vcc_lo, exec_lo, s0
	s_lshl_b32 s6, s6, 7
	s_cbranch_vccnz .LBB124_14
; %bb.4:
	s_load_dwordx4 s[0:3], s[4:5], 0x0
	s_ashr_i32 s4, s8, 31
	s_ashr_i32 s5, s11, 31
	s_lshr_b32 s4, s4, 27
	s_lshr_b32 s5, s5, 27
	s_add_i32 s4, s8, s4
	s_add_i32 s5, s11, s5
	s_ashr_i32 s4, s4, 5
	s_ashr_i32 s11, s5, 5
	s_mul_i32 s8, s4, s6
	v_add_nc_u32_e32 v17, 8, v1
	s_mul_i32 s5, s8, 24
	s_mul_hi_i32 s8, s8, 24
	v_lshlrev_b32_e32 v3, 3, v0
	v_add_nc_u32_e32 v38, 16, v1
	v_add_nc_u32_e32 v39, 24, v1
	;; [unrolled: 1-line block ×6, first 2 shown]
	s_waitcnt lgkmcnt(0)
	s_add_u32 s5, s0, s5
	s_addc_u32 s8, s1, s8
	s_not_b32 s0, s6
	v_lshrrev_b32_e32 v106, 3, v0
	s_add_i32 s0, s9, s0
	v_and_b32_e32 v114, 7, v0
	v_min_i32_e32 v4, s0, v1
	v_min_i32_e32 v5, s0, v17
	v_min_i32_e32 v6, s0, v38
	v_lshl_add_u32 v44, v1, 2, v106
	v_lshlrev_b32_e32 v47, 2, v114
	v_mad_u64_u32 v[18:19], null, 0x104, v4, v[3:4]
	v_mul_lo_u32 v91, v4, s4
	v_mad_u64_u32 v[19:20], null, 0x104, v5, v[3:4]
	v_min_i32_e32 v4, s0, v39
	v_mul_lo_u32 v92, v5, s4
	v_min_i32_e32 v5, s0, v40
	v_mul_lo_u32 v93, v6, s4
	v_min_i32_e32 v45, s0, v44
	v_mad_u64_u32 v[20:21], null, 0x104, v6, v[3:4]
	v_mul_lo_u32 v95, v4, s4
	v_mad_u64_u32 v[21:22], null, 0x104, v4, v[3:4]
	v_min_i32_e32 v4, s0, v41
	v_mul_lo_u32 v96, v5, s4
	v_add_nc_u32_e32 v6, 64, v1
	v_ashrrev_i32_e32 v7, 31, v45
	v_add_nc_u32_e32 v9, 16, v79
	v_mad_u64_u32 v[22:23], null, 0x104, v5, v[3:4]
	v_mul_lo_u32 v98, v4, s4
	v_min_i32_e32 v5, s0, v42
	v_mad_u64_u32 v[23:24], null, 0x104, v4, v[3:4]
	v_min_i32_e32 v4, s0, v43
	v_add_nc_u32_e32 v11, 24, v79
	v_mul_lo_u32 v99, v5, s4
	v_add_nc_u32_e32 v13, 32, v79
	v_add_nc_u32_e32 v15, 40, v79
	v_mad_u64_u32 v[24:25], null, 0x104, v5, v[3:4]
	v_mul_lo_u32 v100, v4, s4
	v_min_i32_e32 v5, s0, v6
	v_add_nc_u32_e32 v6, 0x48, v1
	v_mad_u64_u32 v[25:26], null, 0x104, v4, v[3:4]
	v_add_nc_u32_e32 v4, 0x50, v1
	v_mul_lo_u32 v102, v5, s4
	v_min_i32_e32 v6, s0, v6
	v_add_nc_u32_e32 v35, 48, v79
	s_add_i32 s1, s10, -1
	v_mad_u64_u32 v[26:27], null, 0x104, v5, v[3:4]
	v_min_i32_e32 v4, s0, v4
	v_add_nc_u32_e32 v5, 0x58, v1
	v_mul_lo_u32 v103, v6, s4
	v_add_nc_u32_e32 v36, 64, v44
	v_add_nc_u32_e32 v37, 56, v79
	v_mad_u64_u32 v[27:28], null, 0x104, v6, v[3:4]
	v_add_nc_u32_e32 v6, 0x60, v1
	v_mul_lo_u32 v104, v4, s4
	v_min_i32_e32 v5, s0, v5
	v_mad_u64_u32 v[28:29], null, 0x104, v4, v[3:4]
	v_min_i32_e32 v4, s0, v6
	v_add_nc_u32_e32 v6, 0x68, v1
	v_mul_lo_u32 v107, v5, s4
	v_cvt_f64_u32_e32 v[9:10], v9
	v_cvt_f64_u32_e32 v[11:12], v11
	v_mad_u64_u32 v[29:30], null, 0x104, v5, v[3:4]
	v_min_i32_e32 v5, s0, v6
	v_add_nc_u32_e32 v6, 0x70, v1
	v_mul_lo_u32 v109, v4, s4
	v_mad_u64_u32 v[30:31], null, 0x104, v4, v[3:4]
	v_mul_lo_u32 v110, v5, s4
	v_min_i32_e32 v4, s0, v6
	v_add_nc_u32_e32 v6, 0x78, v1
	v_cvt_f64_u32_e32 v[13:14], v13
	v_cvt_f64_u32_e32 v[15:16], v15
	v_min_i32_e32 v50, s0, v36
	v_mad_u64_u32 v[31:32], null, 0x104, v5, v[3:4]
	v_min_i32_e32 v5, s0, v6
	v_lshrrev_b32_e32 v6, 30, v7
	v_mul_lo_u32 v111, v4, s4
	v_mad_u64_u32 v[32:33], null, 0x104, v4, v[3:4]
	v_add_nc_u32_e32 v7, 32, v44
	v_add_nc_u32_e32 v4, v45, v6
	v_mul_lo_u32 v113, v5, s4
	v_cvt_f64_u32_e32 v[36:37], v37
	v_ashrrev_i32_e32 v51, 31, v50
	v_min_i32_e32 v46, s0, v7
	v_mad_u64_u32 v[33:34], null, 0x104, v5, v[3:4]
	v_and_b32_e32 v34, -4, v4
	v_add_nc_u32_e32 v7, 8, v79
	v_cvt_f64_i32_e32 v[3:4], s1
	v_cvt_f64_u32_e32 v[5:6], v79
	v_lshrrev_b32_e32 v51, 30, v51
	v_add3_u32 v49, v34, v47, 0xa200
	v_cvt_f64_u32_e32 v[7:8], v7
	v_cvt_f64_u32_e32 v[34:35], v35
	v_ashrrev_i32_e32 v48, 31, v46
	v_add_nc_u32_e32 v51, v50, v51
	v_add_nc_u32_e32 v44, 0x60, v44
	v_lshrrev_b32_e32 v87, 2, v0
	v_mul_lo_u32 v121, v46, s4
	v_lshrrev_b32_e32 v48, 30, v48
	v_and_b32_e32 v51, -4, v51
	v_min_i32_e32 v44, s0, v44
	v_and_b32_e32 v2, 3, v0
	v_mul_lo_u32 v115, v45, s4
	v_add_nc_u32_e32 v48, v46, v48
	v_lshlrev_b32_e32 v45, 5, v45
	v_ashrrev_i32_e32 v52, 31, v44
	v_lshlrev_b32_e32 v90, 2, v2
	v_mul_lo_u32 v122, v50, s4
	v_and_b32_e32 v48, -4, v48
	v_min_f64 v[9:10], v[9:10], v[3:4]
	v_min_f64 v[5:6], v[5:6], v[3:4]
	;; [unrolled: 1-line block ×8, first 2 shown]
	v_lshlrev_b32_e32 v37, 5, v46
	v_add3_u32 v46, v51, v47, 0xa200
	v_lshl_add_u32 v51, v1, 3, v87
	v_lshrrev_b32_e32 v52, 30, v52
	v_add3_u32 v48, v48, v47, 0xa200
	v_lshlrev_b32_e32 v50, 5, v50
	v_mul_lo_u32 v123, v44, s4
	v_mov_b32_e32 v81, 0
	v_add_nc_u32_e32 v36, v44, v52
	v_mul_u32_u24_e32 v133, 0x104, v0
	v_lshl_add_u32 v139, v1, 4, 0xb280
	v_add_nc_u32_e32 v146, v49, v45
	v_add_nc_u32_e32 v147, v48, v37
	v_and_b32_e32 v36, -4, v36
	v_add_nc_u32_e32 v148, v46, v50
	v_cvt_i32_f64_e32 v5, v[5:6]
	v_mov_b32_e32 v117, 0
	v_mov_b32_e32 v105, 0
	v_cvt_i32_f64_e32 v6, v[7:8]
	v_cvt_i32_f64_e32 v8, v[9:10]
	;; [unrolled: 1-line block ×7, first 2 shown]
	v_and_b32_e32 v7, 63, v51
	v_lshlrev_b32_e32 v15, 2, v0
	v_and_b32_e32 v34, 31, v0
	v_add3_u32 v9, v36, v47, 0xa200
	v_and_b32_e32 v36, 0xfc, v0
	v_or_b32_e32 v13, s7, v7
	v_lshl_or_b32 v7, v7, 4, v90
	v_lshlrev_b32_e32 v11, 5, v44
	v_mov_b32_e32 v89, 0
	v_mov_b32_e32 v84, 0
	v_min_i32_e32 v4, s1, v13
	v_and_b32_e32 v13, 28, v15
	v_lshl_or_b32 v15, v34, 2, 0x8200
	v_add_nc_u32_e32 v124, 0xb280, v7
	v_mul_lo_u32 v125, s11, v5
	v_mul_lo_u32 v126, s11, v6
	;; [unrolled: 1-line block ×3, first 2 shown]
	v_lshlrev_b32_e32 v5, 7, v38
	v_mul_lo_u32 v129, s11, v12
	v_mul_lo_u32 v130, s11, v14
	;; [unrolled: 1-line block ×3, first 2 shown]
	v_add_nc_u32_e32 v12, 0x60, v0
	v_add_nc_u32_e32 v14, 64, v0
	;; [unrolled: 1-line block ×3, first 2 shown]
	v_mad_u64_u32 v[34:35], null, v4, s11, v[2:3]
	v_lshlrev_b32_e32 v4, 7, v17
	v_lshlrev_b32_e32 v17, 5, v0
	v_and_b32_e32 v12, 0x1fc, v12
	v_and_b32_e32 v14, 0x1fc, v14
	;; [unrolled: 1-line block ×3, first 2 shown]
	v_lshlrev_b32_e32 v2, 7, v1
	v_mul_lo_u32 v128, s11, v10
	v_lshlrev_b32_e32 v6, 7, v39
	v_lshlrev_b32_e32 v7, 7, v40
	;; [unrolled: 1-line block ×4, first 2 shown]
	v_mul_lo_u32 v132, s11, v3
	v_lshlrev_b32_e32 v3, 7, v43
	v_lshrrev_b32_e32 v134, 3, v16
	v_add_nc_u32_e32 v12, v17, v12
	v_add_nc_u32_e32 v14, v17, v14
	;; [unrolled: 1-line block ×4, first 2 shown]
	v_add_co_u32 v35, s0, s2, v13
	v_add_co_ci_u32_e64 v36, null, s3, 0, s0
	s_movk_i32 s0, 0x80
	v_add_nc_u32_e32 v135, 0xae00, v12
	v_add_nc_u32_e32 v136, 0xaa00, v14
	;; [unrolled: 1-line block ×9, first 2 shown]
	v_mad_u32_u24 v145, 0x104, v0, s0
	v_add_nc_u32_e32 v149, v9, v11
	v_add_nc_u32_e32 v150, v15, v2
	;; [unrolled: 1-line block ×9, first 2 shown]
	v_mov_b32_e32 v78, 0
	v_mov_b32_e32 v74, 0
	;; [unrolled: 1-line block ×27, first 2 shown]
	s_add_i32 s9, s4, 3
	s_mov_b32 s11, 0
	s_branch .LBB124_6
.LBB124_5:                              ;   in Loop: Header=BB124_6 Depth=1
	s_add_i32 s11, s11, 8
	s_add_i32 s9, s9, -8
	s_cmp_ge_i32 s11, s4
	s_cbranch_scc1 .LBB124_13
.LBB124_6:                              ; =>This Loop Header: Depth=1
                                        ;     Child Loop BB124_8 Depth 2
                                        ;     Child Loop BB124_11 Depth 2
	s_mul_i32 s0, s11, 24
	s_mul_hi_u32 s1, s11, 24
	s_add_u32 s0, s5, s0
	s_addc_u32 s1, s8, s1
	s_cmp_gt_u32 s9, 3
	v_mad_u64_u32 v[2:3], null, v87, 24, s[0:1]
	v_mad_i64_i32 v[4:5], null, v91, 24, v[2:3]
	v_mad_i64_i32 v[6:7], null, v92, 24, v[2:3]
	;; [unrolled: 1-line block ×4, first 2 shown]
	v_add_co_u32 v12, vcc_lo, v4, v90
	v_add_co_ci_u32_e64 v13, null, 0, v5, vcc_lo
	v_add_co_u32 v14, vcc_lo, v6, v90
	v_add_co_ci_u32_e64 v15, null, 0, v7, vcc_lo
	;; [unrolled: 2-line block ×4, first 2 shown]
	v_mad_i64_i32 v[39:40], null, v96, 24, v[2:3]
	s_clause 0x7
	global_load_dword v47, v[12:13], off offset:8
	global_load_dword v48, v[14:15], off offset:8
	;; [unrolled: 1-line block ×8, first 2 shown]
	v_mad_i64_i32 v[4:5], null, v98, 24, v[2:3]
	v_mad_i64_i32 v[8:9], null, v99, 24, v[2:3]
	;; [unrolled: 1-line block ×3, first 2 shown]
	v_add_co_u32 v6, vcc_lo, v39, v90
	v_add_co_ci_u32_e64 v7, null, 0, v40, vcc_lo
	v_add_co_u32 v12, vcc_lo, v4, v90
	v_add_co_ci_u32_e64 v13, null, 0, v5, vcc_lo
	v_add_co_u32 v14, vcc_lo, v8, v90
	v_mad_i64_i32 v[37:38], null, v102, 24, v[2:3]
	v_add_co_ci_u32_e64 v15, null, 0, v9, vcc_lo
	v_add_co_u32 v16, vcc_lo, v10, v90
	v_add_co_ci_u32_e64 v17, null, 0, v11, vcc_lo
	v_mad_i64_i32 v[45:46], null, v107, 24, v[2:3]
	s_clause 0x7
	global_load_dword v55, v[10:11], off offset:4
	global_load_dword v56, v[8:9], off offset:4
	;; [unrolled: 1-line block ×8, first 2 shown]
	v_mad_i64_i32 v[43:44], null, v104, 24, v[2:3]
	v_mad_i64_i32 v[41:42], null, v103, 24, v[2:3]
	v_add_co_u32 v4, vcc_lo, v37, v90
	v_add_co_ci_u32_e64 v5, null, 0, v38, vcc_lo
	s_clause 0x4
	global_load_dword v17, v[45:46], off offset:4
	global_load_dword v60, v[43:44], off offset:4
	;; [unrolled: 1-line block ×5, first 2 shown]
	v_mad_i64_i32 v[8:9], null, v113, 24, v[2:3]
	v_add_co_u32 v4, vcc_lo, v41, v90
	v_add_co_ci_u32_e64 v5, null, 0, v42, vcc_lo
	v_mad_i64_i32 v[6:7], null, v110, 24, v[2:3]
	v_mad_u64_u32 v[10:11], null, v114, 24, s[0:1]
	global_load_dword v41, v[4:5], off offset:8
	v_add_co_u32 v4, vcc_lo, v43, v90
	v_add_co_ci_u32_e64 v5, null, 0, v44, vcc_lo
	v_mad_i64_i32 v[14:15], null, v122, 24, v[10:11]
	global_load_dword v42, v[4:5], off offset:8
	v_add_co_u32 v4, vcc_lo, v45, v90
	v_add_co_ci_u32_e64 v5, null, 0, v46, vcc_lo
	global_load_dword v43, v[4:5], off offset:8
	v_mad_i64_i32 v[4:5], null, v109, 24, v[2:3]
	v_mad_i64_i32 v[2:3], null, v111, 24, v[2:3]
	v_add_co_u32 v12, vcc_lo, v4, v90
	v_add_co_ci_u32_e64 v13, null, 0, v5, vcc_lo
	s_clause 0x4
	global_load_dword v44, v[8:9], off offset:4
	global_load_dword v45, v[2:3], off offset:4
	;; [unrolled: 1-line block ×5, first 2 shown]
	v_add_co_u32 v6, vcc_lo, v6, v90
	v_add_co_ci_u32_e64 v7, null, 0, v7, vcc_lo
	v_add_co_u32 v2, vcc_lo, v2, v90
	v_mad_i64_i32 v[4:5], null, v115, 24, v[10:11]
	v_add_co_ci_u32_e64 v3, null, 0, v3, vcc_lo
	v_add_co_u32 v8, vcc_lo, v8, v90
	v_mad_i64_i32 v[12:13], null, v121, 24, v[10:11]
	v_add_co_ci_u32_e64 v9, null, 0, v9, vcc_lo
	v_mad_i64_i32 v[10:11], null, v123, 24, v[10:11]
	s_clause 0x6
	global_load_dword v6, v[6:7], off offset:8
	global_load_dword v2, v[2:3], off offset:8
	;; [unrolled: 1-line block ×3, first 2 shown]
	global_load_dword v4, v[4:5], off
	global_load_dword v5, v[12:13], off
	;; [unrolled: 1-line block ×4, first 2 shown]
	s_waitcnt vmcnt(35)
	v_and_b32_e32 v10, 0xf0f0f0f, v47
	v_lshrrev_b32_e32 v11, 4, v47
	s_waitcnt vmcnt(34)
	v_and_b32_e32 v13, 0xf0f0f0f, v48
	v_lshrrev_b32_e32 v14, 4, v48
	s_waitcnt vmcnt(33)
	v_and_b32_e32 v47, 0xf0f0f0f, v49
	s_waitcnt vmcnt(30)
	v_ashrrev_i32_e32 v15, v90, v52
	s_waitcnt vmcnt(29)
	v_ashrrev_i32_e32 v12, v90, v53
	;; [unrolled: 2-line block ×3, first 2 shown]
	v_lshrrev_b32_e32 v48, 4, v49
	v_ashrrev_i32_e32 v49, v90, v51
	v_lshlrev_b32_e32 v171, 4, v15
	v_lshlrev_b32_e32 v164, 4, v12
	v_lshlrev_b32_e32 v66, 4, v9
	v_lshlrev_b32_e32 v158, 11, v9
	v_lshrrev_b32_e32 v161, 12, v9
	v_lshrrev_b32_e32 v162, 5, v9
	v_lshlrev_b32_e32 v165, 11, v12
	v_lshrrev_b32_e32 v168, 12, v12
	v_lshrrev_b32_e32 v169, 5, v12
	v_lshlrev_b32_e32 v172, 11, v15
	v_lshrrev_b32_e32 v175, 12, v15
	v_lshrrev_b32_e32 v176, 5, v15
	v_and_b32_e32 v51, 0xf0f0f0f, v50
	v_lshrrev_b32_e32 v50, 4, v50
	v_lshlrev_b32_e32 v178, 4, v49
	v_lshlrev_b32_e32 v179, 11, v49
	v_lshrrev_b32_e32 v182, 12, v49
	v_lshrrev_b32_e32 v183, 5, v49
	s_waitcnt vmcnt(26)
	v_ashrrev_i32_e32 v56, v90, v56
	s_waitcnt vmcnt(25)
	v_ashrrev_i32_e32 v53, v90, v57
	s_waitcnt vmcnt(24)
	v_ashrrev_i32_e32 v39, v90, v39
	s_waitcnt vmcnt(23)
	v_and_b32_e32 v52, 0xf0f0f0f, v40
	v_lshrrev_b32_e32 v40, 4, v40
	s_waitcnt vmcnt(22)
	v_and_b32_e32 v54, 0xf0f0f0f, v58
	v_lshrrev_b32_e32 v57, 4, v58
	v_lshlrev_b32_e32 v185, 4, v39
	v_lshlrev_b32_e32 v186, 11, v39
	v_lshrrev_b32_e32 v189, 12, v39
	v_lshrrev_b32_e32 v190, 5, v39
	s_waitcnt vmcnt(21)
	v_and_b32_e32 v58, 0xf0f0f0f, v59
	v_lshrrev_b32_e32 v59, 4, v59
	v_lshlrev_b32_e32 v159, 18, v9
	v_lshlrev_b32_e32 v160, 25, v9
	v_and_b32_e32 v11, 0xf0f0f0f, v11
	v_lshlrev_b32_e32 v163, 2, v9
	v_lshlrev_b32_e32 v9, 9, v9
	;; [unrolled: 1-line block ×4, first 2 shown]
	v_lshrrev_b32_e32 v196, 12, v53
	v_lshrrev_b32_e32 v197, 5, v53
	v_lshlrev_b32_e32 v199, 4, v56
	v_lshlrev_b32_e32 v200, 11, v56
	v_lshrrev_b32_e32 v203, 12, v56
	v_lshrrev_b32_e32 v204, 5, v56
	v_and_b32_e32 v66, 16, v66
	v_and_b32_e32 v158, 0x1000, v158
	v_and_b32_e32 v161, 16, v161
	v_and_b32_e32 v162, 0x1000, v162
	v_lshlrev_b32_e32 v166, 18, v12
	v_lshlrev_b32_e32 v167, 25, v12
	v_and_b32_e32 v14, 0xf0f0f0f, v14
	v_lshlrev_b32_e32 v170, 2, v12
	v_lshlrev_b32_e32 v12, 9, v12
	v_and_b32_e32 v164, 16, v164
	v_and_b32_e32 v165, 0x1000, v165
	v_and_b32_e32 v168, 16, v168
	v_and_b32_e32 v169, 0x1000, v169
	v_lshlrev_b32_e32 v173, 18, v15
	v_lshlrev_b32_e32 v174, 25, v15
	v_and_b32_e32 v48, 0xf0f0f0f, v48
	v_lshlrev_b32_e32 v177, 2, v15
	v_lshlrev_b32_e32 v15, 9, v15
	;; [unrolled: 9-line block ×4, first 2 shown]
	v_and_b32_e32 v185, 16, v185
	v_and_b32_e32 v186, 0x1000, v186
	;; [unrolled: 1-line block ×4, first 2 shown]
	v_ashrrev_i32_e32 v55, v90, v55
	s_waitcnt vmcnt(16)
	v_ashrrev_i32_e32 v37, v90, v37
	v_ashrrev_i32_e32 v61, v90, v61
	v_lshlrev_b32_e32 v194, 18, v53
	v_lshlrev_b32_e32 v195, 25, v53
	v_and_b32_e32 v57, 0xf0f0f0f, v57
	v_lshlrev_b32_e32 v198, 2, v53
	v_lshlrev_b32_e32 v53, 9, v53
	;; [unrolled: 1-line block ×4, first 2 shown]
	v_and_b32_e32 v59, 0xf0f0f0f, v59
	v_lshlrev_b32_e32 v205, 2, v56
	v_lshlrev_b32_e32 v56, 9, v56
	v_and_b32_e32 v159, 0x100000, v159
	v_and_b32_e32 v160, 0x10000000, v160
	;; [unrolled: 1-line block ×12, first 2 shown]
	v_or3_b32 v10, v66, v10, v158
	v_or3_b32 v11, v161, v11, v162
	v_and_b32_e32 v166, 0x100000, v166
	v_and_b32_e32 v167, 0x10000000, v167
	v_and_b32_e32 v170, 0x100000, v170
	v_and_b32_e32 v12, 0x10000000, v12
	v_or3_b32 v13, v164, v13, v165
	v_or3_b32 v14, v168, v14, v169
	v_and_b32_e32 v173, 0x100000, v173
	v_and_b32_e32 v174, 0x10000000, v174
	v_and_b32_e32 v177, 0x100000, v177
	v_and_b32_e32 v15, 0x10000000, v15
	;; [unrolled: 6-line block ×4, first 2 shown]
	v_or3_b32 v52, v185, v52, v186
	v_or3_b32 v40, v189, v40, v190
	v_and_b32_e32 v64, 0xf0f0f0f, v16
	v_lshrrev_b32_e32 v16, 4, v16
	s_waitcnt vmcnt(15)
	v_and_b32_e32 v65, 0xf0f0f0f, v38
	v_lshrrev_b32_e32 v38, 4, v38
	v_lshlrev_b32_e32 v206, 4, v55
	v_lshlrev_b32_e32 v207, 11, v55
	v_lshrrev_b32_e32 v210, 12, v55
	v_lshrrev_b32_e32 v211, 5, v55
	;; [unrolled: 1-line block ×4, first 2 shown]
	v_lshlrev_b32_e32 v220, 4, v61
	v_lshlrev_b32_e32 v221, 11, v61
	v_and_b32_e32 v194, 0x100000, v194
	v_and_b32_e32 v195, 0x10000000, v195
	;; [unrolled: 1-line block ×8, first 2 shown]
	v_or3_b32 v54, v192, v54, v193
	v_or3_b32 v57, v196, v57, v197
	;; [unrolled: 1-line block ×14, first 2 shown]
	v_lshlrev_b32_e32 v208, 18, v55
	v_lshlrev_b32_e32 v209, 25, v55
	v_and_b32_e32 v16, 0xf0f0f0f, v16
	v_lshlrev_b32_e32 v212, 2, v55
	v_lshlrev_b32_e32 v55, 9, v55
	;; [unrolled: 1-line block ×6, first 2 shown]
	v_and_b32_e32 v38, 0xf0f0f0f, v38
	v_lshlrev_b32_e32 v219, 2, v37
	v_lshlrev_b32_e32 v37, 9, v37
	v_and_b32_e32 v206, 16, v206
	v_and_b32_e32 v207, 0x1000, v207
	;; [unrolled: 1-line block ×6, first 2 shown]
	v_or3_b32 v40, v54, v194, v195
	v_or3_b32 v49, v57, v198, v53
	;; [unrolled: 1-line block ×4, first 2 shown]
	ds_write2_b32 v18, v10, v9 offset1:1
	ds_write2_b32 v19, v11, v12 offset1:1
	;; [unrolled: 1-line block ×7, first 2 shown]
	s_waitcnt vmcnt(14)
	v_and_b32_e32 v9, 0xf0f0f0f, v41
	v_and_b32_e32 v10, 16, v220
	;; [unrolled: 1-line block ×9, first 2 shown]
	v_or3_b32 v64, v206, v64, v207
	v_or3_b32 v16, v210, v16, v211
	;; [unrolled: 1-line block ×4, first 2 shown]
	v_lshrrev_b32_e32 v10, 4, v41
	v_lshrrev_b32_e32 v11, 12, v61
	;; [unrolled: 1-line block ×3, first 2 shown]
	v_and_b32_e32 v213, 16, v213
	v_and_b32_e32 v214, 0x1000, v214
	v_or3_b32 v52, v64, v208, v209
	v_or3_b32 v16, v16, v212, v55
	;; [unrolled: 1-line block ×3, first 2 shown]
	v_and_b32_e32 v10, 0xf0f0f0f, v10
	v_and_b32_e32 v11, 16, v11
	;; [unrolled: 1-line block ×3, first 2 shown]
	v_ashrrev_i32_e32 v37, v90, v60
	v_and_b32_e32 v215, 0x100000, v215
	v_and_b32_e32 v216, 0x10000000, v216
	v_or3_b32 v65, v213, v65, v214
	ds_write2_b32 v25, v52, v16 offset1:1
	v_lshlrev_b32_e32 v14, 18, v61
	v_lshlrev_b32_e32 v16, 25, v61
	v_or3_b32 v10, v11, v10, v15
	v_lshlrev_b32_e32 v11, 4, v37
	v_lshlrev_b32_e32 v15, 11, v37
	v_or3_b32 v12, v65, v215, v216
	v_and_b32_e32 v14, 0x100000, v14
	v_and_b32_e32 v16, 0x10000000, v16
	s_waitcnt vmcnt(13)
	v_and_b32_e32 v40, 0xf0f0f0f, v42
	v_and_b32_e32 v11, 16, v11
	;; [unrolled: 1-line block ×3, first 2 shown]
	v_lshlrev_b32_e32 v38, 2, v61
	v_lshlrev_b32_e32 v39, 9, v61
	ds_write2_b32 v26, v12, v13 offset1:1
	v_or3_b32 v9, v9, v14, v16
	v_or3_b32 v11, v11, v40, v15
	v_lshrrev_b32_e32 v13, 4, v42
	v_lshrrev_b32_e32 v14, 12, v37
	;; [unrolled: 1-line block ×3, first 2 shown]
	v_and_b32_e32 v38, 0x100000, v38
	v_and_b32_e32 v39, 0x10000000, v39
	;; [unrolled: 1-line block ×5, first 2 shown]
	v_ashrrev_i32_e32 v17, v90, v17
	v_or3_b32 v10, v10, v38, v39
	v_lshlrev_b32_e32 v12, 18, v37
	v_lshlrev_b32_e32 v16, 25, v37
	;; [unrolled: 1-line block ×4, first 2 shown]
	v_or3_b32 v13, v14, v13, v15
	v_lshlrev_b32_e32 v14, 4, v17
	v_lshlrev_b32_e32 v15, 11, v17
	v_and_b32_e32 v12, 0x100000, v12
	v_and_b32_e32 v16, 0x10000000, v16
	;; [unrolled: 1-line block ×4, first 2 shown]
	s_waitcnt vmcnt(12)
	v_and_b32_e32 v39, 0xf0f0f0f, v43
	v_and_b32_e32 v14, 16, v14
	;; [unrolled: 1-line block ×3, first 2 shown]
	ds_write2_b32 v27, v9, v10 offset1:1
	v_or3_b32 v9, v11, v12, v16
	v_or3_b32 v10, v13, v38, v37
	v_lshrrev_b32_e32 v13, 4, v43
	v_or3_b32 v12, v14, v39, v15
	v_lshrrev_b32_e32 v14, 12, v17
	v_lshrrev_b32_e32 v15, 5, v17
	s_waitcnt vmcnt(8)
	v_ashrrev_i32_e32 v37, v90, v62
	v_and_b32_e32 v13, 0xf0f0f0f, v13
	v_lshlrev_b32_e32 v11, 18, v17
	v_and_b32_e32 v14, 16, v14
	v_and_b32_e32 v15, 0x1000, v15
	v_lshlrev_b32_e32 v16, 25, v17
	v_lshlrev_b32_e32 v38, 2, v17
	;; [unrolled: 1-line block ×3, first 2 shown]
	v_and_b32_e32 v11, 0x100000, v11
	v_or3_b32 v13, v14, v13, v15
	v_lshlrev_b32_e32 v14, 4, v37
	v_lshlrev_b32_e32 v15, 11, v37
	v_and_b32_e32 v16, 0x10000000, v16
	v_and_b32_e32 v38, 0x100000, v38
	v_and_b32_e32 v17, 0x10000000, v17
	s_waitcnt vmcnt(7)
	v_and_b32_e32 v39, 0xf0f0f0f, v63
	v_and_b32_e32 v14, 16, v14
	;; [unrolled: 1-line block ×3, first 2 shown]
	ds_write2_b32 v28, v9, v10 offset1:1
	v_or3_b32 v9, v12, v11, v16
	v_or3_b32 v10, v13, v38, v17
	v_lshrrev_b32_e32 v13, 4, v63
	v_or3_b32 v12, v14, v39, v15
	v_lshrrev_b32_e32 v14, 12, v37
	v_lshrrev_b32_e32 v15, 5, v37
	v_ashrrev_i32_e32 v17, v90, v46
	v_and_b32_e32 v13, 0xf0f0f0f, v13
	v_lshlrev_b32_e32 v11, 18, v37
	v_and_b32_e32 v14, 16, v14
	v_and_b32_e32 v15, 0x1000, v15
	v_lshlrev_b32_e32 v16, 25, v37
	v_lshlrev_b32_e32 v38, 2, v37
	;; [unrolled: 1-line block ×3, first 2 shown]
	v_and_b32_e32 v11, 0x100000, v11
	v_or3_b32 v13, v14, v13, v15
	v_lshlrev_b32_e32 v14, 4, v17
	v_lshlrev_b32_e32 v15, 11, v17
	v_and_b32_e32 v16, 0x10000000, v16
	v_and_b32_e32 v38, 0x100000, v38
	;; [unrolled: 1-line block ×3, first 2 shown]
	s_waitcnt vmcnt(6)
	v_and_b32_e32 v39, 0xf0f0f0f, v6
	v_and_b32_e32 v14, 16, v14
	;; [unrolled: 1-line block ×3, first 2 shown]
	v_lshlrev_b32_e32 v40, 18, v17
	v_lshlrev_b32_e32 v41, 25, v17
	v_or3_b32 v11, v12, v11, v16
	v_or3_b32 v12, v13, v38, v37
	;; [unrolled: 1-line block ×3, first 2 shown]
	v_and_b32_e32 v14, 0x100000, v40
	v_and_b32_e32 v15, 0x10000000, v41
	v_lshrrev_b32_e32 v16, 12, v17
	v_lshrrev_b32_e32 v37, 5, v17
	v_ashrrev_i32_e32 v38, v90, v45
	v_lshrrev_b32_e32 v6, 4, v6
	v_or3_b32 v13, v13, v14, v15
	v_and_b32_e32 v14, 16, v16
	v_and_b32_e32 v15, 0x1000, v37
	v_lshlrev_b32_e32 v16, 4, v38
	v_lshlrev_b32_e32 v37, 11, v38
	s_waitcnt vmcnt(5)
	v_and_b32_e32 v40, 0xf0f0f0f, v2
	v_and_b32_e32 v6, 0xf0f0f0f, v6
	v_lshlrev_b32_e32 v39, 2, v17
	v_and_b32_e32 v16, 16, v16
	v_and_b32_e32 v37, 0x1000, v37
	v_lshrrev_b32_e32 v2, 4, v2
	v_or3_b32 v6, v14, v6, v15
	v_and_b32_e32 v14, 0x100000, v39
	v_lshrrev_b32_e32 v39, 5, v38
	v_or3_b32 v16, v16, v40, v37
	v_ashrrev_i32_e32 v40, v90, v44
	v_lshrrev_b32_e32 v37, 12, v38
	v_and_b32_e32 v2, 0xf0f0f0f, v2
	v_and_b32_e32 v39, 0x1000, v39
	s_waitcnt vmcnt(4)
	v_and_b32_e32 v45, 0xf0f0f0f, v3
	v_lshlrev_b32_e32 v42, 4, v40
	v_lshlrev_b32_e32 v43, 11, v40
	v_and_b32_e32 v37, 16, v37
	v_lshlrev_b32_e32 v17, 9, v17
	v_lshlrev_b32_e32 v41, 18, v38
	v_and_b32_e32 v42, 16, v42
	v_and_b32_e32 v43, 0x1000, v43
	v_lshlrev_b32_e32 v44, 2, v38
	v_or3_b32 v2, v37, v2, v39
	v_lshrrev_b32_e32 v3, 4, v3
	v_and_b32_e32 v15, 0x10000000, v17
	v_or3_b32 v39, v42, v45, v43
	v_lshrrev_b32_e32 v42, 12, v40
	v_lshrrev_b32_e32 v43, 5, v40
	v_and_b32_e32 v17, 0x100000, v41
	v_lshlrev_b32_e32 v41, 25, v38
	v_lshlrev_b32_e32 v38, 9, v38
	v_and_b32_e32 v37, 0x100000, v44
	v_lshlrev_b32_e32 v44, 18, v40
	v_lshlrev_b32_e32 v45, 25, v40
	v_and_b32_e32 v3, 0xf0f0f0f, v3
	v_and_b32_e32 v42, 16, v42
	;; [unrolled: 1-line block ×3, first 2 shown]
	v_lshlrev_b32_e32 v46, 2, v40
	v_lshlrev_b32_e32 v40, 9, v40
	v_and_b32_e32 v41, 0x10000000, v41
	v_and_b32_e32 v38, 0x10000000, v38
	;; [unrolled: 1-line block ×4, first 2 shown]
	v_or3_b32 v3, v42, v3, v43
	v_and_b32_e32 v42, 0x100000, v46
	v_and_b32_e32 v40, 0x10000000, v40
	v_or3_b32 v6, v6, v14, v15
	v_or3_b32 v14, v16, v17, v41
	;; [unrolled: 1-line block ×5, first 2 shown]
	ds_write2_b32 v29, v9, v10 offset1:1
	ds_write2_b32 v30, v11, v12 offset1:1
	;; [unrolled: 1-line block ×5, first 2 shown]
	s_waitcnt vmcnt(3)
	ds_write_b32 v146, v4
	s_waitcnt vmcnt(2)
	ds_write_b32 v147, v5
	;; [unrolled: 2-line block ×4, first 2 shown]
	s_cbranch_scc0 .LBB124_5
; %bb.7:                                ;   in Loop: Header=BB124_6 Depth=1
	v_add_nc_u32_e32 v14, s11, v106
	v_add_nc_u32_e32 v158, s11, v34
	v_mov_b32_e32 v159, v140
	v_mov_b32_e32 v160, v133
	;; [unrolled: 1-line block ×3, first 2 shown]
	v_add_nc_u32_e32 v2, v14, v125
	v_add_nc_u32_e32 v4, v14, v126
	;; [unrolled: 1-line block ×5, first 2 shown]
	v_mad_u64_u32 v[12:13], null, v158, 36, s[2:3]
	v_mad_i64_i32 v[2:3], null, v2, 36, v[35:36]
	v_add_nc_u32_e32 v15, v14, v130
	v_mad_i64_i32 v[4:5], null, v4, 36, v[35:36]
	v_add_nc_u32_e32 v16, v14, v131
	;; [unrolled: 2-line block ×3, first 2 shown]
	v_mad_i64_i32 v[8:9], null, v8, 36, v[35:36]
	v_mad_i64_i32 v[10:11], null, v10, 36, v[35:36]
	;; [unrolled: 1-line block ×5, first 2 shown]
	s_clause 0x8
	global_load_dword v12, v[12:13], off
	global_load_dword v2, v[2:3], off offset:4
	global_load_dword v3, v[4:5], off offset:4
	;; [unrolled: 1-line block ×8, first 2 shown]
	v_mov_b32_e32 v162, v138
	v_mov_b32_e32 v163, v137
	;; [unrolled: 1-line block ×4, first 2 shown]
	s_mov_b32 s0, -4
	s_waitcnt vmcnt(8)
	ds_write_b32 v124, v12
	s_waitcnt vmcnt(7)
	ds_write_b32 v150, v2
	;; [unrolled: 2-line block ×9, first 2 shown]
	s_waitcnt lgkmcnt(0)
	s_barrier
	buffer_gl0_inv
.LBB124_8:                              ;   Parent Loop BB124_6 Depth=1
                                        ; =>  This Inner Loop Header: Depth=2
	v_add_nc_u32_e32 v10, 0x2080, v160
	ds_read_b128 v[6:9], v159
	ds_read2_b32 v[37:38], v160 offset1:1
	ds_read_b128 v[2:5], v159 offset:16
	v_mov_b32_e32 v167, 0
	v_mov_b32_e32 v166, 0
	ds_read2_b32 v[39:40], v10 offset1:1
	v_add_nc_u32_e32 v10, 0x4100, v160
	v_mov_b32_e32 v168, 0
	v_mov_b32_e32 v169, 0
	;; [unrolled: 1-line block ×3, first 2 shown]
	ds_read2_b32 v[47:48], v160 offset0:2 offset1:3
	ds_read2_b32 v[41:42], v10 offset1:1
	v_add_nc_u32_e32 v10, 0x6180, v160
	v_mov_b32_e32 v171, 0
	v_mov_b32_e32 v172, 0
	ds_read2_b32 v[57:58], v160 offset0:4 offset1:5
	v_mov_b32_e32 v173, 0
	ds_read2_b32 v[49:50], v10 offset1:1
	v_mov_b32_e32 v174, 0
	v_mov_b32_e32 v196, 0
	;; [unrolled: 1-line block ×3, first 2 shown]
	s_waitcnt lgkmcnt(6)
	v_dot4c_i32_i8 v167, v37, v6
	s_add_i32 s0, s0, 4
	ds_read_b128 v[13:16], v159 offset:2048
	s_cmp_lt_u32 s0, 12
	s_waitcnt lgkmcnt(5)
	v_dot4c_i32_i8 v166, v39, v6
	v_dot4c_i32_i8 v167, v38, v2
	ds_read_b128 v[175:178], v159 offset:3072
	ds_read_b128 v[180:183], v159 offset:4112
	;; [unrolled: 1-line block ×3, first 2 shown]
	v_dot4c_i32_i8 v166, v40, v2
	s_waitcnt lgkmcnt(6)
	v_dot4c_i32_i8 v168, v41, v6
	v_dot4c_i32_i8 v167, v47, v7
	ds_read_b128 v[188:191], v159 offset:6160
	ds_read_b128 v[192:195], v159 offset:7184
	v_dot4c_i32_i8 v168, v42, v2
	s_waitcnt lgkmcnt(6)
	v_dot4c_i32_i8 v169, v49, v6
	v_dot4c_i32_i8 v167, v48, v3
	;; [unrolled: 1-line block ×3, first 2 shown]
	v_add_nc_u32_e32 v2, 0x2088, v160
	v_dot4c_i32_i8 v167, v57, v8
	s_waitcnt lgkmcnt(5)
	v_dot4c_i32_i8 v173, v49, v13
	s_waitcnt lgkmcnt(4)
	v_dot4c_i32_i8 v174, v49, v175
	ds_read2_b32 v[51:52], v2 offset1:1
	v_add_nc_u32_e32 v2, 0x4108, v160
	v_dot4c_i32_i8 v167, v58, v4
	ds_read2_b32 v[55:56], v2 offset1:1
	v_add_nc_u32_e32 v2, 0x6188, v160
	ds_read2_b32 v[59:60], v2 offset1:1
	v_add_nc_u32_e32 v2, 0x2090, v160
	;; [unrolled: 2-line block ×3, first 2 shown]
	s_waitcnt lgkmcnt(3)
	v_dot4c_i32_i8 v166, v51, v7
	ds_read2_b32 v[63:64], v2 offset1:1
	v_add_nc_u32_e32 v2, 0x6190, v160
	s_waitcnt lgkmcnt(3)
	v_dot4c_i32_i8 v168, v55, v7
	v_dot4c_i32_i8 v166, v52, v3
	ds_read2_b32 v[65:66], v2 offset1:1
	v_dot4c_i32_i8 v168, v56, v3
	s_waitcnt lgkmcnt(3)
	v_dot4c_i32_i8 v169, v59, v7
	v_dot4c_i32_i8 v169, v60, v3
	s_waitcnt lgkmcnt(2)
	v_dot4c_i32_i8 v166, v61, v8
	ds_read2_b32 v[2:3], v160 offset0:6 offset1:7
	v_dot4c_i32_i8 v166, v62, v4
	s_waitcnt lgkmcnt(2)
	v_dot4c_i32_i8 v168, v63, v8
	v_dot4c_i32_i8 v168, v64, v4
	s_waitcnt lgkmcnt(1)
	v_dot4c_i32_i8 v169, v65, v8
	v_dot4c_i32_i8 v169, v66, v4
	v_add_nc_u32_e32 v4, 0x2098, v160
	ds_read2_b32 v[43:44], v4 offset1:1
	v_add_nc_u32_e32 v4, 0x4118, v160
	s_waitcnt lgkmcnt(1)
	v_dot4c_i32_i8 v167, v2, v9
	ds_read2_b32 v[45:46], v4 offset1:1
	v_add_nc_u32_e32 v4, 0x6198, v160
	v_dot4c_i32_i8 v167, v3, v5
	v_add_nc_u32_e32 v160, 32, v160
	ds_read2_b32 v[53:54], v4 offset1:1
	v_mov_b32_e32 v4, 0
	s_waitcnt lgkmcnt(2)
	v_dot4c_i32_i8 v166, v43, v9
	v_dot4c_i32_i8 v166, v44, v5
	s_waitcnt lgkmcnt(1)
	v_dot4c_i32_i8 v168, v45, v9
	v_dot4c_i32_i8 v168, v46, v5
	s_waitcnt lgkmcnt(0)
	v_dot4c_i32_i8 v169, v53, v9
	ds_read_b128 v[9:12], v159 offset:1024
	v_dot4c_i32_i8 v169, v54, v5
	s_waitcnt lgkmcnt(0)
	v_dot4c_i32_i8 v4, v37, v9
	v_dot4c_i32_i8 v170, v39, v9
	;; [unrolled: 1-line block ×4, first 2 shown]
	ds_read_b128 v[6:9], v159 offset:1040
	s_waitcnt lgkmcnt(0)
	v_dot4c_i32_i8 v4, v38, v6
	v_dot4c_i32_i8 v170, v40, v6
	v_dot4c_i32_i8 v171, v42, v6
	v_dot4c_i32_i8 v172, v50, v6
	v_mov_b32_e32 v6, 0
	v_dot4c_i32_i8 v4, v47, v10
	v_dot4c_i32_i8 v170, v51, v10
	v_dot4c_i32_i8 v171, v55, v10
	v_dot4c_i32_i8 v172, v59, v10
	v_dot4c_i32_i8 v6, v37, v13
	v_dot4c_i32_i8 v4, v48, v7
	v_dot4c_i32_i8 v170, v52, v7
	v_dot4c_i32_i8 v171, v56, v7
	v_dot4c_i32_i8 v172, v60, v7
	v_mov_b32_e32 v7, 0
	v_dot4c_i32_i8 v4, v57, v11
	v_dot4c_i32_i8 v170, v61, v11
	v_dot4c_i32_i8 v171, v63, v11
	v_dot4c_i32_i8 v172, v65, v11
	v_dot4c_i32_i8 v7, v39, v13
	;; [unrolled: 10-line block ×3, first 2 shown]
	ds_read_b128 v[10:13], v159 offset:2064
	v_dot4c_i32_i8 v4, v3, v9
	v_dot4c_i32_i8 v170, v44, v9
	;; [unrolled: 1-line block ×4, first 2 shown]
	v_cvt_f32_i32_e32 v4, v4
	s_waitcnt lgkmcnt(0)
	v_dot4c_i32_i8 v6, v38, v10
	v_dot4c_i32_i8 v7, v40, v10
	;; [unrolled: 1-line block ×4, first 2 shown]
	v_mov_b32_e32 v10, 0
	v_dot4c_i32_i8 v6, v47, v14
	v_dot4c_i32_i8 v7, v51, v14
	;; [unrolled: 1-line block ×9, first 2 shown]
	v_mov_b32_e32 v11, 0
	v_dot4c_i32_i8 v6, v57, v15
	v_dot4c_i32_i8 v7, v61, v15
	;; [unrolled: 1-line block ×9, first 2 shown]
	v_mov_b32_e32 v12, 0
	v_dot4c_i32_i8 v6, v2, v16
	v_dot4c_i32_i8 v7, v43, v16
	;; [unrolled: 1-line block ×4, first 2 shown]
	ds_read_b128 v[14:17], v159 offset:3088
	v_dot4c_i32_i8 v12, v41, v175
	v_mov_b32_e32 v175, 0
	v_dot4c_i32_i8 v6, v3, v13
	v_dot4c_i32_i8 v7, v44, v13
	;; [unrolled: 1-line block ×4, first 2 shown]
	v_cvt_f32_i32_e32 v6, v6
	s_waitcnt lgkmcnt(0)
	v_dot4c_i32_i8 v10, v38, v14
	v_dot4c_i32_i8 v11, v40, v14
	v_dot4c_i32_i8 v12, v42, v14
	v_dot4c_i32_i8 v174, v50, v14
	v_mov_b32_e32 v14, 0
	v_dot4c_i32_i8 v10, v47, v176
	v_dot4c_i32_i8 v11, v51, v176
	v_dot4c_i32_i8 v12, v55, v176
	v_dot4c_i32_i8 v174, v59, v176
	v_dot4c_i32_i8 v10, v48, v15
	v_dot4c_i32_i8 v11, v52, v15
	v_dot4c_i32_i8 v12, v56, v15
	v_dot4c_i32_i8 v174, v60, v15
	v_mov_b32_e32 v15, 0
	v_dot4c_i32_i8 v10, v57, v177
	v_dot4c_i32_i8 v11, v61, v177
	v_dot4c_i32_i8 v12, v63, v177
	v_dot4c_i32_i8 v174, v65, v177
	;; [unrolled: 9-line block ×3, first 2 shown]
	ds_read_b128 v[176:179], v159 offset:4096
	v_dot4c_i32_i8 v10, v3, v17
	v_dot4c_i32_i8 v11, v44, v17
	;; [unrolled: 1-line block ×4, first 2 shown]
	v_cvt_f32_i32_e32 v10, v10
	s_waitcnt lgkmcnt(0)
	v_dot4c_i32_i8 v15, v37, v176
	v_dot4c_i32_i8 v14, v39, v176
	;; [unrolled: 1-line block ×4, first 2 shown]
	v_mov_b32_e32 v176, 0
	v_dot4c_i32_i8 v15, v38, v180
	v_dot4c_i32_i8 v14, v40, v180
	;; [unrolled: 1-line block ×12, first 2 shown]
	v_mov_b32_e32 v181, 0
	v_dot4c_i32_i8 v15, v57, v178
	v_dot4c_i32_i8 v14, v61, v178
	;; [unrolled: 1-line block ×8, first 2 shown]
	v_mov_b32_e32 v182, 0
	v_dot4c_i32_i8 v15, v2, v179
	v_dot4c_i32_i8 v14, v43, v179
	;; [unrolled: 1-line block ×4, first 2 shown]
	ds_read_b128 v[177:180], v159 offset:5120
	v_dot4c_i32_i8 v15, v3, v183
	v_dot4c_i32_i8 v14, v44, v183
	v_dot4c_i32_i8 v16, v46, v183
	v_dot4c_i32_i8 v175, v54, v183
	v_cvt_f32_i32_e32 v15, v15
	v_cvt_f32_i32_e32 v14, v14
	s_waitcnt lgkmcnt(0)
	v_dot4c_i32_i8 v181, v37, v177
	v_dot4c_i32_i8 v176, v39, v177
	v_dot4c_i32_i8 v182, v41, v177
	v_dot4c_i32_i8 v196, v49, v177
	v_dot4c_i32_i8 v181, v38, v184
	v_dot4c_i32_i8 v176, v40, v184
	v_dot4c_i32_i8 v182, v42, v184
	v_dot4c_i32_i8 v196, v50, v184
	v_mov_b32_e32 v184, 0
	v_dot4c_i32_i8 v181, v47, v178
	v_dot4c_i32_i8 v176, v51, v178
	v_dot4c_i32_i8 v182, v55, v178
	v_dot4c_i32_i8 v196, v59, v178
	v_dot4c_i32_i8 v181, v48, v185
	v_dot4c_i32_i8 v176, v52, v185
	v_dot4c_i32_i8 v182, v56, v185
	v_dot4c_i32_i8 v196, v60, v185
	v_mov_b32_e32 v185, 0
	;; [unrolled: 9-line block ×3, first 2 shown]
	v_dot4c_i32_i8 v181, v2, v180
	v_dot4c_i32_i8 v176, v43, v180
	;; [unrolled: 1-line block ×4, first 2 shown]
	ds_read_b128 v[177:180], v159 offset:6144
	v_dot4c_i32_i8 v181, v3, v187
	v_dot4c_i32_i8 v176, v44, v187
	;; [unrolled: 1-line block ×4, first 2 shown]
	s_waitcnt lgkmcnt(0)
	v_dot4c_i32_i8 v184, v37, v177
	v_dot4c_i32_i8 v185, v39, v177
	;; [unrolled: 1-line block ×8, first 2 shown]
	v_mov_b32_e32 v188, 0
	v_dot4c_i32_i8 v184, v47, v178
	v_dot4c_i32_i8 v185, v51, v178
	;; [unrolled: 1-line block ×20, first 2 shown]
	ds_read_b128 v[177:180], v159 offset:7168
	v_dot4c_i32_i8 v184, v3, v191
	v_dot4c_i32_i8 v185, v44, v191
	;; [unrolled: 1-line block ×4, first 2 shown]
	v_add_nc_u32_e32 v159, 32, v159
	s_waitcnt lgkmcnt(0)
	v_dot4c_i32_i8 v188, v37, v177
	v_mov_b32_e32 v37, 0
	v_dot4c_i32_i8 v188, v38, v192
	v_mov_b32_e32 v38, 0
	;; [unrolled: 2-line block ×3, first 2 shown]
	v_dot4c_i32_i8 v188, v47, v178
	v_dot4c_i32_i8 v38, v41, v177
	;; [unrolled: 1-line block ×21, first 2 shown]
	ds_read_b32 v5, v162
	ds_read_b32 v9, v163
	;; [unrolled: 1-line block ×4, first 2 shown]
	ds_read2_b32 v[2:3], v161 offset1:32
	v_dot4c_i32_i8 v38, v64, v194
	v_dot4c_i32_i8 v37, v43, v180
	;; [unrolled: 1-line block ×3, first 2 shown]
	v_add_nc_u32_e32 v165, 4, v165
	v_add_nc_u32_e32 v164, 4, v164
	v_dot4c_i32_i8 v38, v45, v180
	v_dot4c_i32_i8 v37, v44, v195
	v_dot4c_i32_i8 v39, v53, v180
	v_add_nc_u32_e32 v163, 4, v163
	v_add_nc_u32_e32 v162, 4, v162
	v_dot4c_i32_i8 v38, v46, v195
	v_dot4c_i32_i8 v39, v54, v195
	s_waitcnt lgkmcnt(0)
	v_pk_mul_f16 v40, v2, v5
	v_pk_mul_f16 v41, v2, v9
	;; [unrolled: 1-line block ×8, first 2 shown]
	ds_read2_b32 v[2:3], v161 offset0:64 offset1:96
	v_fma_mix_f32 v4, v4, v44, v44 op_sel:[0,0,1] op_sel_hi:[0,1,1]
	v_cvt_f32_i32_e32 v44, v184
	v_add_f32_e32 v117, v117, v4
	v_cvt_f32_i32_e32 v4, v170
	v_fma_mix_f32 v4, v4, v45, v45 op_sel:[0,0,1] op_sel_hi:[0,1,1]
	v_cvt_f32_i32_e32 v45, v172
	v_add_f32_e32 v116, v116, v4
	v_fma_mix_f32 v45, v45, v47, v47 op_sel:[0,0,1] op_sel_hi:[0,1,1]
	v_cvt_f32_i32_e32 v47, v196
	s_waitcnt lgkmcnt(0)
	v_pk_mul_f16 v48, v5, v2
	v_pk_mul_f16 v49, v9, v2
	;; [unrolled: 1-line block ×8, first 2 shown]
	ds_read2_b32 v[2:3], v161 offset0:128 offset1:160
	v_fma_mix_f32 v6, v6, v48, v48 op_sel:[0,0,1] op_sel_hi:[0,1,1]
	v_cvt_f32_i32_e32 v48, v188
	v_fma_mix_f32 v10, v10, v52, v52 op_sel:[0,0,1] op_sel_hi:[0,1,1]
	v_add_f32_e32 v108, v108, v45
	v_add_f32_e32 v105, v105, v6
	v_cvt_f32_i32_e32 v6, v7
	v_cvt_f32_i32_e32 v7, v8
	;; [unrolled: 1-line block ×3, first 2 shown]
	v_add_f32_e32 v89, v89, v10
	v_cvt_f32_i32_e32 v10, v11
	v_fma_mix_f32 v6, v6, v49, v49 op_sel:[0,0,1] op_sel_hi:[0,1,1]
	v_cvt_f32_i32_e32 v11, v12
	v_cvt_f32_i32_e32 v12, v174
	;; [unrolled: 1-line block ×3, first 2 shown]
	v_fma_mix_f32 v7, v7, v50, v50 op_sel:[0,0,1] op_sel_hi:[0,1,1]
	v_fma_mix_f32 v8, v8, v51, v51 op_sel:[0,0,1] op_sel_hi:[0,1,1]
	;; [unrolled: 1-line block ×4, first 2 shown]
	s_waitcnt lgkmcnt(0)
	v_pk_mul_f16 v56, v5, v2
	v_pk_mul_f16 v57, v9, v2
	;; [unrolled: 1-line block ×8, first 2 shown]
	ds_read2_b32 v[2:3], v161 offset0:192 offset1:224
	v_fma_mix_f32 v15, v15, v56, v56 op_sel:[0,0,1] op_sel_hi:[0,1,1]
	v_fma_mix_f32 v12, v12, v55, v55 op_sel:[0,0,1] op_sel_hi:[0,1,1]
	;; [unrolled: 1-line block ×4, first 2 shown]
	v_add_f32_e32 v101, v101, v6
	v_add_f32_e32 v84, v84, v15
	v_cvt_f32_i32_e32 v15, v16
	v_cvt_f32_i32_e32 v16, v175
	v_add_f32_e32 v97, v97, v7
	v_add_f32_e32 v94, v94, v8
	;; [unrolled: 1-line block ×3, first 2 shown]
	v_fma_mix_f32 v15, v15, v58, v58 op_sel:[0,0,1] op_sel_hi:[0,1,1]
	v_fma_mix_f32 v16, v16, v59, v59 op_sel:[0,0,1] op_sel_hi:[0,1,1]
	v_add_nc_u32_e32 v161, 4, v161
	v_add_f32_e32 v86, v86, v11
	v_add_f32_e32 v85, v85, v12
	v_add_f32_e32 v83, v83, v14
	v_add_f32_e32 v82, v82, v15
	v_add_f32_e32 v80, v80, v16
	s_waitcnt lgkmcnt(0)
	v_pk_mul_f16 v64, v5, v2
	v_pk_mul_f16 v5, v5, v3
	;; [unrolled: 1-line block ×8, first 2 shown]
	v_cvt_f32_i32_e32 v17, v167
	v_fma_mix_f32 v5, v48, v5, v5 op_sel:[0,0,1] op_sel_hi:[0,1,1]
	v_fma_mix_f32 v44, v44, v64, v64 op_sel:[0,0,1] op_sel_hi:[0,1,1]
	v_cvt_f32_i32_e32 v48, v186
	v_fma_mix_f32 v2, v49, v2, v2 op_sel:[0,0,1] op_sel_hi:[0,1,1]
	v_fma_mix_f32 v17, v40, v17, v40 op_sel:[0,0,1] op_sel_hi:[1,0,1]
	v_cvt_f32_i32_e32 v40, v181
	v_add_f32_e32 v70, v70, v5
	v_cvt_f32_i32_e32 v5, v37
	v_add_f32_e32 v74, v74, v44
	v_add_f32_e32 v81, v81, v17
	v_cvt_f32_i32_e32 v17, v166
	v_fma_mix_f32 v40, v40, v60, v60 op_sel:[0,0,1] op_sel_hi:[0,1,1]
	v_fma_mix_f32 v5, v5, v9, v9 op_sel:[0,0,1] op_sel_hi:[0,1,1]
	v_cvt_f32_i32_e32 v9, v38
	v_cvt_f32_i32_e32 v44, v185
	v_fma_mix_f32 v17, v41, v17, v41 op_sel:[0,0,1] op_sel_hi:[1,0,1]
	v_cvt_f32_i32_e32 v41, v168
	v_add_f32_e32 v78, v78, v40
	v_cvt_f32_i32_e32 v40, v176
	v_fma_mix_f32 v9, v9, v13, v13 op_sel:[0,0,1] op_sel_hi:[0,1,1]
	v_cvt_f32_i32_e32 v13, v39
	v_fma_mix_f32 v41, v42, v41, v42 op_sel:[0,0,1] op_sel_hi:[1,0,1]
	;; [unrolled: 2-line block ×3, first 2 shown]
	v_fma_mix_f32 v44, v44, v65, v65 op_sel:[0,0,1] op_sel_hi:[0,1,1]
	v_fma_mix_f32 v48, v48, v66, v66 op_sel:[0,0,1] op_sel_hi:[0,1,1]
	;; [unrolled: 1-line block ×4, first 2 shown]
	v_cvt_f32_i32_e32 v43, v171
	v_add_f32_e32 v120, v120, v17
	v_add_f32_e32 v119, v119, v41
	;; [unrolled: 1-line block ×4, first 2 shown]
	v_fma_mix_f32 v43, v43, v46, v46 op_sel:[0,0,1] op_sel_hi:[0,1,1]
	v_cvt_f32_i32_e32 v46, v182
	v_add_f32_e32 v75, v75, v47
	v_add_f32_e32 v73, v73, v44
	;; [unrolled: 1-line block ×4, first 2 shown]
	v_fma_mix_f32 v46, v46, v62, v62 op_sel:[0,0,1] op_sel_hi:[0,1,1]
	v_add_f32_e32 v71, v71, v2
	v_add_f32_e32 v69, v69, v5
	;; [unrolled: 1-line block ×5, first 2 shown]
	s_cbranch_scc1 .LBB124_8
; %bb.9:                                ;   in Loop: Header=BB124_6 Depth=1
	s_and_b32 s0, s9, -4
	s_cmp_eq_u32 s0, 4
	s_barrier
	buffer_gl0_inv
	s_cbranch_scc1 .LBB124_5
; %bb.10:                               ;   in Loop: Header=BB124_6 Depth=1
	v_add_nc_u32_e32 v14, s11, v134
	v_add_nc_u32_e32 v12, 4, v158
	v_mov_b32_e32 v158, v139
	v_mov_b32_e32 v159, v140
	;; [unrolled: 1-line block ×3, first 2 shown]
	v_add_nc_u32_e32 v2, v14, v125
	v_add_nc_u32_e32 v4, v14, v126
	;; [unrolled: 1-line block ×5, first 2 shown]
	v_mad_u64_u32 v[12:13], null, v12, 36, s[2:3]
	v_mad_i64_i32 v[2:3], null, v2, 36, v[35:36]
	v_add_nc_u32_e32 v15, v14, v130
	v_mad_i64_i32 v[4:5], null, v4, 36, v[35:36]
	v_add_nc_u32_e32 v16, v14, v131
	;; [unrolled: 2-line block ×3, first 2 shown]
	v_mad_i64_i32 v[8:9], null, v8, 36, v[35:36]
	v_mad_i64_i32 v[10:11], null, v10, 36, v[35:36]
	;; [unrolled: 1-line block ×5, first 2 shown]
	s_clause 0x8
	global_load_dword v12, v[12:13], off
	global_load_dword v2, v[2:3], off offset:4
	global_load_dword v3, v[4:5], off offset:4
	;; [unrolled: 1-line block ×8, first 2 shown]
	v_mov_b32_e32 v161, v144
	v_mov_b32_e32 v162, v143
	;; [unrolled: 1-line block ×4, first 2 shown]
	s_mov_b32 s0, 12
	s_waitcnt vmcnt(8)
	ds_write_b32 v124, v12
	s_waitcnt vmcnt(7)
	ds_write_b32 v150, v2
	;; [unrolled: 2-line block ×9, first 2 shown]
	s_waitcnt lgkmcnt(0)
	s_barrier
	buffer_gl0_inv
.LBB124_11:                             ;   Parent Loop BB124_6 Depth=1
                                        ; =>  This Inner Loop Header: Depth=2
	v_add_nc_u32_e32 v10, 0x2080, v160
	ds_read_b128 v[6:9], v159
	ds_read2_b32 v[37:38], v160 offset1:1
	ds_read_b128 v[2:5], v159 offset:16
	v_mov_b32_e32 v166, 0
	v_mov_b32_e32 v165, 0
	ds_read2_b32 v[39:40], v10 offset1:1
	v_add_nc_u32_e32 v10, 0x4100, v160
	v_mov_b32_e32 v167, 0
	v_mov_b32_e32 v168, 0
	;; [unrolled: 1-line block ×3, first 2 shown]
	ds_read2_b32 v[47:48], v160 offset0:2 offset1:3
	ds_read2_b32 v[41:42], v10 offset1:1
	v_add_nc_u32_e32 v10, 0x6180, v160
	v_mov_b32_e32 v170, 0
	v_mov_b32_e32 v171, 0
	ds_read2_b32 v[57:58], v160 offset0:4 offset1:5
	v_mov_b32_e32 v172, 0
	ds_read2_b32 v[49:50], v10 offset1:1
	v_mov_b32_e32 v173, 0
	v_mov_b32_e32 v195, 0
	;; [unrolled: 1-line block ×3, first 2 shown]
	s_waitcnt lgkmcnt(6)
	v_dot4c_i32_i8 v166, v37, v6
	s_add_i32 s0, s0, 4
	ds_read_b128 v[13:16], v159 offset:2048
	s_cmp_lt_u32 s0, 28
	s_waitcnt lgkmcnt(5)
	v_dot4c_i32_i8 v165, v39, v6
	v_dot4c_i32_i8 v166, v38, v2
	ds_read_b128 v[174:177], v159 offset:3072
	ds_read_b128 v[179:182], v159 offset:4112
	;; [unrolled: 1-line block ×3, first 2 shown]
	v_dot4c_i32_i8 v165, v40, v2
	s_waitcnt lgkmcnt(6)
	v_dot4c_i32_i8 v167, v41, v6
	v_dot4c_i32_i8 v166, v47, v7
	ds_read_b128 v[187:190], v159 offset:6160
	ds_read_b128 v[191:194], v159 offset:7184
	v_dot4c_i32_i8 v167, v42, v2
	s_waitcnt lgkmcnt(6)
	v_dot4c_i32_i8 v168, v49, v6
	v_dot4c_i32_i8 v166, v48, v3
	;; [unrolled: 1-line block ×3, first 2 shown]
	v_add_nc_u32_e32 v2, 0x2088, v160
	v_dot4c_i32_i8 v166, v57, v8
	s_waitcnt lgkmcnt(5)
	v_dot4c_i32_i8 v172, v49, v13
	s_waitcnt lgkmcnt(4)
	v_dot4c_i32_i8 v173, v49, v174
	ds_read2_b32 v[51:52], v2 offset1:1
	v_add_nc_u32_e32 v2, 0x4108, v160
	v_dot4c_i32_i8 v166, v58, v4
	ds_read2_b32 v[55:56], v2 offset1:1
	v_add_nc_u32_e32 v2, 0x6188, v160
	ds_read2_b32 v[59:60], v2 offset1:1
	v_add_nc_u32_e32 v2, 0x2090, v160
	;; [unrolled: 2-line block ×3, first 2 shown]
	s_waitcnt lgkmcnt(3)
	v_dot4c_i32_i8 v165, v51, v7
	ds_read2_b32 v[63:64], v2 offset1:1
	v_add_nc_u32_e32 v2, 0x6190, v160
	s_waitcnt lgkmcnt(3)
	v_dot4c_i32_i8 v167, v55, v7
	v_dot4c_i32_i8 v165, v52, v3
	ds_read2_b32 v[65:66], v2 offset1:1
	v_dot4c_i32_i8 v167, v56, v3
	s_waitcnt lgkmcnt(3)
	v_dot4c_i32_i8 v168, v59, v7
	v_dot4c_i32_i8 v168, v60, v3
	s_waitcnt lgkmcnt(2)
	v_dot4c_i32_i8 v165, v61, v8
	ds_read2_b32 v[2:3], v160 offset0:6 offset1:7
	v_dot4c_i32_i8 v165, v62, v4
	s_waitcnt lgkmcnt(2)
	v_dot4c_i32_i8 v167, v63, v8
	v_dot4c_i32_i8 v167, v64, v4
	s_waitcnt lgkmcnt(1)
	v_dot4c_i32_i8 v168, v65, v8
	v_dot4c_i32_i8 v168, v66, v4
	v_add_nc_u32_e32 v4, 0x2098, v160
	ds_read2_b32 v[43:44], v4 offset1:1
	v_add_nc_u32_e32 v4, 0x4118, v160
	s_waitcnt lgkmcnt(1)
	v_dot4c_i32_i8 v166, v2, v9
	ds_read2_b32 v[45:46], v4 offset1:1
	v_add_nc_u32_e32 v4, 0x6198, v160
	v_dot4c_i32_i8 v166, v3, v5
	v_add_nc_u32_e32 v160, 32, v160
	ds_read2_b32 v[53:54], v4 offset1:1
	v_mov_b32_e32 v4, 0
	s_waitcnt lgkmcnt(2)
	v_dot4c_i32_i8 v165, v43, v9
	v_dot4c_i32_i8 v165, v44, v5
	s_waitcnt lgkmcnt(1)
	v_dot4c_i32_i8 v167, v45, v9
	v_dot4c_i32_i8 v167, v46, v5
	s_waitcnt lgkmcnt(0)
	v_dot4c_i32_i8 v168, v53, v9
	ds_read_b128 v[9:12], v159 offset:1024
	v_dot4c_i32_i8 v168, v54, v5
	s_waitcnt lgkmcnt(0)
	v_dot4c_i32_i8 v4, v37, v9
	v_dot4c_i32_i8 v169, v39, v9
	;; [unrolled: 1-line block ×4, first 2 shown]
	ds_read_b128 v[6:9], v159 offset:1040
	s_waitcnt lgkmcnt(0)
	v_dot4c_i32_i8 v4, v38, v6
	v_dot4c_i32_i8 v169, v40, v6
	v_dot4c_i32_i8 v170, v42, v6
	v_dot4c_i32_i8 v171, v50, v6
	v_mov_b32_e32 v6, 0
	v_dot4c_i32_i8 v4, v47, v10
	v_dot4c_i32_i8 v169, v51, v10
	v_dot4c_i32_i8 v170, v55, v10
	v_dot4c_i32_i8 v171, v59, v10
	v_dot4c_i32_i8 v6, v37, v13
	v_dot4c_i32_i8 v4, v48, v7
	v_dot4c_i32_i8 v169, v52, v7
	v_dot4c_i32_i8 v170, v56, v7
	v_dot4c_i32_i8 v171, v60, v7
	v_mov_b32_e32 v7, 0
	v_dot4c_i32_i8 v4, v57, v11
	v_dot4c_i32_i8 v169, v61, v11
	v_dot4c_i32_i8 v170, v63, v11
	v_dot4c_i32_i8 v171, v65, v11
	v_dot4c_i32_i8 v7, v39, v13
	;; [unrolled: 10-line block ×3, first 2 shown]
	ds_read_b128 v[10:13], v159 offset:2064
	v_dot4c_i32_i8 v4, v3, v9
	v_dot4c_i32_i8 v169, v44, v9
	;; [unrolled: 1-line block ×4, first 2 shown]
	v_cvt_f32_i32_e32 v4, v4
	s_waitcnt lgkmcnt(0)
	v_dot4c_i32_i8 v6, v38, v10
	v_dot4c_i32_i8 v7, v40, v10
	;; [unrolled: 1-line block ×4, first 2 shown]
	v_mov_b32_e32 v10, 0
	v_dot4c_i32_i8 v6, v47, v14
	v_dot4c_i32_i8 v7, v51, v14
	;; [unrolled: 1-line block ×9, first 2 shown]
	v_mov_b32_e32 v11, 0
	v_dot4c_i32_i8 v6, v57, v15
	v_dot4c_i32_i8 v7, v61, v15
	;; [unrolled: 1-line block ×9, first 2 shown]
	v_mov_b32_e32 v12, 0
	v_dot4c_i32_i8 v6, v2, v16
	v_dot4c_i32_i8 v7, v43, v16
	;; [unrolled: 1-line block ×4, first 2 shown]
	ds_read_b128 v[14:17], v159 offset:3088
	v_dot4c_i32_i8 v12, v41, v174
	v_mov_b32_e32 v174, 0
	v_dot4c_i32_i8 v6, v3, v13
	v_dot4c_i32_i8 v7, v44, v13
	;; [unrolled: 1-line block ×4, first 2 shown]
	v_cvt_f32_i32_e32 v6, v6
	s_waitcnt lgkmcnt(0)
	v_dot4c_i32_i8 v10, v38, v14
	v_dot4c_i32_i8 v11, v40, v14
	v_dot4c_i32_i8 v12, v42, v14
	v_dot4c_i32_i8 v173, v50, v14
	v_mov_b32_e32 v14, 0
	v_dot4c_i32_i8 v10, v47, v175
	v_dot4c_i32_i8 v11, v51, v175
	v_dot4c_i32_i8 v12, v55, v175
	v_dot4c_i32_i8 v173, v59, v175
	v_dot4c_i32_i8 v10, v48, v15
	v_dot4c_i32_i8 v11, v52, v15
	v_dot4c_i32_i8 v12, v56, v15
	v_dot4c_i32_i8 v173, v60, v15
	v_mov_b32_e32 v15, 0
	v_dot4c_i32_i8 v10, v57, v176
	v_dot4c_i32_i8 v11, v61, v176
	v_dot4c_i32_i8 v12, v63, v176
	v_dot4c_i32_i8 v173, v65, v176
	;; [unrolled: 9-line block ×3, first 2 shown]
	ds_read_b128 v[175:178], v159 offset:4096
	v_dot4c_i32_i8 v10, v3, v17
	v_dot4c_i32_i8 v11, v44, v17
	;; [unrolled: 1-line block ×4, first 2 shown]
	v_cvt_f32_i32_e32 v10, v10
	s_waitcnt lgkmcnt(0)
	v_dot4c_i32_i8 v15, v37, v175
	v_dot4c_i32_i8 v14, v39, v175
	;; [unrolled: 1-line block ×4, first 2 shown]
	v_mov_b32_e32 v175, 0
	v_dot4c_i32_i8 v15, v38, v179
	v_dot4c_i32_i8 v14, v40, v179
	;; [unrolled: 1-line block ×12, first 2 shown]
	v_mov_b32_e32 v180, 0
	v_dot4c_i32_i8 v15, v57, v177
	v_dot4c_i32_i8 v14, v61, v177
	v_dot4c_i32_i8 v16, v63, v177
	v_dot4c_i32_i8 v174, v65, v177
	v_dot4c_i32_i8 v15, v58, v181
	v_dot4c_i32_i8 v14, v62, v181
	v_dot4c_i32_i8 v16, v64, v181
	v_dot4c_i32_i8 v174, v66, v181
	v_mov_b32_e32 v181, 0
	v_dot4c_i32_i8 v15, v2, v178
	v_dot4c_i32_i8 v14, v43, v178
	;; [unrolled: 1-line block ×4, first 2 shown]
	ds_read_b128 v[176:179], v159 offset:5120
	v_dot4c_i32_i8 v15, v3, v182
	v_dot4c_i32_i8 v14, v44, v182
	;; [unrolled: 1-line block ×4, first 2 shown]
	v_cvt_f32_i32_e32 v15, v15
	v_cvt_f32_i32_e32 v14, v14
	s_waitcnt lgkmcnt(0)
	v_dot4c_i32_i8 v180, v37, v176
	v_dot4c_i32_i8 v175, v39, v176
	v_dot4c_i32_i8 v181, v41, v176
	v_dot4c_i32_i8 v195, v49, v176
	v_dot4c_i32_i8 v180, v38, v183
	v_dot4c_i32_i8 v175, v40, v183
	v_dot4c_i32_i8 v181, v42, v183
	v_dot4c_i32_i8 v195, v50, v183
	v_mov_b32_e32 v183, 0
	v_dot4c_i32_i8 v180, v47, v177
	v_dot4c_i32_i8 v175, v51, v177
	v_dot4c_i32_i8 v181, v55, v177
	v_dot4c_i32_i8 v195, v59, v177
	v_dot4c_i32_i8 v180, v48, v184
	v_dot4c_i32_i8 v175, v52, v184
	v_dot4c_i32_i8 v181, v56, v184
	v_dot4c_i32_i8 v195, v60, v184
	v_mov_b32_e32 v184, 0
	;; [unrolled: 9-line block ×3, first 2 shown]
	v_dot4c_i32_i8 v180, v2, v179
	v_dot4c_i32_i8 v175, v43, v179
	;; [unrolled: 1-line block ×4, first 2 shown]
	ds_read_b128 v[176:179], v159 offset:6144
	v_dot4c_i32_i8 v180, v3, v186
	v_dot4c_i32_i8 v175, v44, v186
	v_dot4c_i32_i8 v181, v46, v186
	v_dot4c_i32_i8 v195, v54, v186
	s_waitcnt lgkmcnt(0)
	v_dot4c_i32_i8 v183, v37, v176
	v_dot4c_i32_i8 v184, v39, v176
	;; [unrolled: 1-line block ×8, first 2 shown]
	v_mov_b32_e32 v187, 0
	v_dot4c_i32_i8 v183, v47, v177
	v_dot4c_i32_i8 v184, v51, v177
	;; [unrolled: 1-line block ×20, first 2 shown]
	ds_read_b128 v[176:179], v159 offset:7168
	v_dot4c_i32_i8 v183, v3, v190
	v_dot4c_i32_i8 v184, v44, v190
	;; [unrolled: 1-line block ×4, first 2 shown]
	v_add_nc_u32_e32 v159, 32, v159
	s_waitcnt lgkmcnt(0)
	v_dot4c_i32_i8 v187, v37, v176
	v_mov_b32_e32 v37, 0
	v_dot4c_i32_i8 v187, v38, v191
	v_mov_b32_e32 v38, 0
	v_dot4c_i32_i8 v37, v39, v176
	v_mov_b32_e32 v39, 0
	v_dot4c_i32_i8 v187, v47, v177
	v_dot4c_i32_i8 v38, v41, v176
	;; [unrolled: 1-line block ×21, first 2 shown]
	ds_read_b32 v5, v161
	ds_read_b32 v9, v162
	ds_read_b32 v13, v163
	ds_read_b32 v17, v164
	ds_read2_b32 v[2:3], v158 offset1:32
	v_dot4c_i32_i8 v38, v64, v193
	v_dot4c_i32_i8 v37, v43, v179
	;; [unrolled: 1-line block ×3, first 2 shown]
	v_add_nc_u32_e32 v164, 4, v164
	v_add_nc_u32_e32 v163, 4, v163
	v_dot4c_i32_i8 v38, v45, v179
	v_dot4c_i32_i8 v37, v44, v194
	;; [unrolled: 1-line block ×3, first 2 shown]
	v_add_nc_u32_e32 v162, 4, v162
	v_add_nc_u32_e32 v161, 4, v161
	v_dot4c_i32_i8 v38, v46, v194
	v_dot4c_i32_i8 v39, v54, v194
	s_waitcnt lgkmcnt(0)
	v_pk_mul_f16 v40, v2, v5
	v_pk_mul_f16 v41, v2, v9
	v_pk_mul_f16 v42, v2, v13
	v_pk_mul_f16 v43, v2, v17
	v_pk_mul_f16 v44, v5, v3
	v_pk_mul_f16 v45, v9, v3
	v_pk_mul_f16 v46, v13, v3
	v_pk_mul_f16 v47, v17, v3
	ds_read2_b32 v[2:3], v158 offset0:64 offset1:96
	v_fma_mix_f32 v4, v4, v44, v44 op_sel:[0,0,1] op_sel_hi:[0,1,1]
	v_cvt_f32_i32_e32 v44, v183
	v_add_f32_e32 v117, v117, v4
	v_cvt_f32_i32_e32 v4, v169
	v_fma_mix_f32 v4, v4, v45, v45 op_sel:[0,0,1] op_sel_hi:[0,1,1]
	v_cvt_f32_i32_e32 v45, v171
	v_add_f32_e32 v116, v116, v4
	v_fma_mix_f32 v45, v45, v47, v47 op_sel:[0,0,1] op_sel_hi:[0,1,1]
	v_cvt_f32_i32_e32 v47, v195
	s_waitcnt lgkmcnt(0)
	v_pk_mul_f16 v48, v5, v2
	v_pk_mul_f16 v49, v9, v2
	;; [unrolled: 1-line block ×8, first 2 shown]
	ds_read2_b32 v[2:3], v158 offset0:128 offset1:160
	v_fma_mix_f32 v6, v6, v48, v48 op_sel:[0,0,1] op_sel_hi:[0,1,1]
	v_cvt_f32_i32_e32 v48, v187
	v_fma_mix_f32 v10, v10, v52, v52 op_sel:[0,0,1] op_sel_hi:[0,1,1]
	v_add_f32_e32 v108, v108, v45
	v_add_f32_e32 v105, v105, v6
	v_cvt_f32_i32_e32 v6, v7
	v_cvt_f32_i32_e32 v7, v8
	;; [unrolled: 1-line block ×3, first 2 shown]
	v_add_f32_e32 v89, v89, v10
	v_cvt_f32_i32_e32 v10, v11
	v_fma_mix_f32 v6, v6, v49, v49 op_sel:[0,0,1] op_sel_hi:[0,1,1]
	v_cvt_f32_i32_e32 v11, v12
	v_cvt_f32_i32_e32 v12, v173
	;; [unrolled: 1-line block ×3, first 2 shown]
	v_fma_mix_f32 v7, v7, v50, v50 op_sel:[0,0,1] op_sel_hi:[0,1,1]
	v_fma_mix_f32 v8, v8, v51, v51 op_sel:[0,0,1] op_sel_hi:[0,1,1]
	;; [unrolled: 1-line block ×4, first 2 shown]
	s_waitcnt lgkmcnt(0)
	v_pk_mul_f16 v56, v5, v2
	v_pk_mul_f16 v57, v9, v2
	;; [unrolled: 1-line block ×8, first 2 shown]
	ds_read2_b32 v[2:3], v158 offset0:192 offset1:224
	v_fma_mix_f32 v15, v15, v56, v56 op_sel:[0,0,1] op_sel_hi:[0,1,1]
	v_fma_mix_f32 v12, v12, v55, v55 op_sel:[0,0,1] op_sel_hi:[0,1,1]
	;; [unrolled: 1-line block ×4, first 2 shown]
	v_add_f32_e32 v101, v101, v6
	v_add_f32_e32 v84, v84, v15
	v_cvt_f32_i32_e32 v15, v16
	v_cvt_f32_i32_e32 v16, v174
	v_add_f32_e32 v97, v97, v7
	v_add_f32_e32 v94, v94, v8
	;; [unrolled: 1-line block ×3, first 2 shown]
	v_fma_mix_f32 v15, v15, v58, v58 op_sel:[0,0,1] op_sel_hi:[0,1,1]
	v_fma_mix_f32 v16, v16, v59, v59 op_sel:[0,0,1] op_sel_hi:[0,1,1]
	v_add_nc_u32_e32 v158, 4, v158
	v_add_f32_e32 v86, v86, v11
	v_add_f32_e32 v85, v85, v12
	;; [unrolled: 1-line block ×5, first 2 shown]
	s_waitcnt lgkmcnt(0)
	v_pk_mul_f16 v64, v5, v2
	v_pk_mul_f16 v5, v5, v3
	v_pk_mul_f16 v65, v9, v2
	v_pk_mul_f16 v9, v9, v3
	v_pk_mul_f16 v66, v13, v2
	v_pk_mul_f16 v13, v13, v3
	v_pk_mul_f16 v2, v17, v2
	v_pk_mul_f16 v3, v17, v3
	v_cvt_f32_i32_e32 v17, v166
	v_fma_mix_f32 v5, v48, v5, v5 op_sel:[0,0,1] op_sel_hi:[0,1,1]
	v_fma_mix_f32 v44, v44, v64, v64 op_sel:[0,0,1] op_sel_hi:[0,1,1]
	v_cvt_f32_i32_e32 v48, v185
	v_fma_mix_f32 v2, v49, v2, v2 op_sel:[0,0,1] op_sel_hi:[0,1,1]
	v_fma_mix_f32 v17, v40, v17, v40 op_sel:[0,0,1] op_sel_hi:[1,0,1]
	v_cvt_f32_i32_e32 v40, v180
	v_add_f32_e32 v70, v70, v5
	v_cvt_f32_i32_e32 v5, v37
	v_add_f32_e32 v74, v74, v44
	v_add_f32_e32 v81, v81, v17
	v_cvt_f32_i32_e32 v17, v165
	v_fma_mix_f32 v40, v40, v60, v60 op_sel:[0,0,1] op_sel_hi:[0,1,1]
	v_fma_mix_f32 v5, v5, v9, v9 op_sel:[0,0,1] op_sel_hi:[0,1,1]
	v_cvt_f32_i32_e32 v9, v38
	v_cvt_f32_i32_e32 v44, v184
	v_fma_mix_f32 v17, v41, v17, v41 op_sel:[0,0,1] op_sel_hi:[1,0,1]
	v_cvt_f32_i32_e32 v41, v167
	v_add_f32_e32 v78, v78, v40
	v_cvt_f32_i32_e32 v40, v175
	v_fma_mix_f32 v9, v9, v13, v13 op_sel:[0,0,1] op_sel_hi:[0,1,1]
	v_cvt_f32_i32_e32 v13, v39
	v_fma_mix_f32 v41, v42, v41, v42 op_sel:[0,0,1] op_sel_hi:[1,0,1]
	;; [unrolled: 2-line block ×3, first 2 shown]
	v_fma_mix_f32 v44, v44, v65, v65 op_sel:[0,0,1] op_sel_hi:[0,1,1]
	v_fma_mix_f32 v48, v48, v66, v66 op_sel:[0,0,1] op_sel_hi:[0,1,1]
	;; [unrolled: 1-line block ×4, first 2 shown]
	v_cvt_f32_i32_e32 v43, v170
	v_add_f32_e32 v120, v120, v17
	v_add_f32_e32 v119, v119, v41
	;; [unrolled: 1-line block ×4, first 2 shown]
	v_fma_mix_f32 v43, v43, v46, v46 op_sel:[0,0,1] op_sel_hi:[0,1,1]
	v_cvt_f32_i32_e32 v46, v181
	v_add_f32_e32 v75, v75, v47
	v_add_f32_e32 v73, v73, v44
	;; [unrolled: 1-line block ×4, first 2 shown]
	v_fma_mix_f32 v46, v46, v62, v62 op_sel:[0,0,1] op_sel_hi:[0,1,1]
	v_add_f32_e32 v71, v71, v2
	v_add_f32_e32 v69, v69, v5
	;; [unrolled: 1-line block ×5, first 2 shown]
	s_cbranch_scc1 .LBB124_11
; %bb.12:                               ;   in Loop: Header=BB124_6 Depth=1
	s_barrier
	buffer_gl0_inv
	s_branch .LBB124_5
.LBB124_13:
	v_mov_b32_e32 v2, v79
.LBB124_14:
	s_mov_b32 s0, exec_lo
	v_cmpx_gt_u32_e64 s10, v2
	s_cbranch_execz .LBB124_65
; %bb.15:
	v_add_nc_u32_e32 v0, s6, v0
	v_mul_lo_u32 v5, v2, s14
	v_cmp_gt_u32_e32 vcc_lo, s14, v0
	s_and_saveexec_b32 s1, vcc_lo
	s_cbranch_execz .LBB124_17
; %bb.16:
	v_add_nc_u32_e32 v2, v0, v5
	v_mov_b32_e32 v3, 0
	v_lshlrev_b64 v[2:3], 2, v[2:3]
	s_waitcnt lgkmcnt(0)
	v_add_co_u32 v2, s0, s12, v2
	v_add_co_ci_u32_e64 v3, null, s13, v3, s0
	global_store_dword v[2:3], v81, off
.LBB124_17:
	s_or_b32 exec_lo, exec_lo, s1
	v_add_nc_u32_e32 v2, 32, v0
	v_cmp_gt_u32_e64 s0, s14, v2
	s_and_saveexec_b32 s2, s0
	s_cbranch_execz .LBB124_19
; %bb.18:
	v_add_nc_u32_e32 v3, v2, v5
	v_mov_b32_e32 v4, 0
	v_lshlrev_b64 v[3:4], 2, v[3:4]
	s_waitcnt lgkmcnt(0)
	v_add_co_u32 v3, s1, s12, v3
	v_add_co_ci_u32_e64 v4, null, s13, v4, s1
	global_store_dword v[3:4], v120, off
.LBB124_19:
	s_or_b32 exec_lo, exec_lo, s2
	v_add_nc_u32_e32 v3, 64, v0
	v_cmp_gt_u32_e64 s1, s14, v3
	s_and_saveexec_b32 s3, s1
	;; [unrolled: 14-line block ×3, first 2 shown]
	s_cbranch_execz .LBB124_23
; %bb.22:
	v_add_nc_u32_e32 v5, v4, v5
	v_mov_b32_e32 v6, 0
	v_lshlrev_b64 v[5:6], 2, v[5:6]
	s_waitcnt lgkmcnt(0)
	v_add_co_u32 v5, s3, s12, v5
	v_add_co_ci_u32_e64 v6, null, s13, v6, s3
	global_store_dword v[5:6], v118, off
.LBB124_23:
	s_or_b32 exec_lo, exec_lo, s4
	v_add3_u32 v5, v1, s7, 8
	v_cmp_gt_u32_e64 s3, s10, v5
	s_and_b32 exec_lo, exec_lo, s3
	s_cbranch_execz .LBB124_65
; %bb.24:
	v_mul_lo_u32 v5, v5, s14
	s_and_saveexec_b32 s4, vcc_lo
	s_cbranch_execnz .LBB124_66
; %bb.25:
	s_or_b32 exec_lo, exec_lo, s4
	s_and_saveexec_b32 s4, s0
	s_cbranch_execnz .LBB124_67
.LBB124_26:
	s_or_b32 exec_lo, exec_lo, s4
	s_and_saveexec_b32 s4, s1
	s_cbranch_execnz .LBB124_68
.LBB124_27:
	s_or_b32 exec_lo, exec_lo, s4
	s_and_saveexec_b32 s4, s2
	s_cbranch_execz .LBB124_29
.LBB124_28:
	v_add_nc_u32_e32 v5, v5, v4
	v_mov_b32_e32 v6, 0
	v_lshlrev_b64 v[5:6], 2, v[5:6]
	s_waitcnt lgkmcnt(0)
	v_add_co_u32 v5, s3, s12, v5
	v_add_co_ci_u32_e64 v6, null, s13, v6, s3
	global_store_dword v[5:6], v108, off
.LBB124_29:
	s_or_b32 exec_lo, exec_lo, s4
	v_add3_u32 v5, v1, s7, 16
	v_cmp_gt_u32_e64 s3, s10, v5
	s_and_b32 exec_lo, exec_lo, s3
	s_cbranch_execz .LBB124_65
; %bb.30:
	v_mul_lo_u32 v5, v5, s14
	s_and_saveexec_b32 s4, vcc_lo
	s_cbranch_execnz .LBB124_69
; %bb.31:
	s_or_b32 exec_lo, exec_lo, s4
	s_and_saveexec_b32 s4, s0
	s_cbranch_execnz .LBB124_70
.LBB124_32:
	s_or_b32 exec_lo, exec_lo, s4
	s_and_saveexec_b32 s4, s1
	s_cbranch_execnz .LBB124_71
.LBB124_33:
	s_or_b32 exec_lo, exec_lo, s4
	s_and_saveexec_b32 s4, s2
	s_cbranch_execz .LBB124_35
.LBB124_34:
	v_add_nc_u32_e32 v5, v5, v4
	v_mov_b32_e32 v6, 0
	v_lshlrev_b64 v[5:6], 2, v[5:6]
	s_waitcnt lgkmcnt(0)
	v_add_co_u32 v5, s3, s12, v5
	v_add_co_ci_u32_e64 v6, null, s13, v6, s3
	global_store_dword v[5:6], v94, off
.LBB124_35:
	s_or_b32 exec_lo, exec_lo, s4
	v_add3_u32 v5, v1, s7, 24
	v_cmp_gt_u32_e64 s3, s10, v5
	s_and_b32 exec_lo, exec_lo, s3
	s_cbranch_execz .LBB124_65
; %bb.36:
	v_mul_lo_u32 v5, v5, s14
	s_and_saveexec_b32 s4, vcc_lo
	s_cbranch_execnz .LBB124_72
; %bb.37:
	s_or_b32 exec_lo, exec_lo, s4
	s_and_saveexec_b32 s4, s0
	s_cbranch_execnz .LBB124_73
.LBB124_38:
	s_or_b32 exec_lo, exec_lo, s4
	s_and_saveexec_b32 s4, s1
	s_cbranch_execnz .LBB124_74
.LBB124_39:
	s_or_b32 exec_lo, exec_lo, s4
	s_and_saveexec_b32 s4, s2
	s_cbranch_execz .LBB124_41
.LBB124_40:
	v_add_nc_u32_e32 v5, v5, v4
	v_mov_b32_e32 v6, 0
	v_lshlrev_b64 v[5:6], 2, v[5:6]
	s_waitcnt lgkmcnt(0)
	v_add_co_u32 v5, s3, s12, v5
	v_add_co_ci_u32_e64 v6, null, s13, v6, s3
	global_store_dword v[5:6], v85, off
.LBB124_41:
	s_or_b32 exec_lo, exec_lo, s4
	v_add3_u32 v5, v1, s7, 32
	v_cmp_gt_u32_e64 s3, s10, v5
	s_and_b32 exec_lo, exec_lo, s3
	s_cbranch_execz .LBB124_65
; %bb.42:
	v_mul_lo_u32 v5, v5, s14
	s_and_saveexec_b32 s4, vcc_lo
	s_cbranch_execnz .LBB124_75
; %bb.43:
	s_or_b32 exec_lo, exec_lo, s4
	s_and_saveexec_b32 s4, s0
	s_cbranch_execnz .LBB124_76
.LBB124_44:
	s_or_b32 exec_lo, exec_lo, s4
	s_and_saveexec_b32 s4, s1
	s_cbranch_execnz .LBB124_77
.LBB124_45:
	s_or_b32 exec_lo, exec_lo, s4
	s_and_saveexec_b32 s4, s2
	s_cbranch_execz .LBB124_47
.LBB124_46:
	v_add_nc_u32_e32 v5, v5, v4
	v_mov_b32_e32 v6, 0
	v_lshlrev_b64 v[5:6], 2, v[5:6]
	s_waitcnt lgkmcnt(0)
	v_add_co_u32 v5, s3, s12, v5
	v_add_co_ci_u32_e64 v6, null, s13, v6, s3
	global_store_dword v[5:6], v80, off
.LBB124_47:
	s_or_b32 exec_lo, exec_lo, s4
	v_add3_u32 v5, v1, s7, 40
	v_cmp_gt_u32_e64 s3, s10, v5
	s_and_b32 exec_lo, exec_lo, s3
	s_cbranch_execz .LBB124_65
; %bb.48:
	v_mul_lo_u32 v5, v5, s14
	s_and_saveexec_b32 s4, vcc_lo
	s_cbranch_execnz .LBB124_78
; %bb.49:
	s_or_b32 exec_lo, exec_lo, s4
	s_and_saveexec_b32 s4, s0
	s_cbranch_execnz .LBB124_79
.LBB124_50:
	s_or_b32 exec_lo, exec_lo, s4
	s_and_saveexec_b32 s4, s1
	s_cbranch_execnz .LBB124_80
.LBB124_51:
	s_or_b32 exec_lo, exec_lo, s4
	s_and_saveexec_b32 s4, s2
	s_cbranch_execz .LBB124_53
.LBB124_52:
	v_add_nc_u32_e32 v5, v5, v4
	v_mov_b32_e32 v6, 0
	v_lshlrev_b64 v[5:6], 2, v[5:6]
	s_waitcnt lgkmcnt(0)
	v_add_co_u32 v5, s3, s12, v5
	v_add_co_ci_u32_e64 v6, null, s13, v6, s3
	global_store_dword v[5:6], v75, off
.LBB124_53:
	s_or_b32 exec_lo, exec_lo, s4
	v_add3_u32 v5, v1, s7, 48
	v_cmp_gt_u32_e64 s3, s10, v5
	s_and_b32 exec_lo, exec_lo, s3
	s_cbranch_execz .LBB124_65
; %bb.54:
	v_mul_lo_u32 v5, v5, s14
	s_and_saveexec_b32 s4, vcc_lo
	s_cbranch_execnz .LBB124_81
; %bb.55:
	s_or_b32 exec_lo, exec_lo, s4
	s_and_saveexec_b32 s4, s0
	s_cbranch_execnz .LBB124_82
.LBB124_56:
	s_or_b32 exec_lo, exec_lo, s4
	s_and_saveexec_b32 s4, s1
	s_cbranch_execnz .LBB124_83
.LBB124_57:
	s_or_b32 exec_lo, exec_lo, s4
	s_and_saveexec_b32 s4, s2
	s_cbranch_execz .LBB124_59
.LBB124_58:
	v_add_nc_u32_e32 v5, v5, v4
	v_mov_b32_e32 v6, 0
	v_lshlrev_b64 v[5:6], 2, v[5:6]
	s_waitcnt lgkmcnt(0)
	v_add_co_u32 v5, s3, s12, v5
	v_add_co_ci_u32_e64 v6, null, s13, v6, s3
	global_store_dword v[5:6], v71, off
.LBB124_59:
	s_or_b32 exec_lo, exec_lo, s4
	v_add3_u32 v1, v1, s7, 56
	v_cmp_gt_u32_e64 s3, s10, v1
	s_and_b32 exec_lo, exec_lo, s3
	s_cbranch_execz .LBB124_65
; %bb.60:
	v_mul_lo_u32 v1, v1, s14
	s_and_saveexec_b32 s3, vcc_lo
	s_cbranch_execnz .LBB124_84
; %bb.61:
	s_or_b32 exec_lo, exec_lo, s3
	s_and_saveexec_b32 s3, s0
	s_cbranch_execnz .LBB124_85
.LBB124_62:
	s_or_b32 exec_lo, exec_lo, s3
	s_and_saveexec_b32 s0, s1
	s_cbranch_execnz .LBB124_86
.LBB124_63:
	s_or_b32 exec_lo, exec_lo, s0
	s_and_b32 exec_lo, exec_lo, s2
	s_cbranch_execz .LBB124_65
.LBB124_64:
	v_add_nc_u32_e32 v0, v1, v4
	v_mov_b32_e32 v1, 0
	v_lshlrev_b64 v[0:1], 2, v[0:1]
	s_waitcnt lgkmcnt(0)
	v_add_co_u32 v0, vcc_lo, s12, v0
	v_add_co_ci_u32_e64 v1, null, s13, v1, vcc_lo
	global_store_dword v[0:1], v67, off
.LBB124_65:
	s_endpgm
.LBB124_66:
	v_add_nc_u32_e32 v6, v5, v0
	v_mov_b32_e32 v7, 0
	v_lshlrev_b64 v[6:7], 2, v[6:7]
	s_waitcnt lgkmcnt(0)
	v_add_co_u32 v6, s3, s12, v6
	v_add_co_ci_u32_e64 v7, null, s13, v7, s3
	global_store_dword v[6:7], v117, off
	s_or_b32 exec_lo, exec_lo, s4
	s_and_saveexec_b32 s4, s0
	s_cbranch_execz .LBB124_26
.LBB124_67:
	v_add_nc_u32_e32 v6, v5, v2
	v_mov_b32_e32 v7, 0
	v_lshlrev_b64 v[6:7], 2, v[6:7]
	s_waitcnt lgkmcnt(0)
	v_add_co_u32 v6, s3, s12, v6
	v_add_co_ci_u32_e64 v7, null, s13, v7, s3
	global_store_dword v[6:7], v116, off
	s_or_b32 exec_lo, exec_lo, s4
	s_and_saveexec_b32 s4, s1
	s_cbranch_execz .LBB124_27
.LBB124_68:
	v_add_nc_u32_e32 v6, v5, v3
	v_mov_b32_e32 v7, 0
	v_lshlrev_b64 v[6:7], 2, v[6:7]
	s_waitcnt lgkmcnt(0)
	v_add_co_u32 v6, s3, s12, v6
	v_add_co_ci_u32_e64 v7, null, s13, v7, s3
	global_store_dword v[6:7], v112, off
	s_or_b32 exec_lo, exec_lo, s4
	s_and_saveexec_b32 s4, s2
	s_cbranch_execnz .LBB124_28
	s_branch .LBB124_29
.LBB124_69:
	v_add_nc_u32_e32 v6, v5, v0
	v_mov_b32_e32 v7, 0
	v_lshlrev_b64 v[6:7], 2, v[6:7]
	s_waitcnt lgkmcnt(0)
	v_add_co_u32 v6, s3, s12, v6
	v_add_co_ci_u32_e64 v7, null, s13, v7, s3
	global_store_dword v[6:7], v105, off
	s_or_b32 exec_lo, exec_lo, s4
	s_and_saveexec_b32 s4, s0
	s_cbranch_execz .LBB124_32
.LBB124_70:
	v_add_nc_u32_e32 v6, v5, v2
	v_mov_b32_e32 v7, 0
	v_lshlrev_b64 v[6:7], 2, v[6:7]
	s_waitcnt lgkmcnt(0)
	v_add_co_u32 v6, s3, s12, v6
	v_add_co_ci_u32_e64 v7, null, s13, v7, s3
	global_store_dword v[6:7], v101, off
	s_or_b32 exec_lo, exec_lo, s4
	s_and_saveexec_b32 s4, s1
	s_cbranch_execz .LBB124_33
.LBB124_71:
	v_add_nc_u32_e32 v6, v5, v3
	v_mov_b32_e32 v7, 0
	v_lshlrev_b64 v[6:7], 2, v[6:7]
	s_waitcnt lgkmcnt(0)
	v_add_co_u32 v6, s3, s12, v6
	v_add_co_ci_u32_e64 v7, null, s13, v7, s3
	global_store_dword v[6:7], v97, off
	s_or_b32 exec_lo, exec_lo, s4
	s_and_saveexec_b32 s4, s2
	s_cbranch_execnz .LBB124_34
	s_branch .LBB124_35
.LBB124_72:
	v_add_nc_u32_e32 v6, v5, v0
	v_mov_b32_e32 v7, 0
	v_lshlrev_b64 v[6:7], 2, v[6:7]
	s_waitcnt lgkmcnt(0)
	v_add_co_u32 v6, s3, s12, v6
	v_add_co_ci_u32_e64 v7, null, s13, v7, s3
	global_store_dword v[6:7], v89, off
	s_or_b32 exec_lo, exec_lo, s4
	s_and_saveexec_b32 s4, s0
	s_cbranch_execz .LBB124_38
.LBB124_73:
	v_add_nc_u32_e32 v6, v5, v2
	v_mov_b32_e32 v7, 0
	v_lshlrev_b64 v[6:7], 2, v[6:7]
	s_waitcnt lgkmcnt(0)
	v_add_co_u32 v6, s3, s12, v6
	v_add_co_ci_u32_e64 v7, null, s13, v7, s3
	global_store_dword v[6:7], v88, off
	s_or_b32 exec_lo, exec_lo, s4
	s_and_saveexec_b32 s4, s1
	s_cbranch_execz .LBB124_39
.LBB124_74:
	v_add_nc_u32_e32 v6, v5, v3
	v_mov_b32_e32 v7, 0
	v_lshlrev_b64 v[6:7], 2, v[6:7]
	s_waitcnt lgkmcnt(0)
	v_add_co_u32 v6, s3, s12, v6
	v_add_co_ci_u32_e64 v7, null, s13, v7, s3
	global_store_dword v[6:7], v86, off
	s_or_b32 exec_lo, exec_lo, s4
	s_and_saveexec_b32 s4, s2
	s_cbranch_execnz .LBB124_40
	s_branch .LBB124_41
.LBB124_75:
	v_add_nc_u32_e32 v6, v5, v0
	v_mov_b32_e32 v7, 0
	v_lshlrev_b64 v[6:7], 2, v[6:7]
	s_waitcnt lgkmcnt(0)
	v_add_co_u32 v6, s3, s12, v6
	v_add_co_ci_u32_e64 v7, null, s13, v7, s3
	global_store_dword v[6:7], v84, off
	s_or_b32 exec_lo, exec_lo, s4
	s_and_saveexec_b32 s4, s0
	s_cbranch_execz .LBB124_44
.LBB124_76:
	v_add_nc_u32_e32 v6, v5, v2
	v_mov_b32_e32 v7, 0
	v_lshlrev_b64 v[6:7], 2, v[6:7]
	s_waitcnt lgkmcnt(0)
	v_add_co_u32 v6, s3, s12, v6
	v_add_co_ci_u32_e64 v7, null, s13, v7, s3
	global_store_dword v[6:7], v83, off
	s_or_b32 exec_lo, exec_lo, s4
	s_and_saveexec_b32 s4, s1
	s_cbranch_execz .LBB124_45
.LBB124_77:
	v_add_nc_u32_e32 v6, v5, v3
	v_mov_b32_e32 v7, 0
	v_lshlrev_b64 v[6:7], 2, v[6:7]
	s_waitcnt lgkmcnt(0)
	v_add_co_u32 v6, s3, s12, v6
	v_add_co_ci_u32_e64 v7, null, s13, v7, s3
	global_store_dword v[6:7], v82, off
	s_or_b32 exec_lo, exec_lo, s4
	s_and_saveexec_b32 s4, s2
	s_cbranch_execnz .LBB124_46
	s_branch .LBB124_47
.LBB124_78:
	v_add_nc_u32_e32 v6, v5, v0
	v_mov_b32_e32 v7, 0
	v_lshlrev_b64 v[6:7], 2, v[6:7]
	s_waitcnt lgkmcnt(0)
	v_add_co_u32 v6, s3, s12, v6
	v_add_co_ci_u32_e64 v7, null, s13, v7, s3
	global_store_dword v[6:7], v78, off
	s_or_b32 exec_lo, exec_lo, s4
	s_and_saveexec_b32 s4, s0
	s_cbranch_execz .LBB124_50
.LBB124_79:
	v_add_nc_u32_e32 v6, v5, v2
	v_mov_b32_e32 v7, 0
	v_lshlrev_b64 v[6:7], 2, v[6:7]
	s_waitcnt lgkmcnt(0)
	v_add_co_u32 v6, s3, s12, v6
	v_add_co_ci_u32_e64 v7, null, s13, v7, s3
	global_store_dword v[6:7], v77, off
	s_or_b32 exec_lo, exec_lo, s4
	s_and_saveexec_b32 s4, s1
	s_cbranch_execz .LBB124_51
.LBB124_80:
	v_add_nc_u32_e32 v6, v5, v3
	v_mov_b32_e32 v7, 0
	v_lshlrev_b64 v[6:7], 2, v[6:7]
	s_waitcnt lgkmcnt(0)
	v_add_co_u32 v6, s3, s12, v6
	v_add_co_ci_u32_e64 v7, null, s13, v7, s3
	global_store_dword v[6:7], v76, off
	s_or_b32 exec_lo, exec_lo, s4
	s_and_saveexec_b32 s4, s2
	s_cbranch_execnz .LBB124_52
	s_branch .LBB124_53
.LBB124_81:
	v_add_nc_u32_e32 v6, v5, v0
	v_mov_b32_e32 v7, 0
	v_lshlrev_b64 v[6:7], 2, v[6:7]
	s_waitcnt lgkmcnt(0)
	v_add_co_u32 v6, s3, s12, v6
	v_add_co_ci_u32_e64 v7, null, s13, v7, s3
	global_store_dword v[6:7], v74, off
	s_or_b32 exec_lo, exec_lo, s4
	s_and_saveexec_b32 s4, s0
	s_cbranch_execz .LBB124_56
.LBB124_82:
	v_add_nc_u32_e32 v6, v5, v2
	v_mov_b32_e32 v7, 0
	v_lshlrev_b64 v[6:7], 2, v[6:7]
	s_waitcnt lgkmcnt(0)
	v_add_co_u32 v6, s3, s12, v6
	v_add_co_ci_u32_e64 v7, null, s13, v7, s3
	global_store_dword v[6:7], v73, off
	s_or_b32 exec_lo, exec_lo, s4
	s_and_saveexec_b32 s4, s1
	s_cbranch_execz .LBB124_57
.LBB124_83:
	v_add_nc_u32_e32 v6, v5, v3
	v_mov_b32_e32 v7, 0
	v_lshlrev_b64 v[6:7], 2, v[6:7]
	s_waitcnt lgkmcnt(0)
	v_add_co_u32 v6, s3, s12, v6
	v_add_co_ci_u32_e64 v7, null, s13, v7, s3
	global_store_dword v[6:7], v72, off
	s_or_b32 exec_lo, exec_lo, s4
	s_and_saveexec_b32 s4, s2
	s_cbranch_execnz .LBB124_58
	s_branch .LBB124_59
.LBB124_84:
	v_add_nc_u32_e32 v5, v1, v0
	v_mov_b32_e32 v6, 0
	v_lshlrev_b64 v[5:6], 2, v[5:6]
	s_waitcnt lgkmcnt(0)
	v_add_co_u32 v5, vcc_lo, s12, v5
	v_add_co_ci_u32_e64 v6, null, s13, v6, vcc_lo
	global_store_dword v[5:6], v70, off
	s_or_b32 exec_lo, exec_lo, s3
	s_and_saveexec_b32 s3, s0
	s_cbranch_execz .LBB124_62
.LBB124_85:
	v_add_nc_u32_e32 v5, v1, v2
	v_mov_b32_e32 v6, 0
	v_lshlrev_b64 v[5:6], 2, v[5:6]
	s_waitcnt lgkmcnt(0)
	v_add_co_u32 v5, vcc_lo, s12, v5
	v_add_co_ci_u32_e64 v6, null, s13, v6, vcc_lo
	global_store_dword v[5:6], v69, off
	s_or_b32 exec_lo, exec_lo, s3
	s_and_saveexec_b32 s0, s1
	s_cbranch_execz .LBB124_63
.LBB124_86:
	v_add_nc_u32_e32 v2, v1, v3
	v_mov_b32_e32 v3, 0
	v_lshlrev_b64 v[2:3], 2, v[2:3]
	s_waitcnt lgkmcnt(0)
	v_add_co_u32 v2, vcc_lo, s12, v2
	v_add_co_ci_u32_e64 v3, null, s13, v3, vcc_lo
	global_store_dword v[2:3], v68, off
	s_or_b32 exec_lo, exec_lo, s0
	s_and_b32 exec_lo, exec_lo, s2
	s_cbranch_execnz .LBB124_64
	s_branch .LBB124_65
	.section	.rodata,"a",@progbits
	.p2align	6, 0x0
	.amdhsa_kernel _ZL12mul_mat_q5_1IfLb1EEvPKvS1_PT_iiiii
		.amdhsa_group_segment_fixed_size 46720
		.amdhsa_private_segment_fixed_size 0
		.amdhsa_kernarg_size 44
		.amdhsa_user_sgpr_count 6
		.amdhsa_user_sgpr_private_segment_buffer 1
		.amdhsa_user_sgpr_dispatch_ptr 0
		.amdhsa_user_sgpr_queue_ptr 0
		.amdhsa_user_sgpr_kernarg_segment_ptr 1
		.amdhsa_user_sgpr_dispatch_id 0
		.amdhsa_user_sgpr_flat_scratch_init 0
		.amdhsa_user_sgpr_private_segment_size 0
		.amdhsa_wavefront_size32 1
		.amdhsa_uses_dynamic_stack 0
		.amdhsa_system_sgpr_private_segment_wavefront_offset 0
		.amdhsa_system_sgpr_workgroup_id_x 1
		.amdhsa_system_sgpr_workgroup_id_y 1
		.amdhsa_system_sgpr_workgroup_id_z 0
		.amdhsa_system_sgpr_workgroup_info 0
		.amdhsa_system_vgpr_workitem_id 1
		.amdhsa_next_free_vgpr 222
		.amdhsa_next_free_sgpr 15
		.amdhsa_reserve_vcc 1
		.amdhsa_reserve_flat_scratch 0
		.amdhsa_float_round_mode_32 0
		.amdhsa_float_round_mode_16_64 0
		.amdhsa_float_denorm_mode_32 3
		.amdhsa_float_denorm_mode_16_64 3
		.amdhsa_dx10_clamp 1
		.amdhsa_ieee_mode 1
		.amdhsa_fp16_overflow 0
		.amdhsa_workgroup_processor_mode 1
		.amdhsa_memory_ordered 1
		.amdhsa_forward_progress 1
		.amdhsa_shared_vgpr_count 0
		.amdhsa_exception_fp_ieee_invalid_op 0
		.amdhsa_exception_fp_denorm_src 0
		.amdhsa_exception_fp_ieee_div_zero 0
		.amdhsa_exception_fp_ieee_overflow 0
		.amdhsa_exception_fp_ieee_underflow 0
		.amdhsa_exception_fp_ieee_inexact 0
		.amdhsa_exception_int_div_zero 0
	.end_amdhsa_kernel
	.section	.text._ZL12mul_mat_q5_1IfLb1EEvPKvS1_PT_iiiii,"axG",@progbits,_ZL12mul_mat_q5_1IfLb1EEvPKvS1_PT_iiiii,comdat
.Lfunc_end124:
	.size	_ZL12mul_mat_q5_1IfLb1EEvPKvS1_PT_iiiii, .Lfunc_end124-_ZL12mul_mat_q5_1IfLb1EEvPKvS1_PT_iiiii
                                        ; -- End function
	.set _ZL12mul_mat_q5_1IfLb1EEvPKvS1_PT_iiiii.num_vgpr, 222
	.set _ZL12mul_mat_q5_1IfLb1EEvPKvS1_PT_iiiii.num_agpr, 0
	.set _ZL12mul_mat_q5_1IfLb1EEvPKvS1_PT_iiiii.numbered_sgpr, 15
	.set _ZL12mul_mat_q5_1IfLb1EEvPKvS1_PT_iiiii.num_named_barrier, 0
	.set _ZL12mul_mat_q5_1IfLb1EEvPKvS1_PT_iiiii.private_seg_size, 0
	.set _ZL12mul_mat_q5_1IfLb1EEvPKvS1_PT_iiiii.uses_vcc, 1
	.set _ZL12mul_mat_q5_1IfLb1EEvPKvS1_PT_iiiii.uses_flat_scratch, 0
	.set _ZL12mul_mat_q5_1IfLb1EEvPKvS1_PT_iiiii.has_dyn_sized_stack, 0
	.set _ZL12mul_mat_q5_1IfLb1EEvPKvS1_PT_iiiii.has_recursion, 0
	.set _ZL12mul_mat_q5_1IfLb1EEvPKvS1_PT_iiiii.has_indirect_call, 0
	.section	.AMDGPU.csdata,"",@progbits
; Kernel info:
; codeLenInByte = 13112
; TotalNumSgprs: 17
; NumVgprs: 222
; ScratchSize: 0
; MemoryBound: 0
; FloatMode: 240
; IeeeMode: 1
; LDSByteSize: 46720 bytes/workgroup (compile time only)
; SGPRBlocks: 0
; VGPRBlocks: 27
; NumSGPRsForWavesPerEU: 17
; NumVGPRsForWavesPerEU: 222
; Occupancy: 4
; WaveLimiterHint : 0
; COMPUTE_PGM_RSRC2:SCRATCH_EN: 0
; COMPUTE_PGM_RSRC2:USER_SGPR: 6
; COMPUTE_PGM_RSRC2:TRAP_HANDLER: 0
; COMPUTE_PGM_RSRC2:TGID_X_EN: 1
; COMPUTE_PGM_RSRC2:TGID_Y_EN: 1
; COMPUTE_PGM_RSRC2:TGID_Z_EN: 0
; COMPUTE_PGM_RSRC2:TIDIG_COMP_CNT: 1
	.section	.text._ZL12mul_mat_q8_0IfLb0EEvPKvS1_PT_iiiii,"axG",@progbits,_ZL12mul_mat_q8_0IfLb0EEvPKvS1_PT_iiiii,comdat
	.globl	_ZL12mul_mat_q8_0IfLb0EEvPKvS1_PT_iiiii ; -- Begin function _ZL12mul_mat_q8_0IfLb0EEvPKvS1_PT_iiiii
	.p2align	8
	.type	_ZL12mul_mat_q8_0IfLb0EEvPKvS1_PT_iiiii,@function
_ZL12mul_mat_q8_0IfLb0EEvPKvS1_PT_iiiii: ; @_ZL12mul_mat_q8_0IfLb0EEvPKvS1_PT_iiiii
; %bb.0:
	s_clause 0x1
	s_load_dword s14, s[4:5], 0x18
	s_load_dwordx4 s[8:11], s[4:5], 0x20
	s_lshl_b32 s7, s7, 6
	v_add_nc_u32_e32 v54, s7, v1
	s_waitcnt lgkmcnt(0)
	s_cmp_gt_i32 s14, 31
	s_cbranch_scc1 .LBB125_2
; %bb.1:
	v_add_nc_u32_e32 v2, s7, v1
	s_mov_b32 s0, 0
	s_branch .LBB125_3
.LBB125_2:
	s_mov_b32 s0, -1
                                        ; implicit-def: $vgpr2
.LBB125_3:
	s_load_dwordx2 s[12:13], s[4:5], 0x10
	v_mov_b32_e32 v40, 0
	v_mov_b32_e32 v44, 0
	;; [unrolled: 1-line block ×32, first 2 shown]
	s_andn2_b32 vcc_lo, exec_lo, s0
	s_lshl_b32 s6, s6, 7
	s_cbranch_vccnz .LBB125_9
; %bb.4:
	s_load_dwordx4 s[0:3], s[4:5], 0x0
	s_ashr_i32 s4, s14, 31
	s_ashr_i32 s5, s9, 31
	s_lshr_b32 s4, s4, 27
	s_lshr_b32 s5, s5, 27
	s_add_i32 s14, s14, s4
	s_add_i32 s5, s9, s5
	s_ashr_i32 s4, s14, 5
	s_ashr_i32 s11, s5, 5
	s_mul_i32 s9, s4, s6
	v_add_nc_u32_e32 v5, 8, v54
	s_mul_i32 s5, s9, 34
	s_mul_hi_i32 s9, s9, 34
	v_mul_lo_u32 v67, s4, v1
	v_lshlrev_b32_e32 v19, 2, v0
	v_cvt_f64_u32_e32 v[5:6], v5
	v_add_nc_u32_e32 v9, 16, v54
	v_add_nc_u32_e32 v11, 24, v54
	;; [unrolled: 1-line block ×4, first 2 shown]
	s_waitcnt lgkmcnt(0)
	s_add_u32 s5, s0, s5
	s_addc_u32 s9, s1, s9
	s_add_i32 s1, s8, -1
	v_add_nc_u32_e32 v17, 48, v54
	v_cvt_f64_i32_e32 v[7:8], s1
	v_add_nc_u32_e32 v20, 56, v54
	s_lshl_b32 s0, s4, 3
	v_cvt_f64_u32_e32 v[3:4], v54
	v_add_nc_u32_e32 v69, s0, v67
	v_cvt_f64_u32_e32 v[9:10], v9
	v_cvt_f64_u32_e32 v[11:12], v11
	;; [unrolled: 1-line block ×5, first 2 shown]
	v_and_b32_e32 v80, 28, v19
	v_mad_u32_u24 v81, 0x84, v1, v19
	v_cvt_f64_u32_e32 v[19:20], v20
	v_add_nc_u32_e32 v71, s0, v69
	v_lshlrev_b32_e32 v21, 3, v1
	v_lshrrev_b32_e32 v22, 2, v0
	v_and_b32_e32 v2, 3, v0
	v_lshrrev_b32_e32 v62, 3, v0
	v_add_nc_u32_e32 v74, s0, v71
	v_and_b32_e32 v23, 31, v0
	v_add_nc_u32_e32 v24, v22, v21
	v_add_nc_u16 v21, v22, v21
	v_min_f64 v[5:6], v[5:6], v[7:8]
	v_add_nc_u32_e32 v75, s0, v74
	v_lshlrev_b32_e32 v22, 2, v2
	v_min_f64 v[3:4], v[3:4], v[7:8]
	v_lshrrev_b16 v21, 1, v21
	v_min_f64 v[9:10], v[9:10], v[7:8]
	v_add_nc_u32_e32 v79, s0, v75
	v_min_f64 v[11:12], v[11:12], v[7:8]
	v_min_f64 v[13:14], v[13:14], v[7:8]
	;; [unrolled: 1-line block ×4, first 2 shown]
	v_add_nc_u32_e32 v82, s0, v79
	v_min_f64 v[7:8], v[19:20], v[7:8]
	v_mul_lo_u32 v88, s4, v24
	v_add_nc_u32_e32 v25, 64, v24
	v_lshlrev_b32_e32 v26, 4, v24
	v_add_nc_u32_e32 v84, s0, v82
	v_and_b32_e32 v24, 63, v24
	v_and_b32_e32 v19, 0x7fc, v21
	v_lshrrev_b32_e32 v20, 1, v25
	v_lshl_or_b32 v23, v23, 2, 0x4200
	v_add_nc_u32_e32 v86, s0, v84
	v_cvt_i32_f64_e32 v5, v[5:6]
	v_or_b32_e32 v21, s7, v24
	v_lshlrev_b32_e32 v25, 4, v25
	v_cvt_i32_f64_e32 v27, v[3:4]
	v_add_nc_u32_e32 v87, s0, v86
	v_cvt_i32_f64_e32 v6, v[9:10]
	v_and_b32_e32 v3, 0xffc, v20
	v_cvt_i32_f64_e32 v10, v[11:12]
	v_cvt_i32_f64_e32 v11, v[13:14]
	v_add_nc_u32_e32 v89, s0, v87
	v_cvt_i32_f64_e32 v12, v[15:16]
	v_cvt_i32_f64_e32 v13, v[17:18]
	;; [unrolled: 1-line block ×3, first 2 shown]
	v_min_i32_e32 v4, s1, v21
	v_add_nc_u32_e32 v90, s0, v89
	v_add3_u32 v15, v3, v22, 0x6200
	v_add_nc_u32_e32 v16, 32, v0
	v_lshl_or_b32 v9, v24, 4, v22
	v_mad_u64_u32 v[3:4], null, v4, s11, v[2:3]
	v_add_nc_u32_e32 v91, s0, v90
	v_add_nc_u32_e32 v4, 0x60, v0
	v_mul_lo_u32 v98, s11, v5
	v_add_nc_u32_e32 v5, 64, v0
	v_lshlrev_b32_e32 v8, 7, v1
	v_add_nc_u32_e32 v92, s0, v91
	v_lshrrev_b32_e32 v4, 1, v4
	v_lshrrev_b32_e32 v16, 1, v16
	;; [unrolled: 1-line block ×3, first 2 shown]
	v_add3_u32 v14, v19, v22, 0x6200
	v_add_nc_u32_e32 v94, s0, v92
	v_add_nc_u32_e32 v96, 0x6a40, v9
	v_add_nc_u32_e32 v9, 0x400, v8
	v_mul_lo_u32 v99, s11, v6
	v_add_nc_u32_e32 v6, 0x800, v8
	v_mul_lo_u32 v100, s11, v10
	v_add_nc_u32_e32 v10, 0xc00, v8
	;; [unrolled: 2-line block ×6, first 2 shown]
	v_lshlrev_b32_e32 v17, 4, v0
	v_and_b32_e32 v18, 0xfc, v4
	v_and_b32_e32 v19, 0xfc, v5
	;; [unrolled: 1-line block ×3, first 2 shown]
	v_lshlrev_b32_e32 v20, 2, v62
	v_mul_lo_u32 v97, s11, v27
	v_add_nc_u32_e32 v95, s0, v94
	v_add_co_u32 v4, s0, s2, v80
	v_mov_b32_e32 v56, 0
	v_add_nc_u32_e32 v83, 0x39c0, v81
	v_add_nc_u32_e32 v85, 0x3de0, v81
	v_lshl_add_u32 v93, s4, 6, v88
	v_mul_u32_u24_e32 v105, 0x84, v0
	v_add_co_ci_u32_e64 v5, null, s3, 0, s0
	v_add3_u32 v106, v17, v18, 0x6800
	v_add3_u32 v107, v17, v19, 0x6600
	v_add3_u32 v108, v17, v16, 0x6400
	v_add3_u32 v109, v17, v20, 0x6200
	v_lshl_add_u32 v110, v1, 4, 0x6a40
	v_add_nc_u32_e32 v111, 0x4200, v8
	v_add_nc_u32_e32 v112, v14, v26
	;; [unrolled: 1-line block ×11, first 2 shown]
	v_mov_b32_e32 v73, 0
	v_mov_b32_e32 v66, 0
	;; [unrolled: 1-line block ×31, first 2 shown]
	s_mov_b32 s11, 0
.LBB125_5:                              ; =>This Loop Header: Depth=1
                                        ;     Child Loop BB125_6 Depth 2
	s_mul_i32 s0, s11, 34
	s_mul_hi_u32 s1, s11, 34
	s_add_u32 s0, s5, s0
	s_addc_u32 s1, s9, s1
	v_mov_b32_e32 v122, v111
	v_mad_u64_u32 v[6:7], null, v62, 34, s[0:1]
	v_mov_b32_e32 v123, v110
	v_mov_b32_e32 v124, v109
	;; [unrolled: 1-line block ×6, first 2 shown]
	v_mad_u64_u32 v[8:9], null, v67, 34, v[6:7]
	v_add_co_u32 v8, vcc_lo, v8, v80
	v_add_co_ci_u32_e64 v9, null, 0, v9, vcc_lo
	global_load_dword v8, v[8:9], off offset:2
	s_waitcnt vmcnt(0)
	ds_write_b32 v81, v8
	v_mad_u64_u32 v[8:9], null, v69, 34, v[6:7]
	v_add_co_u32 v8, vcc_lo, v8, v80
	v_add_co_ci_u32_e64 v9, null, 0, v9, vcc_lo
	global_load_dword v8, v[8:9], off offset:2
	v_add_nc_u32_e32 v9, 0x420, v81
	s_waitcnt vmcnt(0)
	ds_write_b32 v9, v8
	v_mad_u64_u32 v[8:9], null, v71, 34, v[6:7]
	v_add_co_u32 v8, vcc_lo, v8, v80
	v_add_co_ci_u32_e64 v9, null, 0, v9, vcc_lo
	global_load_dword v8, v[8:9], off offset:2
	v_add_nc_u32_e32 v9, 0x840, v81
	;; [unrolled: 7-line block ×13, first 2 shown]
	s_waitcnt vmcnt(0)
	ds_write_b32 v9, v8
	v_mad_u64_u32 v[8:9], null, v94, 34, v[6:7]
	v_mad_u64_u32 v[6:7], null, v95, 34, v[6:7]
	v_add_co_u32 v8, vcc_lo, v8, v80
	v_add_co_ci_u32_e64 v9, null, 0, v9, vcc_lo
	v_add_co_u32 v6, vcc_lo, v6, v80
	v_add_co_ci_u32_e64 v7, null, 0, v7, vcc_lo
	s_clause 0x1
	global_load_dword v8, v[8:9], off offset:2
	global_load_dword v6, v[6:7], off offset:2
	s_waitcnt vmcnt(1)
	ds_write_b32 v83, v8
	s_waitcnt vmcnt(0)
	ds_write_b32 v85, v6
	v_mad_u64_u32 v[6:7], null, v2, 34, s[0:1]
	s_mov_b32 s0, -8
	v_mad_u64_u32 v[8:9], null, v88, 34, v[6:7]
	v_mad_u64_u32 v[6:7], null, v93, 34, v[6:7]
	s_clause 0x1
	global_load_ushort v8, v[8:9], off
	global_load_ushort v6, v[6:7], off
	s_waitcnt vmcnt(1)
	v_cvt_f32_f16_e32 v8, v8
	s_waitcnt vmcnt(0)
	v_cvt_f32_f16_e32 v6, v6
	ds_write_b32 v112, v8
	v_add_nc_u32_e32 v8, s11, v62
	ds_write_b32 v113, v6
	v_add_nc_u32_e32 v6, s11, v3
	v_mad_u64_u32 v[6:7], null, v6, 36, s[2:3]
	global_load_dword v9, v[6:7], off
	v_add_nc_u32_e32 v6, v8, v97
	v_mad_i64_i32 v[6:7], null, v6, 36, v[4:5]
	global_load_dword v6, v[6:7], off offset:4
	s_waitcnt vmcnt(0)
	ds_write_b32 v114, v6
	v_add_nc_u32_e32 v6, v8, v98
	v_mad_i64_i32 v[6:7], null, v6, 36, v[4:5]
	global_load_dword v6, v[6:7], off offset:4
	s_waitcnt vmcnt(0)
	ds_write_b32 v115, v6
	;; [unrolled: 5-line block ×8, first 2 shown]
	v_cvt_f32_f16_e32 v6, v9
	ds_write_b32 v96, v6
	s_waitcnt lgkmcnt(0)
	s_barrier
	buffer_gl0_inv
.LBB125_6:                              ;   Parent Loop BB125_5 Depth=1
                                        ; =>  This Inner Loop Header: Depth=2
	ds_read2_b32 v[38:39], v123 offset1:32
	ds_read_b128 v[34:37], v122
	ds_read_b128 v[133:136], v122 offset:16
	ds_read_b32 v131, v124
	ds_read2_b32 v[8:9], v128 offset1:1
	ds_read2_b32 v[12:13], v128 offset0:2 offset1:3
	ds_read2_b32 v[16:17], v128 offset0:4 offset1:5
	;; [unrolled: 1-line block ×3, first 2 shown]
	v_mov_b32_e32 v6, 0
	v_add_nc_u32_e32 v11, 0x1088, v128
	v_mov_b32_e32 v10, 0
	v_add_nc_u32_e32 v20, 0x2108, v128
	;; [unrolled: 2-line block ×3, first 2 shown]
	v_add_nc_u32_e32 v29, 0x2118, v128
	v_add_nc_u32_e32 v30, 0x3188, v128
	v_mov_b32_e32 v137, 0
	v_add_nc_u32_e32 v124, 4, v124
	s_add_i32 s0, s0, 8
	s_cmp_lt_u32 s0, 24
	s_waitcnt lgkmcnt(4)
	v_mul_f32_e32 v7, v38, v131
	s_waitcnt lgkmcnt(3)
	v_dot4c_i32_i8 v6, v8, v34
	v_mul_f32_e32 v141, v131, v39
	v_dot4c_i32_i8 v6, v9, v35
	s_waitcnt lgkmcnt(2)
	v_dot4c_i32_i8 v6, v12, v36
	v_dot4c_i32_i8 v6, v13, v37
	s_waitcnt lgkmcnt(1)
	v_dot4c_i32_i8 v6, v16, v133
	;; [unrolled: 3-line block ×3, first 2 shown]
	v_dot4c_i32_i8 v6, v23, v136
	v_cvt_f32_i32_e32 v6, v6
	v_fmac_f32_e32 v56, v7, v6
	v_add_nc_u32_e32 v6, 0x1080, v128
	ds_read_b32 v130, v125
	ds_read2_b32 v[6:7], v6 offset1:1
	ds_read2_b32 v[14:15], v11 offset1:1
	v_add_nc_u32_e32 v11, 0x1090, v128
	v_add_nc_u32_e32 v125, 4, v125
	ds_read2_b32 v[18:19], v11 offset1:1
	v_add_nc_u32_e32 v11, 0x1098, v128
	ds_read2_b32 v[24:25], v11 offset1:1
	s_waitcnt lgkmcnt(4)
	v_mul_f32_e32 v11, v38, v130
	s_waitcnt lgkmcnt(3)
	v_dot4c_i32_i8 v10, v6, v34
	v_dot4c_i32_i8 v10, v7, v35
	s_waitcnt lgkmcnt(2)
	v_dot4c_i32_i8 v10, v14, v36
	v_dot4c_i32_i8 v10, v15, v37
	;; [unrolled: 3-line block ×4, first 2 shown]
	v_cvt_f32_i32_e32 v10, v10
	v_fmac_f32_e32 v78, v11, v10
	v_add_nc_u32_e32 v10, 0x2100, v128
	ds_read_b32 v132, v126
	ds_read2_b32 v[10:11], v10 offset1:1
	ds_read2_b32 v[20:21], v20 offset1:1
	;; [unrolled: 1-line block ×4, first 2 shown]
	v_add_nc_u32_e32 v126, 4, v126
	s_waitcnt lgkmcnt(4)
	v_mul_f32_e32 v29, v38, v132
	s_waitcnt lgkmcnt(3)
	v_dot4c_i32_i8 v28, v10, v34
	v_dot4c_i32_i8 v28, v11, v35
	s_waitcnt lgkmcnt(2)
	v_dot4c_i32_i8 v28, v20, v36
	v_dot4c_i32_i8 v28, v21, v37
	;; [unrolled: 3-line block ×4, first 2 shown]
	v_cvt_f32_i32_e32 v28, v28
	v_fmac_f32_e32 v77, v29, v28
	v_add_nc_u32_e32 v28, 0x3180, v128
	ds_read_b32 v129, v127
	ds_read2_b32 v[28:29], v28 offset1:1
	ds_read2_b32 v[30:31], v30 offset1:1
	v_add_nc_u32_e32 v127, 4, v127
	s_waitcnt lgkmcnt(2)
	v_mul_f32_e32 v38, v38, v129
	s_waitcnt lgkmcnt(1)
	v_dot4c_i32_i8 v137, v28, v34
	v_add_nc_u32_e32 v34, 0x3190, v128
	v_dot4c_i32_i8 v137, v29, v35
	ds_read2_b32 v[34:35], v34 offset1:1
	s_waitcnt lgkmcnt(1)
	v_dot4c_i32_i8 v137, v30, v36
	v_add_nc_u32_e32 v36, 0x3198, v128
	v_add_nc_u32_e32 v128, 32, v128
	v_dot4c_i32_i8 v137, v31, v37
	ds_read2_b32 v[36:37], v36 offset1:1
	s_waitcnt lgkmcnt(1)
	v_dot4c_i32_i8 v137, v34, v133
	v_dot4c_i32_i8 v137, v35, v134
	s_waitcnt lgkmcnt(0)
	v_dot4c_i32_i8 v137, v36, v135
	v_dot4c_i32_i8 v137, v37, v136
	v_cvt_f32_i32_e32 v133, v137
	v_fmac_f32_e32 v76, v38, v133
	ds_read_b128 v[133:136], v122 offset:1024
	ds_read_b128 v[137:140], v122 offset:1040
	v_mov_b32_e32 v38, 0
	s_waitcnt lgkmcnt(1)
	v_dot4c_i32_i8 v38, v8, v133
	v_dot4c_i32_i8 v38, v9, v134
	;; [unrolled: 1-line block ×4, first 2 shown]
	s_waitcnt lgkmcnt(0)
	v_dot4c_i32_i8 v38, v16, v137
	v_dot4c_i32_i8 v38, v17, v138
	;; [unrolled: 1-line block ×4, first 2 shown]
	v_cvt_f32_i32_e32 v38, v38
	v_fmac_f32_e32 v73, v141, v38
	v_mov_b32_e32 v38, 0
	v_mul_f32_e32 v141, v130, v39
	v_dot4c_i32_i8 v38, v6, v133
	v_dot4c_i32_i8 v38, v7, v134
	v_dot4c_i32_i8 v38, v14, v135
	v_dot4c_i32_i8 v38, v15, v136
	v_dot4c_i32_i8 v38, v18, v137
	v_dot4c_i32_i8 v38, v19, v138
	v_dot4c_i32_i8 v38, v24, v139
	v_dot4c_i32_i8 v38, v25, v140
	v_cvt_f32_i32_e32 v38, v38
	v_fmac_f32_e32 v72, v141, v38
	v_mov_b32_e32 v38, 0
	v_mul_f32_e32 v141, v132, v39
	v_mul_f32_e32 v39, v129, v39
	v_dot4c_i32_i8 v38, v10, v133
	v_dot4c_i32_i8 v38, v11, v134
	;; [unrolled: 1-line block ×8, first 2 shown]
	v_cvt_f32_i32_e32 v38, v38
	v_fmac_f32_e32 v70, v141, v38
	v_mov_b32_e32 v38, 0
	v_mov_b32_e32 v141, 0
	v_dot4c_i32_i8 v38, v28, v133
	v_dot4c_i32_i8 v38, v29, v134
	;; [unrolled: 1-line block ×8, first 2 shown]
	v_cvt_f32_i32_e32 v38, v38
	v_fmac_f32_e32 v68, v39, v38
	ds_read2_b32 v[38:39], v123 offset0:64 offset1:96
	ds_read_b128 v[133:136], v122 offset:2048
	ds_read_b128 v[137:140], v122 offset:2064
	s_waitcnt lgkmcnt(2)
	v_mul_f32_e32 v142, v131, v38
	s_waitcnt lgkmcnt(1)
	v_dot4c_i32_i8 v141, v8, v133
	v_dot4c_i32_i8 v141, v9, v134
	;; [unrolled: 1-line block ×4, first 2 shown]
	s_waitcnt lgkmcnt(0)
	v_dot4c_i32_i8 v141, v16, v137
	v_dot4c_i32_i8 v141, v17, v138
	;; [unrolled: 1-line block ×4, first 2 shown]
	v_cvt_f32_i32_e32 v141, v141
	v_fmac_f32_e32 v66, v142, v141
	v_mov_b32_e32 v141, 0
	v_mul_f32_e32 v142, v130, v38
	v_dot4c_i32_i8 v141, v6, v133
	v_dot4c_i32_i8 v141, v7, v134
	;; [unrolled: 1-line block ×8, first 2 shown]
	v_cvt_f32_i32_e32 v141, v141
	v_fmac_f32_e32 v65, v142, v141
	v_mov_b32_e32 v141, 0
	v_mul_f32_e32 v142, v132, v38
	v_mul_f32_e32 v38, v129, v38
	v_dot4c_i32_i8 v141, v10, v133
	v_dot4c_i32_i8 v141, v11, v134
	;; [unrolled: 1-line block ×8, first 2 shown]
	v_cvt_f32_i32_e32 v141, v141
	v_fmac_f32_e32 v64, v142, v141
	v_mov_b32_e32 v141, 0
	v_dot4c_i32_i8 v141, v28, v133
	v_dot4c_i32_i8 v141, v29, v134
	v_dot4c_i32_i8 v141, v30, v135
	v_dot4c_i32_i8 v141, v31, v136
	v_dot4c_i32_i8 v141, v34, v137
	v_dot4c_i32_i8 v141, v35, v138
	v_dot4c_i32_i8 v141, v36, v139
	v_dot4c_i32_i8 v141, v37, v140
	v_cvt_f32_i32_e32 v133, v141
	v_mul_f32_e32 v141, v131, v39
	v_fmac_f32_e32 v63, v38, v133
	ds_read_b128 v[133:136], v122 offset:3072
	ds_read_b128 v[137:140], v122 offset:3088
	v_mov_b32_e32 v38, 0
	s_waitcnt lgkmcnt(1)
	v_dot4c_i32_i8 v38, v8, v133
	v_dot4c_i32_i8 v38, v9, v134
	;; [unrolled: 1-line block ×4, first 2 shown]
	s_waitcnt lgkmcnt(0)
	v_dot4c_i32_i8 v38, v16, v137
	v_dot4c_i32_i8 v38, v17, v138
	;; [unrolled: 1-line block ×4, first 2 shown]
	v_cvt_f32_i32_e32 v38, v38
	v_fmac_f32_e32 v61, v141, v38
	v_mov_b32_e32 v38, 0
	v_mul_f32_e32 v141, v130, v39
	v_dot4c_i32_i8 v38, v6, v133
	v_dot4c_i32_i8 v38, v7, v134
	;; [unrolled: 1-line block ×8, first 2 shown]
	v_cvt_f32_i32_e32 v38, v38
	v_fmac_f32_e32 v60, v141, v38
	v_mov_b32_e32 v38, 0
	v_mul_f32_e32 v141, v132, v39
	v_mul_f32_e32 v39, v129, v39
	v_dot4c_i32_i8 v38, v10, v133
	v_dot4c_i32_i8 v38, v11, v134
	;; [unrolled: 1-line block ×8, first 2 shown]
	v_cvt_f32_i32_e32 v38, v38
	v_fmac_f32_e32 v59, v141, v38
	v_mov_b32_e32 v38, 0
	v_mov_b32_e32 v141, 0
	v_dot4c_i32_i8 v38, v28, v133
	v_dot4c_i32_i8 v38, v29, v134
	;; [unrolled: 1-line block ×8, first 2 shown]
	v_cvt_f32_i32_e32 v38, v38
	v_fmac_f32_e32 v58, v39, v38
	ds_read2_b32 v[38:39], v123 offset0:128 offset1:160
	ds_read_b128 v[133:136], v122 offset:4096
	ds_read_b128 v[137:140], v122 offset:4112
	s_waitcnt lgkmcnt(2)
	v_mul_f32_e32 v142, v131, v38
	s_waitcnt lgkmcnt(1)
	v_dot4c_i32_i8 v141, v8, v133
	v_dot4c_i32_i8 v141, v9, v134
	;; [unrolled: 1-line block ×4, first 2 shown]
	s_waitcnt lgkmcnt(0)
	v_dot4c_i32_i8 v141, v16, v137
	v_dot4c_i32_i8 v141, v17, v138
	;; [unrolled: 1-line block ×4, first 2 shown]
	v_cvt_f32_i32_e32 v141, v141
	v_fmac_f32_e32 v57, v142, v141
	v_mov_b32_e32 v141, 0
	v_mul_f32_e32 v142, v130, v38
	v_dot4c_i32_i8 v141, v6, v133
	v_dot4c_i32_i8 v141, v7, v134
	;; [unrolled: 1-line block ×8, first 2 shown]
	v_cvt_f32_i32_e32 v141, v141
	v_fmac_f32_e32 v55, v142, v141
	v_mov_b32_e32 v141, 0
	v_mul_f32_e32 v142, v132, v38
	v_mul_f32_e32 v38, v129, v38
	v_dot4c_i32_i8 v141, v10, v133
	v_dot4c_i32_i8 v141, v11, v134
	;; [unrolled: 1-line block ×8, first 2 shown]
	v_cvt_f32_i32_e32 v141, v141
	v_fmac_f32_e32 v53, v142, v141
	v_mov_b32_e32 v141, 0
	v_dot4c_i32_i8 v141, v28, v133
	v_dot4c_i32_i8 v141, v29, v134
	;; [unrolled: 1-line block ×8, first 2 shown]
	v_cvt_f32_i32_e32 v133, v141
	v_mul_f32_e32 v141, v131, v39
	v_fmac_f32_e32 v52, v38, v133
	ds_read_b128 v[133:136], v122 offset:5120
	ds_read_b128 v[137:140], v122 offset:5136
	v_mov_b32_e32 v38, 0
	s_waitcnt lgkmcnt(1)
	v_dot4c_i32_i8 v38, v8, v133
	v_dot4c_i32_i8 v38, v9, v134
	v_dot4c_i32_i8 v38, v12, v135
	v_dot4c_i32_i8 v38, v13, v136
	s_waitcnt lgkmcnt(0)
	v_dot4c_i32_i8 v38, v16, v137
	v_dot4c_i32_i8 v38, v17, v138
	;; [unrolled: 1-line block ×4, first 2 shown]
	v_cvt_f32_i32_e32 v38, v38
	v_fmac_f32_e32 v51, v141, v38
	v_mov_b32_e32 v38, 0
	v_mul_f32_e32 v141, v130, v39
	v_dot4c_i32_i8 v38, v6, v133
	v_dot4c_i32_i8 v38, v7, v134
	;; [unrolled: 1-line block ×8, first 2 shown]
	v_cvt_f32_i32_e32 v38, v38
	v_fmac_f32_e32 v50, v141, v38
	v_mov_b32_e32 v38, 0
	v_mul_f32_e32 v141, v132, v39
	v_mul_f32_e32 v39, v129, v39
	v_dot4c_i32_i8 v38, v10, v133
	v_dot4c_i32_i8 v38, v11, v134
	;; [unrolled: 1-line block ×8, first 2 shown]
	v_cvt_f32_i32_e32 v38, v38
	v_fmac_f32_e32 v49, v141, v38
	v_mov_b32_e32 v38, 0
	v_mov_b32_e32 v141, 0
	v_dot4c_i32_i8 v38, v28, v133
	v_dot4c_i32_i8 v38, v29, v134
	;; [unrolled: 1-line block ×8, first 2 shown]
	v_cvt_f32_i32_e32 v38, v38
	v_fmac_f32_e32 v48, v39, v38
	ds_read2_b32 v[38:39], v123 offset0:192 offset1:224
	ds_read_b128 v[133:136], v122 offset:6144
	ds_read_b128 v[137:140], v122 offset:6160
	v_add_nc_u32_e32 v123, 4, v123
	s_waitcnt lgkmcnt(2)
	v_mul_f32_e32 v142, v131, v38
	s_waitcnt lgkmcnt(1)
	v_dot4c_i32_i8 v141, v8, v133
	v_dot4c_i32_i8 v141, v9, v134
	;; [unrolled: 1-line block ×4, first 2 shown]
	s_waitcnt lgkmcnt(0)
	v_dot4c_i32_i8 v141, v16, v137
	v_dot4c_i32_i8 v141, v17, v138
	;; [unrolled: 1-line block ×4, first 2 shown]
	v_cvt_f32_i32_e32 v141, v141
	v_fmac_f32_e32 v47, v142, v141
	v_mov_b32_e32 v141, 0
	v_mul_f32_e32 v142, v130, v38
	v_dot4c_i32_i8 v141, v6, v133
	v_dot4c_i32_i8 v141, v7, v134
	;; [unrolled: 1-line block ×8, first 2 shown]
	v_cvt_f32_i32_e32 v141, v141
	v_fmac_f32_e32 v46, v142, v141
	v_mov_b32_e32 v141, 0
	v_mul_f32_e32 v142, v132, v38
	v_mul_f32_e32 v38, v129, v38
	v_dot4c_i32_i8 v141, v10, v133
	v_dot4c_i32_i8 v141, v11, v134
	;; [unrolled: 1-line block ×8, first 2 shown]
	v_cvt_f32_i32_e32 v141, v141
	v_fmac_f32_e32 v45, v142, v141
	v_mov_b32_e32 v141, 0
	v_dot4c_i32_i8 v141, v28, v133
	v_dot4c_i32_i8 v141, v29, v134
	;; [unrolled: 1-line block ×8, first 2 shown]
	v_cvt_f32_i32_e32 v133, v141
	v_fmac_f32_e32 v44, v38, v133
	ds_read_b128 v[133:136], v122 offset:7168
	ds_read_b128 v[137:140], v122 offset:7184
	v_mov_b32_e32 v38, 0
	v_add_nc_u32_e32 v122, 32, v122
	s_waitcnt lgkmcnt(1)
	v_dot4c_i32_i8 v38, v8, v133
	v_mul_f32_e32 v8, v131, v39
	v_dot4c_i32_i8 v38, v9, v134
	v_dot4c_i32_i8 v38, v12, v135
	;; [unrolled: 1-line block ×3, first 2 shown]
	s_waitcnt lgkmcnt(0)
	v_dot4c_i32_i8 v38, v16, v137
	v_dot4c_i32_i8 v38, v17, v138
	v_dot4c_i32_i8 v38, v22, v139
	v_dot4c_i32_i8 v38, v23, v140
	v_cvt_f32_i32_e32 v9, v38
	v_fmac_f32_e32 v43, v8, v9
	v_mov_b32_e32 v8, 0
	v_dot4c_i32_i8 v8, v6, v133
	v_mul_f32_e32 v6, v130, v39
	v_dot4c_i32_i8 v8, v7, v134
	v_dot4c_i32_i8 v8, v14, v135
	;; [unrolled: 1-line block ×7, first 2 shown]
	v_cvt_f32_i32_e32 v7, v8
	v_fmac_f32_e32 v42, v6, v7
	v_mov_b32_e32 v6, 0
	v_mul_f32_e32 v7, v132, v39
	v_dot4c_i32_i8 v6, v10, v133
	v_dot4c_i32_i8 v6, v11, v134
	;; [unrolled: 1-line block ×8, first 2 shown]
	v_cvt_f32_i32_e32 v6, v6
	v_fmac_f32_e32 v41, v7, v6
	v_mov_b32_e32 v6, 0
	v_mul_f32_e32 v7, v129, v39
	v_dot4c_i32_i8 v6, v28, v133
	v_dot4c_i32_i8 v6, v29, v134
	v_dot4c_i32_i8 v6, v30, v135
	v_dot4c_i32_i8 v6, v31, v136
	v_dot4c_i32_i8 v6, v34, v137
	v_dot4c_i32_i8 v6, v35, v138
	v_dot4c_i32_i8 v6, v36, v139
	v_dot4c_i32_i8 v6, v37, v140
	v_cvt_f32_i32_e32 v6, v6
	v_fmac_f32_e32 v40, v7, v6
	s_cbranch_scc1 .LBB125_6
; %bb.7:                                ;   in Loop: Header=BB125_5 Depth=1
	s_add_i32 s11, s11, 4
	s_cmp_ge_i32 s11, s4
	s_barrier
	buffer_gl0_inv
	s_cbranch_scc0 .LBB125_5
; %bb.8:
	v_mov_b32_e32 v2, v54
.LBB125_9:
	s_mov_b32 s0, exec_lo
	v_cmpx_gt_u32_e64 s8, v2
	s_cbranch_execz .LBB125_60
; %bb.10:
	v_add_nc_u32_e32 v0, s6, v0
	v_mul_lo_u32 v5, v2, s10
	v_cmp_gt_u32_e32 vcc_lo, s10, v0
	s_and_saveexec_b32 s1, vcc_lo
	s_cbranch_execz .LBB125_12
; %bb.11:
	v_add_nc_u32_e32 v2, v0, v5
	v_mov_b32_e32 v3, 0
	v_lshlrev_b64 v[2:3], 2, v[2:3]
	s_waitcnt lgkmcnt(0)
	v_add_co_u32 v2, s0, s12, v2
	v_add_co_ci_u32_e64 v3, null, s13, v3, s0
	global_store_dword v[2:3], v56, off
.LBB125_12:
	s_or_b32 exec_lo, exec_lo, s1
	v_add_nc_u32_e32 v2, 32, v0
	v_cmp_gt_u32_e64 s0, s10, v2
	s_and_saveexec_b32 s2, s0
	s_cbranch_execz .LBB125_14
; %bb.13:
	v_add_nc_u32_e32 v3, v2, v5
	v_mov_b32_e32 v4, 0
	v_lshlrev_b64 v[3:4], 2, v[3:4]
	s_waitcnt lgkmcnt(0)
	v_add_co_u32 v3, s1, s12, v3
	v_add_co_ci_u32_e64 v4, null, s13, v4, s1
	global_store_dword v[3:4], v78, off
.LBB125_14:
	s_or_b32 exec_lo, exec_lo, s2
	v_add_nc_u32_e32 v3, 64, v0
	v_cmp_gt_u32_e64 s1, s10, v3
	s_and_saveexec_b32 s3, s1
	;; [unrolled: 14-line block ×3, first 2 shown]
	s_cbranch_execz .LBB125_18
; %bb.17:
	v_add_nc_u32_e32 v5, v4, v5
	v_mov_b32_e32 v6, 0
	v_lshlrev_b64 v[5:6], 2, v[5:6]
	s_waitcnt lgkmcnt(0)
	v_add_co_u32 v5, s3, s12, v5
	v_add_co_ci_u32_e64 v6, null, s13, v6, s3
	global_store_dword v[5:6], v76, off
.LBB125_18:
	s_or_b32 exec_lo, exec_lo, s4
	v_add3_u32 v5, v1, s7, 8
	v_cmp_gt_u32_e64 s3, s8, v5
	s_and_b32 exec_lo, exec_lo, s3
	s_cbranch_execz .LBB125_60
; %bb.19:
	v_mul_lo_u32 v5, v5, s10
	s_and_saveexec_b32 s4, vcc_lo
	s_cbranch_execnz .LBB125_61
; %bb.20:
	s_or_b32 exec_lo, exec_lo, s4
	s_and_saveexec_b32 s4, s0
	s_cbranch_execnz .LBB125_62
.LBB125_21:
	s_or_b32 exec_lo, exec_lo, s4
	s_and_saveexec_b32 s4, s1
	s_cbranch_execnz .LBB125_63
.LBB125_22:
	s_or_b32 exec_lo, exec_lo, s4
	s_and_saveexec_b32 s4, s2
	s_cbranch_execz .LBB125_24
.LBB125_23:
	v_add_nc_u32_e32 v5, v5, v4
	v_mov_b32_e32 v6, 0
	v_lshlrev_b64 v[5:6], 2, v[5:6]
	s_waitcnt lgkmcnt(0)
	v_add_co_u32 v5, s3, s12, v5
	v_add_co_ci_u32_e64 v6, null, s13, v6, s3
	global_store_dword v[5:6], v68, off
.LBB125_24:
	s_or_b32 exec_lo, exec_lo, s4
	v_add3_u32 v5, v1, s7, 16
	v_cmp_gt_u32_e64 s3, s8, v5
	s_and_b32 exec_lo, exec_lo, s3
	s_cbranch_execz .LBB125_60
; %bb.25:
	v_mul_lo_u32 v5, v5, s10
	s_and_saveexec_b32 s4, vcc_lo
	s_cbranch_execnz .LBB125_64
; %bb.26:
	s_or_b32 exec_lo, exec_lo, s4
	s_and_saveexec_b32 s4, s0
	s_cbranch_execnz .LBB125_65
.LBB125_27:
	s_or_b32 exec_lo, exec_lo, s4
	s_and_saveexec_b32 s4, s1
	s_cbranch_execnz .LBB125_66
.LBB125_28:
	s_or_b32 exec_lo, exec_lo, s4
	s_and_saveexec_b32 s4, s2
	s_cbranch_execz .LBB125_30
.LBB125_29:
	v_add_nc_u32_e32 v5, v5, v4
	v_mov_b32_e32 v6, 0
	v_lshlrev_b64 v[5:6], 2, v[5:6]
	s_waitcnt lgkmcnt(0)
	v_add_co_u32 v5, s3, s12, v5
	v_add_co_ci_u32_e64 v6, null, s13, v6, s3
	global_store_dword v[5:6], v63, off
.LBB125_30:
	s_or_b32 exec_lo, exec_lo, s4
	v_add3_u32 v5, v1, s7, 24
	v_cmp_gt_u32_e64 s3, s8, v5
	s_and_b32 exec_lo, exec_lo, s3
	s_cbranch_execz .LBB125_60
; %bb.31:
	v_mul_lo_u32 v5, v5, s10
	s_and_saveexec_b32 s4, vcc_lo
	s_cbranch_execnz .LBB125_67
; %bb.32:
	s_or_b32 exec_lo, exec_lo, s4
	s_and_saveexec_b32 s4, s0
	s_cbranch_execnz .LBB125_68
.LBB125_33:
	s_or_b32 exec_lo, exec_lo, s4
	s_and_saveexec_b32 s4, s1
	s_cbranch_execnz .LBB125_69
.LBB125_34:
	s_or_b32 exec_lo, exec_lo, s4
	s_and_saveexec_b32 s4, s2
	s_cbranch_execz .LBB125_36
.LBB125_35:
	v_add_nc_u32_e32 v5, v5, v4
	v_mov_b32_e32 v6, 0
	v_lshlrev_b64 v[5:6], 2, v[5:6]
	s_waitcnt lgkmcnt(0)
	v_add_co_u32 v5, s3, s12, v5
	v_add_co_ci_u32_e64 v6, null, s13, v6, s3
	global_store_dword v[5:6], v58, off
.LBB125_36:
	s_or_b32 exec_lo, exec_lo, s4
	v_add3_u32 v5, v1, s7, 32
	v_cmp_gt_u32_e64 s3, s8, v5
	s_and_b32 exec_lo, exec_lo, s3
	s_cbranch_execz .LBB125_60
; %bb.37:
	v_mul_lo_u32 v5, v5, s10
	s_and_saveexec_b32 s4, vcc_lo
	s_cbranch_execnz .LBB125_70
; %bb.38:
	s_or_b32 exec_lo, exec_lo, s4
	s_and_saveexec_b32 s4, s0
	s_cbranch_execnz .LBB125_71
.LBB125_39:
	s_or_b32 exec_lo, exec_lo, s4
	s_and_saveexec_b32 s4, s1
	s_cbranch_execnz .LBB125_72
.LBB125_40:
	s_or_b32 exec_lo, exec_lo, s4
	s_and_saveexec_b32 s4, s2
	s_cbranch_execz .LBB125_42
.LBB125_41:
	v_add_nc_u32_e32 v5, v5, v4
	v_mov_b32_e32 v6, 0
	v_lshlrev_b64 v[5:6], 2, v[5:6]
	s_waitcnt lgkmcnt(0)
	v_add_co_u32 v5, s3, s12, v5
	v_add_co_ci_u32_e64 v6, null, s13, v6, s3
	global_store_dword v[5:6], v52, off
.LBB125_42:
	s_or_b32 exec_lo, exec_lo, s4
	v_add3_u32 v5, v1, s7, 40
	v_cmp_gt_u32_e64 s3, s8, v5
	s_and_b32 exec_lo, exec_lo, s3
	s_cbranch_execz .LBB125_60
; %bb.43:
	v_mul_lo_u32 v5, v5, s10
	s_and_saveexec_b32 s4, vcc_lo
	s_cbranch_execnz .LBB125_73
; %bb.44:
	s_or_b32 exec_lo, exec_lo, s4
	s_and_saveexec_b32 s4, s0
	s_cbranch_execnz .LBB125_74
.LBB125_45:
	s_or_b32 exec_lo, exec_lo, s4
	s_and_saveexec_b32 s4, s1
	s_cbranch_execnz .LBB125_75
.LBB125_46:
	s_or_b32 exec_lo, exec_lo, s4
	s_and_saveexec_b32 s4, s2
	s_cbranch_execz .LBB125_48
.LBB125_47:
	v_add_nc_u32_e32 v5, v5, v4
	v_mov_b32_e32 v6, 0
	v_lshlrev_b64 v[5:6], 2, v[5:6]
	s_waitcnt lgkmcnt(0)
	v_add_co_u32 v5, s3, s12, v5
	v_add_co_ci_u32_e64 v6, null, s13, v6, s3
	global_store_dword v[5:6], v48, off
.LBB125_48:
	s_or_b32 exec_lo, exec_lo, s4
	v_add3_u32 v5, v1, s7, 48
	v_cmp_gt_u32_e64 s3, s8, v5
	s_and_b32 exec_lo, exec_lo, s3
	s_cbranch_execz .LBB125_60
; %bb.49:
	v_mul_lo_u32 v5, v5, s10
	s_and_saveexec_b32 s4, vcc_lo
	s_cbranch_execnz .LBB125_76
; %bb.50:
	s_or_b32 exec_lo, exec_lo, s4
	s_and_saveexec_b32 s4, s0
	s_cbranch_execnz .LBB125_77
.LBB125_51:
	s_or_b32 exec_lo, exec_lo, s4
	s_and_saveexec_b32 s4, s1
	s_cbranch_execnz .LBB125_78
.LBB125_52:
	s_or_b32 exec_lo, exec_lo, s4
	s_and_saveexec_b32 s4, s2
	s_cbranch_execz .LBB125_54
.LBB125_53:
	v_add_nc_u32_e32 v5, v5, v4
	v_mov_b32_e32 v6, 0
	v_lshlrev_b64 v[5:6], 2, v[5:6]
	s_waitcnt lgkmcnt(0)
	v_add_co_u32 v5, s3, s12, v5
	v_add_co_ci_u32_e64 v6, null, s13, v6, s3
	global_store_dword v[5:6], v44, off
.LBB125_54:
	s_or_b32 exec_lo, exec_lo, s4
	v_add3_u32 v1, v1, s7, 56
	v_cmp_gt_u32_e64 s3, s8, v1
	s_and_b32 exec_lo, exec_lo, s3
	s_cbranch_execz .LBB125_60
; %bb.55:
	v_mul_lo_u32 v1, v1, s10
	s_and_saveexec_b32 s3, vcc_lo
	s_cbranch_execnz .LBB125_79
; %bb.56:
	s_or_b32 exec_lo, exec_lo, s3
	s_and_saveexec_b32 s3, s0
	s_cbranch_execnz .LBB125_80
.LBB125_57:
	s_or_b32 exec_lo, exec_lo, s3
	s_and_saveexec_b32 s0, s1
	s_cbranch_execnz .LBB125_81
.LBB125_58:
	s_or_b32 exec_lo, exec_lo, s0
	s_and_b32 exec_lo, exec_lo, s2
	s_cbranch_execz .LBB125_60
.LBB125_59:
	v_add_nc_u32_e32 v0, v1, v4
	v_mov_b32_e32 v1, 0
	v_lshlrev_b64 v[0:1], 2, v[0:1]
	s_waitcnt lgkmcnt(0)
	v_add_co_u32 v0, vcc_lo, s12, v0
	v_add_co_ci_u32_e64 v1, null, s13, v1, vcc_lo
	global_store_dword v[0:1], v40, off
.LBB125_60:
	s_endpgm
.LBB125_61:
	v_add_nc_u32_e32 v6, v5, v0
	v_mov_b32_e32 v7, 0
	v_lshlrev_b64 v[6:7], 2, v[6:7]
	s_waitcnt lgkmcnt(0)
	v_add_co_u32 v6, s3, s12, v6
	v_add_co_ci_u32_e64 v7, null, s13, v7, s3
	global_store_dword v[6:7], v73, off
	s_or_b32 exec_lo, exec_lo, s4
	s_and_saveexec_b32 s4, s0
	s_cbranch_execz .LBB125_21
.LBB125_62:
	v_add_nc_u32_e32 v6, v5, v2
	v_mov_b32_e32 v7, 0
	v_lshlrev_b64 v[6:7], 2, v[6:7]
	s_waitcnt lgkmcnt(0)
	v_add_co_u32 v6, s3, s12, v6
	v_add_co_ci_u32_e64 v7, null, s13, v7, s3
	global_store_dword v[6:7], v72, off
	s_or_b32 exec_lo, exec_lo, s4
	s_and_saveexec_b32 s4, s1
	s_cbranch_execz .LBB125_22
.LBB125_63:
	v_add_nc_u32_e32 v6, v5, v3
	v_mov_b32_e32 v7, 0
	v_lshlrev_b64 v[6:7], 2, v[6:7]
	s_waitcnt lgkmcnt(0)
	v_add_co_u32 v6, s3, s12, v6
	v_add_co_ci_u32_e64 v7, null, s13, v7, s3
	global_store_dword v[6:7], v70, off
	s_or_b32 exec_lo, exec_lo, s4
	s_and_saveexec_b32 s4, s2
	s_cbranch_execnz .LBB125_23
	s_branch .LBB125_24
.LBB125_64:
	v_add_nc_u32_e32 v6, v5, v0
	v_mov_b32_e32 v7, 0
	v_lshlrev_b64 v[6:7], 2, v[6:7]
	s_waitcnt lgkmcnt(0)
	v_add_co_u32 v6, s3, s12, v6
	v_add_co_ci_u32_e64 v7, null, s13, v7, s3
	global_store_dword v[6:7], v66, off
	s_or_b32 exec_lo, exec_lo, s4
	s_and_saveexec_b32 s4, s0
	s_cbranch_execz .LBB125_27
.LBB125_65:
	v_add_nc_u32_e32 v6, v5, v2
	v_mov_b32_e32 v7, 0
	v_lshlrev_b64 v[6:7], 2, v[6:7]
	s_waitcnt lgkmcnt(0)
	v_add_co_u32 v6, s3, s12, v6
	v_add_co_ci_u32_e64 v7, null, s13, v7, s3
	global_store_dword v[6:7], v65, off
	s_or_b32 exec_lo, exec_lo, s4
	s_and_saveexec_b32 s4, s1
	s_cbranch_execz .LBB125_28
.LBB125_66:
	v_add_nc_u32_e32 v6, v5, v3
	v_mov_b32_e32 v7, 0
	v_lshlrev_b64 v[6:7], 2, v[6:7]
	s_waitcnt lgkmcnt(0)
	v_add_co_u32 v6, s3, s12, v6
	v_add_co_ci_u32_e64 v7, null, s13, v7, s3
	global_store_dword v[6:7], v64, off
	s_or_b32 exec_lo, exec_lo, s4
	s_and_saveexec_b32 s4, s2
	s_cbranch_execnz .LBB125_29
	s_branch .LBB125_30
.LBB125_67:
	v_add_nc_u32_e32 v6, v5, v0
	v_mov_b32_e32 v7, 0
	v_lshlrev_b64 v[6:7], 2, v[6:7]
	s_waitcnt lgkmcnt(0)
	v_add_co_u32 v6, s3, s12, v6
	v_add_co_ci_u32_e64 v7, null, s13, v7, s3
	global_store_dword v[6:7], v61, off
	s_or_b32 exec_lo, exec_lo, s4
	s_and_saveexec_b32 s4, s0
	s_cbranch_execz .LBB125_33
.LBB125_68:
	v_add_nc_u32_e32 v6, v5, v2
	v_mov_b32_e32 v7, 0
	v_lshlrev_b64 v[6:7], 2, v[6:7]
	s_waitcnt lgkmcnt(0)
	v_add_co_u32 v6, s3, s12, v6
	v_add_co_ci_u32_e64 v7, null, s13, v7, s3
	global_store_dword v[6:7], v60, off
	s_or_b32 exec_lo, exec_lo, s4
	s_and_saveexec_b32 s4, s1
	s_cbranch_execz .LBB125_34
.LBB125_69:
	v_add_nc_u32_e32 v6, v5, v3
	v_mov_b32_e32 v7, 0
	v_lshlrev_b64 v[6:7], 2, v[6:7]
	s_waitcnt lgkmcnt(0)
	v_add_co_u32 v6, s3, s12, v6
	v_add_co_ci_u32_e64 v7, null, s13, v7, s3
	global_store_dword v[6:7], v59, off
	s_or_b32 exec_lo, exec_lo, s4
	s_and_saveexec_b32 s4, s2
	s_cbranch_execnz .LBB125_35
	s_branch .LBB125_36
.LBB125_70:
	v_add_nc_u32_e32 v6, v5, v0
	v_mov_b32_e32 v7, 0
	v_lshlrev_b64 v[6:7], 2, v[6:7]
	s_waitcnt lgkmcnt(0)
	v_add_co_u32 v6, s3, s12, v6
	v_add_co_ci_u32_e64 v7, null, s13, v7, s3
	global_store_dword v[6:7], v57, off
	s_or_b32 exec_lo, exec_lo, s4
	s_and_saveexec_b32 s4, s0
	s_cbranch_execz .LBB125_39
.LBB125_71:
	v_add_nc_u32_e32 v6, v5, v2
	v_mov_b32_e32 v7, 0
	v_lshlrev_b64 v[6:7], 2, v[6:7]
	s_waitcnt lgkmcnt(0)
	v_add_co_u32 v6, s3, s12, v6
	v_add_co_ci_u32_e64 v7, null, s13, v7, s3
	global_store_dword v[6:7], v55, off
	s_or_b32 exec_lo, exec_lo, s4
	s_and_saveexec_b32 s4, s1
	s_cbranch_execz .LBB125_40
.LBB125_72:
	v_add_nc_u32_e32 v6, v5, v3
	v_mov_b32_e32 v7, 0
	v_lshlrev_b64 v[6:7], 2, v[6:7]
	s_waitcnt lgkmcnt(0)
	v_add_co_u32 v6, s3, s12, v6
	v_add_co_ci_u32_e64 v7, null, s13, v7, s3
	global_store_dword v[6:7], v53, off
	s_or_b32 exec_lo, exec_lo, s4
	s_and_saveexec_b32 s4, s2
	s_cbranch_execnz .LBB125_41
	s_branch .LBB125_42
.LBB125_73:
	v_add_nc_u32_e32 v6, v5, v0
	v_mov_b32_e32 v7, 0
	v_lshlrev_b64 v[6:7], 2, v[6:7]
	s_waitcnt lgkmcnt(0)
	v_add_co_u32 v6, s3, s12, v6
	v_add_co_ci_u32_e64 v7, null, s13, v7, s3
	global_store_dword v[6:7], v51, off
	s_or_b32 exec_lo, exec_lo, s4
	s_and_saveexec_b32 s4, s0
	s_cbranch_execz .LBB125_45
.LBB125_74:
	v_add_nc_u32_e32 v6, v5, v2
	v_mov_b32_e32 v7, 0
	v_lshlrev_b64 v[6:7], 2, v[6:7]
	s_waitcnt lgkmcnt(0)
	v_add_co_u32 v6, s3, s12, v6
	v_add_co_ci_u32_e64 v7, null, s13, v7, s3
	global_store_dword v[6:7], v50, off
	s_or_b32 exec_lo, exec_lo, s4
	s_and_saveexec_b32 s4, s1
	s_cbranch_execz .LBB125_46
.LBB125_75:
	v_add_nc_u32_e32 v6, v5, v3
	v_mov_b32_e32 v7, 0
	v_lshlrev_b64 v[6:7], 2, v[6:7]
	s_waitcnt lgkmcnt(0)
	v_add_co_u32 v6, s3, s12, v6
	v_add_co_ci_u32_e64 v7, null, s13, v7, s3
	global_store_dword v[6:7], v49, off
	s_or_b32 exec_lo, exec_lo, s4
	s_and_saveexec_b32 s4, s2
	s_cbranch_execnz .LBB125_47
	s_branch .LBB125_48
.LBB125_76:
	v_add_nc_u32_e32 v6, v5, v0
	v_mov_b32_e32 v7, 0
	v_lshlrev_b64 v[6:7], 2, v[6:7]
	s_waitcnt lgkmcnt(0)
	v_add_co_u32 v6, s3, s12, v6
	v_add_co_ci_u32_e64 v7, null, s13, v7, s3
	global_store_dword v[6:7], v47, off
	s_or_b32 exec_lo, exec_lo, s4
	s_and_saveexec_b32 s4, s0
	s_cbranch_execz .LBB125_51
.LBB125_77:
	v_add_nc_u32_e32 v6, v5, v2
	v_mov_b32_e32 v7, 0
	v_lshlrev_b64 v[6:7], 2, v[6:7]
	s_waitcnt lgkmcnt(0)
	v_add_co_u32 v6, s3, s12, v6
	v_add_co_ci_u32_e64 v7, null, s13, v7, s3
	global_store_dword v[6:7], v46, off
	s_or_b32 exec_lo, exec_lo, s4
	s_and_saveexec_b32 s4, s1
	s_cbranch_execz .LBB125_52
.LBB125_78:
	v_add_nc_u32_e32 v6, v5, v3
	v_mov_b32_e32 v7, 0
	v_lshlrev_b64 v[6:7], 2, v[6:7]
	s_waitcnt lgkmcnt(0)
	v_add_co_u32 v6, s3, s12, v6
	v_add_co_ci_u32_e64 v7, null, s13, v7, s3
	global_store_dword v[6:7], v45, off
	s_or_b32 exec_lo, exec_lo, s4
	s_and_saveexec_b32 s4, s2
	s_cbranch_execnz .LBB125_53
	s_branch .LBB125_54
.LBB125_79:
	v_add_nc_u32_e32 v5, v1, v0
	v_mov_b32_e32 v6, 0
	v_lshlrev_b64 v[5:6], 2, v[5:6]
	s_waitcnt lgkmcnt(0)
	v_add_co_u32 v5, vcc_lo, s12, v5
	v_add_co_ci_u32_e64 v6, null, s13, v6, vcc_lo
	global_store_dword v[5:6], v43, off
	s_or_b32 exec_lo, exec_lo, s3
	s_and_saveexec_b32 s3, s0
	s_cbranch_execz .LBB125_57
.LBB125_80:
	v_add_nc_u32_e32 v5, v1, v2
	v_mov_b32_e32 v6, 0
	v_lshlrev_b64 v[5:6], 2, v[5:6]
	s_waitcnt lgkmcnt(0)
	v_add_co_u32 v5, vcc_lo, s12, v5
	v_add_co_ci_u32_e64 v6, null, s13, v6, vcc_lo
	global_store_dword v[5:6], v42, off
	s_or_b32 exec_lo, exec_lo, s3
	s_and_saveexec_b32 s0, s1
	s_cbranch_execz .LBB125_58
.LBB125_81:
	v_add_nc_u32_e32 v2, v1, v3
	v_mov_b32_e32 v3, 0
	v_lshlrev_b64 v[2:3], 2, v[2:3]
	s_waitcnt lgkmcnt(0)
	v_add_co_u32 v2, vcc_lo, s12, v2
	v_add_co_ci_u32_e64 v3, null, s13, v3, vcc_lo
	global_store_dword v[2:3], v41, off
	s_or_b32 exec_lo, exec_lo, s0
	s_and_b32 exec_lo, exec_lo, s2
	s_cbranch_execnz .LBB125_59
	s_branch .LBB125_60
	.section	.rodata,"a",@progbits
	.p2align	6, 0x0
	.amdhsa_kernel _ZL12mul_mat_q8_0IfLb0EEvPKvS1_PT_iiiii
		.amdhsa_group_segment_fixed_size 28224
		.amdhsa_private_segment_fixed_size 0
		.amdhsa_kernarg_size 44
		.amdhsa_user_sgpr_count 6
		.amdhsa_user_sgpr_private_segment_buffer 1
		.amdhsa_user_sgpr_dispatch_ptr 0
		.amdhsa_user_sgpr_queue_ptr 0
		.amdhsa_user_sgpr_kernarg_segment_ptr 1
		.amdhsa_user_sgpr_dispatch_id 0
		.amdhsa_user_sgpr_flat_scratch_init 0
		.amdhsa_user_sgpr_private_segment_size 0
		.amdhsa_wavefront_size32 1
		.amdhsa_uses_dynamic_stack 0
		.amdhsa_system_sgpr_private_segment_wavefront_offset 0
		.amdhsa_system_sgpr_workgroup_id_x 1
		.amdhsa_system_sgpr_workgroup_id_y 1
		.amdhsa_system_sgpr_workgroup_id_z 0
		.amdhsa_system_sgpr_workgroup_info 0
		.amdhsa_system_vgpr_workitem_id 1
		.amdhsa_next_free_vgpr 143
		.amdhsa_next_free_sgpr 15
		.amdhsa_reserve_vcc 1
		.amdhsa_reserve_flat_scratch 0
		.amdhsa_float_round_mode_32 0
		.amdhsa_float_round_mode_16_64 0
		.amdhsa_float_denorm_mode_32 3
		.amdhsa_float_denorm_mode_16_64 3
		.amdhsa_dx10_clamp 1
		.amdhsa_ieee_mode 1
		.amdhsa_fp16_overflow 0
		.amdhsa_workgroup_processor_mode 1
		.amdhsa_memory_ordered 1
		.amdhsa_forward_progress 1
		.amdhsa_shared_vgpr_count 0
		.amdhsa_exception_fp_ieee_invalid_op 0
		.amdhsa_exception_fp_denorm_src 0
		.amdhsa_exception_fp_ieee_div_zero 0
		.amdhsa_exception_fp_ieee_overflow 0
		.amdhsa_exception_fp_ieee_underflow 0
		.amdhsa_exception_fp_ieee_inexact 0
		.amdhsa_exception_int_div_zero 0
	.end_amdhsa_kernel
	.section	.text._ZL12mul_mat_q8_0IfLb0EEvPKvS1_PT_iiiii,"axG",@progbits,_ZL12mul_mat_q8_0IfLb0EEvPKvS1_PT_iiiii,comdat
.Lfunc_end125:
	.size	_ZL12mul_mat_q8_0IfLb0EEvPKvS1_PT_iiiii, .Lfunc_end125-_ZL12mul_mat_q8_0IfLb0EEvPKvS1_PT_iiiii
                                        ; -- End function
	.set _ZL12mul_mat_q8_0IfLb0EEvPKvS1_PT_iiiii.num_vgpr, 143
	.set _ZL12mul_mat_q8_0IfLb0EEvPKvS1_PT_iiiii.num_agpr, 0
	.set _ZL12mul_mat_q8_0IfLb0EEvPKvS1_PT_iiiii.numbered_sgpr, 15
	.set _ZL12mul_mat_q8_0IfLb0EEvPKvS1_PT_iiiii.num_named_barrier, 0
	.set _ZL12mul_mat_q8_0IfLb0EEvPKvS1_PT_iiiii.private_seg_size, 0
	.set _ZL12mul_mat_q8_0IfLb0EEvPKvS1_PT_iiiii.uses_vcc, 1
	.set _ZL12mul_mat_q8_0IfLb0EEvPKvS1_PT_iiiii.uses_flat_scratch, 0
	.set _ZL12mul_mat_q8_0IfLb0EEvPKvS1_PT_iiiii.has_dyn_sized_stack, 0
	.set _ZL12mul_mat_q8_0IfLb0EEvPKvS1_PT_iiiii.has_recursion, 0
	.set _ZL12mul_mat_q8_0IfLb0EEvPKvS1_PT_iiiii.has_indirect_call, 0
	.section	.AMDGPU.csdata,"",@progbits
; Kernel info:
; codeLenInByte = 6940
; TotalNumSgprs: 17
; NumVgprs: 143
; ScratchSize: 0
; MemoryBound: 0
; FloatMode: 240
; IeeeMode: 1
; LDSByteSize: 28224 bytes/workgroup (compile time only)
; SGPRBlocks: 0
; VGPRBlocks: 17
; NumSGPRsForWavesPerEU: 17
; NumVGPRsForWavesPerEU: 143
; Occupancy: 7
; WaveLimiterHint : 0
; COMPUTE_PGM_RSRC2:SCRATCH_EN: 0
; COMPUTE_PGM_RSRC2:USER_SGPR: 6
; COMPUTE_PGM_RSRC2:TRAP_HANDLER: 0
; COMPUTE_PGM_RSRC2:TGID_X_EN: 1
; COMPUTE_PGM_RSRC2:TGID_Y_EN: 1
; COMPUTE_PGM_RSRC2:TGID_Z_EN: 0
; COMPUTE_PGM_RSRC2:TIDIG_COMP_CNT: 1
	.section	.text._ZL12mul_mat_q8_0IfLb1EEvPKvS1_PT_iiiii,"axG",@progbits,_ZL12mul_mat_q8_0IfLb1EEvPKvS1_PT_iiiii,comdat
	.globl	_ZL12mul_mat_q8_0IfLb1EEvPKvS1_PT_iiiii ; -- Begin function _ZL12mul_mat_q8_0IfLb1EEvPKvS1_PT_iiiii
	.p2align	8
	.type	_ZL12mul_mat_q8_0IfLb1EEvPKvS1_PT_iiiii,@function
_ZL12mul_mat_q8_0IfLb1EEvPKvS1_PT_iiiii: ; @_ZL12mul_mat_q8_0IfLb1EEvPKvS1_PT_iiiii
; %bb.0:
	s_clause 0x1
	s_load_dwordx4 s[8:11], s[4:5], 0x18
	s_load_dword s14, s[4:5], 0x28
	s_lshl_b32 s7, s7, 6
	v_add_nc_u32_e32 v70, s7, v1
	s_waitcnt lgkmcnt(0)
	s_cmp_gt_i32 s8, 31
	s_cbranch_scc1 .LBB126_2
; %bb.1:
	v_add_nc_u32_e32 v2, s7, v1
	s_mov_b32 s0, 0
	s_branch .LBB126_3
.LBB126_2:
	s_mov_b32 s0, -1
                                        ; implicit-def: $vgpr2
.LBB126_3:
	s_load_dwordx2 s[12:13], s[4:5], 0x10
	v_mov_b32_e32 v56, 0
	v_mov_b32_e32 v60, 0
	;; [unrolled: 1-line block ×32, first 2 shown]
	s_andn2_b32 vcc_lo, exec_lo, s0
	s_lshl_b32 s6, s6, 7
	s_cbranch_vccnz .LBB126_9
; %bb.4:
	s_load_dwordx4 s[0:3], s[4:5], 0x0
	s_ashr_i32 s4, s8, 31
	s_ashr_i32 s5, s11, 31
	s_lshr_b32 s4, s4, 27
	s_lshr_b32 s5, s5, 27
	s_add_i32 s4, s8, s4
	s_add_i32 s5, s11, s5
	s_ashr_i32 s4, s4, 5
	s_ashr_i32 s11, s5, 5
	s_mul_i32 s8, s4, s6
	v_add_nc_u32_e32 v37, 8, v1
	s_mul_i32 s5, s8, 34
	s_mul_hi_i32 s8, s8, 34
	v_add_nc_u32_e32 v38, 16, v1
	v_add_nc_u32_e32 v39, 24, v1
	;; [unrolled: 1-line block ×3, first 2 shown]
	v_lshlrev_b32_e32 v18, 2, v0
	v_add_nc_u32_e32 v41, 40, v1
	v_add_nc_u32_e32 v42, 48, v1
	;; [unrolled: 1-line block ×3, first 2 shown]
	s_waitcnt lgkmcnt(0)
	s_add_u32 s5, s0, s5
	s_addc_u32 s8, s1, s8
	s_not_b32 s0, s6
	v_add_nc_u32_e32 v10, 64, v1
	s_add_i32 s0, s9, s0
	v_add_nc_u32_e32 v12, 0x48, v1
	v_min_i32_e32 v2, s0, v1
	v_min_i32_e32 v4, s0, v37
	;; [unrolled: 1-line block ×5, first 2 shown]
	v_mul_lo_u32 v82, v2, s4
	v_mad_u64_u32 v[2:3], null, 0x84, v2, v[18:19]
	v_min_i32_e32 v8, s0, v41
	v_mul_lo_u32 v83, v4, s4
	v_mad_u64_u32 v[3:4], null, 0x84, v4, v[18:19]
	v_min_i32_e32 v9, s0, v42
	;; [unrolled: 3-line block ×4, first 2 shown]
	v_mul_lo_u32 v88, v7, s4
	v_mad_u64_u32 v[6:7], null, 0x84, v7, v[18:19]
	v_mul_lo_u32 v89, v8, s4
	v_mad_u64_u32 v[7:8], null, 0x84, v8, v[18:19]
	;; [unrolled: 2-line block ×3, first 2 shown]
	v_mad_u64_u32 v[9:10], null, 0x84, v11, v[18:19]
	v_add_nc_u32_e32 v14, 0x50, v1
	v_mul_lo_u32 v91, v11, s4
	v_mul_lo_u32 v93, v13, s4
	v_mad_u64_u32 v[10:11], null, 0x84, v13, v[18:19]
	v_add_nc_u32_e32 v13, 0x58, v1
	v_add_nc_u32_e32 v15, 0x60, v1
	v_min_i32_e32 v12, s0, v12
	v_min_i32_e32 v14, s0, v14
	v_add_nc_u32_e32 v17, 0x68, v1
	v_min_i32_e32 v16, s0, v13
	v_min_i32_e32 v15, s0, v15
	v_mul_lo_u32 v94, v12, s4
	v_mad_u64_u32 v[11:12], null, 0x84, v12, v[18:19]
	v_mad_u64_u32 v[12:13], null, 0x84, v14, v[18:19]
	v_mul_lo_u32 v96, v14, s4
	v_mad_u64_u32 v[13:14], null, 0x84, v16, v[18:19]
	v_mul_lo_u32 v97, v16, s4
	v_mul_lo_u32 v98, v15, s4
	v_lshrrev_b32_e32 v16, 2, v0
	v_min_i32_e32 v17, s0, v17
	v_mad_u64_u32 v[14:15], null, 0x84, v15, v[18:19]
	v_add_nc_u32_e32 v19, 0x70, v1
	s_add_i32 s1, s10, -1
	v_lshl_add_u32 v44, v1, 3, v16
	v_mul_lo_u32 v100, v17, s4
	v_cvt_f64_u32_e32 v[21:22], v70
	v_mad_u64_u32 v[15:16], null, 0x84, v17, v[18:19]
	v_min_i32_e32 v16, s0, v19
	v_add_nc_u32_e32 v17, 8, v70
	v_cvt_f64_i32_e32 v[19:20], s1
	v_add_nc_u32_e32 v25, 16, v70
	v_add_nc_u32_e32 v27, 24, v70
	;; [unrolled: 1-line block ×3, first 2 shown]
	v_cvt_f64_u32_e32 v[23:24], v17
	v_add_nc_u32_e32 v17, 32, v70
	v_add_nc_u32_e32 v33, 48, v70
	;; [unrolled: 1-line block ×3, first 2 shown]
	v_cvt_f64_u32_e32 v[25:26], v25
	v_cvt_f64_u32_e32 v[27:28], v27
	;; [unrolled: 1-line block ×6, first 2 shown]
	v_add_nc_u32_e32 v47, 64, v44
	v_min_i32_e32 v45, s0, v44
	v_add_nc_u32_e32 v46, 0x78, v1
	v_and_b32_e32 v81, 28, v18
	v_mul_lo_u32 v105, v16, s4
	v_min_i32_e32 v47, s0, v47
	v_ashrrev_i32_e32 v17, 31, v45
	v_min_i32_e32 v46, s0, v46
	v_min_f64 v[21:22], v[21:22], v[19:20]
	v_lshrrev_b32_e32 v78, 3, v0
	v_ashrrev_i32_e32 v49, 31, v47
	v_lshrrev_b32_e32 v48, 29, v17
	v_min_f64 v[23:24], v[23:24], v[19:20]
	v_mad_u64_u32 v[16:17], null, 0x84, v16, v[18:19]
	v_lshrrev_b32_e32 v49, 29, v49
	v_min_f64 v[25:26], v[25:26], v[19:20]
	v_min_f64 v[27:28], v[27:28], v[19:20]
	;; [unrolled: 1-line block ×6, first 2 shown]
	v_add_nc_u32_e32 v49, v47, v49
	v_mad_u64_u32 v[18:19], null, 0x84, v46, v[18:19]
	v_and_b32_e32 v17, 3, v0
	v_and_b32_e32 v20, 63, v44
	v_ashrrev_i32_e32 v19, 3, v49
	v_add_nc_u32_e32 v48, v45, v48
	v_mul_lo_u32 v106, v46, s4
	v_cvt_i32_f64_e32 v21, v[21:22]
	v_lshlrev_b32_e32 v50, 2, v17
	v_lshlrev_b32_e32 v19, 2, v19
	v_ashrrev_i32_e32 v48, 3, v48
	v_cvt_i32_f64_e32 v23, v[23:24]
	v_lshlrev_b32_e32 v22, 4, v45
	v_mul_lo_u32 v107, v45, s4
	v_mul_lo_u32 v108, v47, s4
	v_cvt_i32_f64_e32 v24, v[25:26]
	v_cvt_i32_f64_e32 v25, v[27:28]
	;; [unrolled: 1-line block ×6, first 2 shown]
	v_or_b32_e32 v27, s7, v20
	v_add3_u32 v29, v19, v50, 0x6200
	v_and_b32_e32 v19, 31, v0
	v_lshl_or_b32 v32, v20, 4, v50
	v_lshlrev_b32_e32 v48, 2, v48
	v_min_i32_e32 v27, s1, v27
	v_lshlrev_b32_e32 v31, 4, v47
	v_lshl_or_b32 v34, v19, 2, 0x4200
	v_add_nc_u32_e32 v109, 0x6a40, v32
	v_mul_lo_u32 v110, s11, v21
	v_mad_u64_u32 v[19:20], null, v27, s11, v[17:18]
	v_add_nc_u32_e32 v20, 0x60, v0
	v_add_nc_u32_e32 v21, 64, v0
	;; [unrolled: 1-line block ×3, first 2 shown]
	v_add3_u32 v46, v48, v50, 0x6200
	v_lshlrev_b32_e32 v27, 7, v1
	v_lshrrev_b32_e32 v20, 1, v20
	v_lshrrev_b32_e32 v21, 1, v21
	;; [unrolled: 1-line block ×3, first 2 shown]
	v_mul_lo_u32 v111, s11, v23
	v_lshlrev_b32_e32 v23, 7, v37
	v_mul_lo_u32 v112, s11, v24
	v_lshlrev_b32_e32 v24, 7, v38
	;; [unrolled: 2-line block ×7, first 2 shown]
	v_lshlrev_b32_e32 v35, 4, v0
	v_and_b32_e32 v36, 0xfc, v20
	v_and_b32_e32 v37, 0xfc, v21
	;; [unrolled: 1-line block ×3, first 2 shown]
	v_lshlrev_b32_e32 v38, 2, v78
	v_add_co_u32 v20, s0, s2, v81
	v_mov_b32_e32 v72, 0
	v_mul_u32_u24_e32 v118, 0x84, v0
	v_add_co_ci_u32_e64 v21, null, s3, 0, s0
	v_add3_u32 v119, v35, v36, 0x6800
	v_add3_u32 v120, v35, v37, 0x6600
	;; [unrolled: 1-line block ×4, first 2 shown]
	v_lshl_add_u32 v123, v1, 4, 0x6a40
	v_add_nc_u32_e32 v124, 0x4200, v27
	v_add_nc_u32_e32 v125, v46, v22
	;; [unrolled: 1-line block ×11, first 2 shown]
	v_mov_b32_e32 v101, 0
	v_mov_b32_e32 v87, 0
	v_mov_b32_e32 v77, 0
	v_mov_b32_e32 v73, 0
	v_mov_b32_e32 v67, 0
	v_mov_b32_e32 v63, 0
	v_mov_b32_e32 v59, 0
	v_mov_b32_e32 v104, 0
	v_mov_b32_e32 v99, 0
	v_mov_b32_e32 v84, 0
	v_mov_b32_e32 v76, 0
	v_mov_b32_e32 v71, 0
	v_mov_b32_e32 v66, 0
	v_mov_b32_e32 v62, 0
	v_mov_b32_e32 v58, 0
	v_mov_b32_e32 v103, 0
	v_mov_b32_e32 v95, 0
	v_mov_b32_e32 v80, 0
	v_mov_b32_e32 v75, 0
	v_mov_b32_e32 v69, 0
	v_mov_b32_e32 v65, 0
	v_mov_b32_e32 v61, 0
	v_mov_b32_e32 v57, 0
	v_mov_b32_e32 v102, 0
	v_mov_b32_e32 v92, 0
	v_mov_b32_e32 v79, 0
	v_mov_b32_e32 v74, 0
	v_mov_b32_e32 v68, 0
	v_mov_b32_e32 v64, 0
	v_mov_b32_e32 v60, 0
	v_mov_b32_e32 v56, 0
	s_mov_b32 s9, 0
.LBB126_5:                              ; =>This Loop Header: Depth=1
                                        ;     Child Loop BB126_6 Depth 2
	s_mul_i32 s0, s9, 34
	s_mul_hi_u32 s1, s9, 34
	s_add_u32 s0, s5, s0
	s_addc_u32 s1, s8, s1
	v_add_nc_u32_e32 v54, s9, v78
	v_mad_u64_u32 v[22:23], null, v78, 34, s[0:1]
	v_add_nc_u32_e32 v42, s9, v19
	v_mov_b32_e32 v139, v120
	v_add_nc_u32_e32 v44, v54, v110
	v_add_nc_u32_e32 v46, v54, v111
	;; [unrolled: 1-line block ×4, first 2 shown]
	v_mad_i64_i32 v[24:25], null, v82, 34, v[22:23]
	v_mad_i64_i32 v[26:27], null, v83, 34, v[22:23]
	v_mad_i64_i32 v[28:29], null, v85, 34, v[22:23]
	v_mad_i64_i32 v[30:31], null, v86, 34, v[22:23]
	v_add_co_u32 v24, vcc_lo, v24, v81
	v_mad_i64_i32 v[32:33], null, v88, 34, v[22:23]
	v_add_co_ci_u32_e64 v25, null, 0, v25, vcc_lo
	v_add_co_u32 v26, vcc_lo, v26, v81
	v_mad_i64_i32 v[34:35], null, v89, 34, v[22:23]
	v_add_co_ci_u32_e64 v27, null, 0, v27, vcc_lo
	;; [unrolled: 3-line block ×4, first 2 shown]
	v_add_co_u32 v32, vcc_lo, v32, v81
	v_add_co_ci_u32_e64 v33, null, 0, v33, vcc_lo
	v_add_co_u32 v34, vcc_lo, v34, v81
	v_add_co_ci_u32_e64 v35, null, 0, v35, vcc_lo
	;; [unrolled: 2-line block ×3, first 2 shown]
	v_add_co_u32 v38, vcc_lo, v38, v81
	v_mad_i64_i32 v[40:41], null, v93, 34, v[22:23]
	v_add_co_ci_u32_e64 v39, null, 0, v39, vcc_lo
	s_clause 0x7
	global_load_dword v142, v[24:25], off offset:2
	global_load_dword v143, v[26:27], off offset:2
	;; [unrolled: 1-line block ×8, first 2 shown]
	v_mad_i64_i32 v[24:25], null, v94, 34, v[22:23]
	v_mad_i64_i32 v[28:29], null, v96, 34, v[22:23]
	v_mad_u64_u32 v[36:37], null, v17, 34, s[0:1]
	v_mad_i64_i32 v[30:31], null, v97, 34, v[22:23]
	v_add_co_u32 v26, vcc_lo, v40, v81
	v_mad_i64_i32 v[32:33], null, v98, 34, v[22:23]
	v_add_co_ci_u32_e64 v27, null, 0, v41, vcc_lo
	v_add_co_u32 v24, vcc_lo, v24, v81
	v_mad_i64_i32 v[34:35], null, v100, 34, v[22:23]
	v_add_co_ci_u32_e64 v25, null, 0, v25, vcc_lo
	v_add_co_u32 v28, vcc_lo, v28, v81
	v_mad_i64_i32 v[38:39], null, v105, 34, v[22:23]
	v_mad_i64_i32 v[40:41], null, v107, 34, v[36:37]
	v_mad_u64_u32 v[42:43], null, v42, 36, s[2:3]
	v_add_nc_u32_e32 v52, v54, v114
	v_mad_i64_i32 v[36:37], null, v108, 34, v[36:37]
	v_mad_i64_i32 v[44:45], null, v44, 36, v[20:21]
	v_add_nc_u32_e32 v55, v54, v115
	v_add_co_ci_u32_e64 v29, null, 0, v29, vcc_lo
	v_add_co_u32 v30, vcc_lo, v30, v81
	v_mad_i64_i32 v[46:47], null, v46, 36, v[20:21]
	v_add_nc_u32_e32 v135, v54, v116
	v_mad_i64_i32 v[22:23], null, v106, 34, v[22:23]
	v_mad_i64_i32 v[48:49], null, v48, 36, v[20:21]
	v_add_nc_u32_e32 v137, v54, v117
	v_add_co_ci_u32_e64 v31, null, 0, v31, vcc_lo
	v_add_co_u32 v32, vcc_lo, v32, v81
	v_mad_i64_i32 v[50:51], null, v50, 36, v[20:21]
	v_mad_i64_i32 v[52:53], null, v52, 36, v[20:21]
	v_add_co_ci_u32_e64 v33, null, 0, v33, vcc_lo
	v_add_co_u32 v34, vcc_lo, v34, v81
	v_mad_i64_i32 v[54:55], null, v55, 36, v[20:21]
	v_mad_i64_i32 v[135:136], null, v135, 36, v[20:21]
	v_add_co_ci_u32_e64 v35, null, 0, v35, vcc_lo
	v_mad_i64_i32 v[137:138], null, v137, 36, v[20:21]
	s_clause 0x8
	global_load_dword v42, v[42:43], off
	global_load_dword v43, v[44:45], off offset:4
	global_load_dword v44, v[46:47], off offset:4
	;; [unrolled: 1-line block ×8, first 2 shown]
	s_clause 0x1
	global_load_ushort v40, v[40:41], off
	global_load_ushort v41, v[36:37], off
	v_add_co_u32 v36, vcc_lo, v38, v81
	v_add_co_ci_u32_e64 v37, null, 0, v39, vcc_lo
	v_add_co_u32 v22, vcc_lo, v22, v81
	v_add_co_ci_u32_e64 v23, null, 0, v23, vcc_lo
	s_clause 0x7
	global_load_dword v26, v[26:27], off offset:2
	global_load_dword v24, v[24:25], off offset:2
	;; [unrolled: 1-line block ×8, first 2 shown]
	v_mov_b32_e32 v135, v124
	v_mov_b32_e32 v136, v123
	;; [unrolled: 1-line block ×6, first 2 shown]
	s_mov_b32 s0, -8
	s_waitcnt vmcnt(18)
	v_cvt_f32_f16_e32 v23, v42
	s_waitcnt vmcnt(17)
	ds_write_b32 v127, v43
	s_waitcnt vmcnt(16)
	ds_write_b32 v128, v44
	;; [unrolled: 2-line block ×8, first 2 shown]
	ds_write_b32 v109, v23
	s_waitcnt vmcnt(9)
	v_cvt_f32_f16_e32 v23, v40
	s_waitcnt vmcnt(8)
	v_cvt_f32_f16_e32 v31, v41
	ds_write_b32 v2, v142
	ds_write_b32 v3, v143
	ds_write_b32 v4, v144
	ds_write_b32 v5, v145
	ds_write_b32 v6, v146
	ds_write_b32 v7, v147
	ds_write_b32 v8, v148
	ds_write_b32 v9, v149
	s_waitcnt vmcnt(7)
	ds_write_b32 v10, v26
	s_waitcnt vmcnt(6)
	ds_write_b32 v11, v24
	;; [unrolled: 2-line block ×8, first 2 shown]
	ds_write_b32 v125, v23
	ds_write_b32 v126, v31
	s_waitcnt lgkmcnt(0)
	s_barrier
	buffer_gl0_inv
.LBB126_6:                              ;   Parent Loop BB126_5 Depth=1
                                        ; =>  This Inner Loop Header: Depth=2
	ds_read2_b32 v[153:154], v136 offset1:32
	ds_read_b128 v[48:51], v135
	ds_read_b128 v[52:55], v135 offset:16
	ds_read_b32 v143, v137
	ds_read2_b32 v[24:25], v141 offset1:1
	ds_read2_b32 v[30:31], v141 offset0:2 offset1:3
	ds_read2_b32 v[34:35], v141 offset0:4 offset1:5
	;; [unrolled: 1-line block ×3, first 2 shown]
	v_mov_b32_e32 v22, 0
	v_add_nc_u32_e32 v27, 0x1088, v141
	v_mov_b32_e32 v26, 0
	v_add_nc_u32_e32 v32, 0x2108, v141
	;; [unrolled: 2-line block ×3, first 2 shown]
	v_add_nc_u32_e32 v43, 0x2118, v141
	v_mov_b32_e32 v146, 0
	v_add_nc_u32_e32 v137, 4, v137
	s_add_i32 s0, s0, 8
	s_cmp_lt_u32 s0, 24
	s_waitcnt lgkmcnt(4)
	v_mul_f32_e32 v23, v153, v143
	s_waitcnt lgkmcnt(3)
	v_dot4c_i32_i8 v22, v24, v48
	v_dot4c_i32_i8 v22, v25, v49
	s_waitcnt lgkmcnt(2)
	v_dot4c_i32_i8 v22, v30, v50
	v_dot4c_i32_i8 v22, v31, v51
	;; [unrolled: 3-line block ×4, first 2 shown]
	v_cvt_f32_i32_e32 v22, v22
	v_fmac_f32_e32 v72, v23, v22
	v_add_nc_u32_e32 v22, 0x1080, v141
	ds_read_b32 v142, v138
	ds_read2_b32 v[22:23], v22 offset1:1
	ds_read2_b32 v[28:29], v27 offset1:1
	v_add_nc_u32_e32 v27, 0x1090, v141
	v_add_nc_u32_e32 v138, 4, v138
	ds_read2_b32 v[36:37], v27 offset1:1
	v_add_nc_u32_e32 v27, 0x1098, v141
	ds_read2_b32 v[44:45], v27 offset1:1
	s_waitcnt lgkmcnt(4)
	v_mul_f32_e32 v27, v153, v142
	s_waitcnt lgkmcnt(3)
	v_dot4c_i32_i8 v26, v22, v48
	v_dot4c_i32_i8 v26, v23, v49
	s_waitcnt lgkmcnt(2)
	v_dot4c_i32_i8 v26, v28, v50
	v_dot4c_i32_i8 v26, v29, v51
	;; [unrolled: 3-line block ×4, first 2 shown]
	v_cvt_f32_i32_e32 v26, v26
	v_fmac_f32_e32 v104, v27, v26
	v_add_nc_u32_e32 v26, 0x2100, v141
	ds_read_b32 v144, v139
	ds_read2_b32 v[26:27], v26 offset1:1
	ds_read2_b32 v[32:33], v32 offset1:1
	;; [unrolled: 1-line block ×4, first 2 shown]
	v_add_nc_u32_e32 v139, 4, v139
	s_waitcnt lgkmcnt(4)
	v_mul_f32_e32 v43, v153, v144
	s_waitcnt lgkmcnt(3)
	v_dot4c_i32_i8 v42, v26, v48
	v_dot4c_i32_i8 v42, v27, v49
	s_waitcnt lgkmcnt(2)
	v_dot4c_i32_i8 v42, v32, v50
	v_dot4c_i32_i8 v42, v33, v51
	;; [unrolled: 3-line block ×4, first 2 shown]
	v_cvt_f32_i32_e32 v42, v42
	v_fmac_f32_e32 v103, v43, v42
	v_add_nc_u32_e32 v42, 0x3180, v141
	ds_read_b32 v145, v140
	ds_read2_b32 v[42:43], v42 offset1:1
	v_add_nc_u32_e32 v140, 4, v140
	s_waitcnt lgkmcnt(0)
	v_dot4c_i32_i8 v146, v42, v48
	v_add_nc_u32_e32 v48, 0x3188, v141
	v_dot4c_i32_i8 v146, v43, v49
	ds_read2_b32 v[48:49], v48 offset1:1
	s_waitcnt lgkmcnt(0)
	v_dot4c_i32_i8 v146, v48, v50
	v_add_nc_u32_e32 v50, 0x3190, v141
	v_dot4c_i32_i8 v146, v49, v51
	ds_read2_b32 v[50:51], v50 offset1:1
	s_waitcnt lgkmcnt(0)
	v_dot4c_i32_i8 v146, v50, v52
	v_add_nc_u32_e32 v52, 0x3198, v141
	v_add_nc_u32_e32 v141, 32, v141
	v_dot4c_i32_i8 v146, v51, v53
	ds_read2_b32 v[52:53], v52 offset1:1
	s_waitcnt lgkmcnt(0)
	v_dot4c_i32_i8 v146, v52, v54
	v_mul_f32_e32 v54, v153, v145
	v_dot4c_i32_i8 v146, v53, v55
	v_cvt_f32_i32_e32 v55, v146
	ds_read_b128 v[146:149], v135 offset:1024
	ds_read_b128 v[150:153], v135 offset:1040
	v_fmac_f32_e32 v102, v54, v55
	v_mov_b32_e32 v54, 0
	v_mul_f32_e32 v55, v143, v154
	s_waitcnt lgkmcnt(1)
	v_dot4c_i32_i8 v54, v24, v146
	v_dot4c_i32_i8 v54, v25, v147
	;; [unrolled: 1-line block ×4, first 2 shown]
	s_waitcnt lgkmcnt(0)
	v_dot4c_i32_i8 v54, v34, v150
	v_dot4c_i32_i8 v54, v35, v151
	;; [unrolled: 1-line block ×4, first 2 shown]
	v_cvt_f32_i32_e32 v54, v54
	v_fmac_f32_e32 v101, v55, v54
	v_mov_b32_e32 v54, 0
	v_mul_f32_e32 v55, v142, v154
	v_dot4c_i32_i8 v54, v22, v146
	v_dot4c_i32_i8 v54, v23, v147
	v_dot4c_i32_i8 v54, v28, v148
	v_dot4c_i32_i8 v54, v29, v149
	v_dot4c_i32_i8 v54, v36, v150
	v_dot4c_i32_i8 v54, v37, v151
	v_dot4c_i32_i8 v54, v44, v152
	v_dot4c_i32_i8 v54, v45, v153
	v_cvt_f32_i32_e32 v54, v54
	v_fmac_f32_e32 v99, v55, v54
	v_mov_b32_e32 v54, 0
	v_mul_f32_e32 v55, v144, v154
	v_dot4c_i32_i8 v54, v26, v146
	v_dot4c_i32_i8 v54, v27, v147
	;; [unrolled: 1-line block ×8, first 2 shown]
	v_cvt_f32_i32_e32 v54, v54
	v_fmac_f32_e32 v95, v55, v54
	v_mov_b32_e32 v54, 0
	v_mul_f32_e32 v55, v145, v154
	v_mov_b32_e32 v154, 0
	v_dot4c_i32_i8 v54, v42, v146
	v_dot4c_i32_i8 v54, v43, v147
	;; [unrolled: 1-line block ×8, first 2 shown]
	v_cvt_f32_i32_e32 v54, v54
	v_fmac_f32_e32 v92, v55, v54
	ds_read2_b32 v[54:55], v136 offset0:64 offset1:96
	ds_read_b128 v[146:149], v135 offset:2048
	ds_read_b128 v[150:153], v135 offset:2064
	s_waitcnt lgkmcnt(2)
	v_mul_f32_e32 v155, v143, v54
	s_waitcnt lgkmcnt(1)
	v_dot4c_i32_i8 v154, v24, v146
	v_dot4c_i32_i8 v154, v25, v147
	;; [unrolled: 1-line block ×4, first 2 shown]
	s_waitcnt lgkmcnt(0)
	v_dot4c_i32_i8 v154, v34, v150
	v_dot4c_i32_i8 v154, v35, v151
	;; [unrolled: 1-line block ×4, first 2 shown]
	v_cvt_f32_i32_e32 v154, v154
	v_fmac_f32_e32 v87, v155, v154
	v_mov_b32_e32 v154, 0
	v_mul_f32_e32 v155, v142, v54
	v_dot4c_i32_i8 v154, v22, v146
	v_dot4c_i32_i8 v154, v23, v147
	;; [unrolled: 1-line block ×8, first 2 shown]
	v_cvt_f32_i32_e32 v154, v154
	v_fmac_f32_e32 v84, v155, v154
	v_mov_b32_e32 v154, 0
	v_mul_f32_e32 v155, v144, v54
	v_mul_f32_e32 v54, v145, v54
	v_dot4c_i32_i8 v154, v26, v146
	v_dot4c_i32_i8 v154, v27, v147
	;; [unrolled: 1-line block ×8, first 2 shown]
	v_cvt_f32_i32_e32 v154, v154
	v_fmac_f32_e32 v80, v155, v154
	v_mov_b32_e32 v154, 0
	v_dot4c_i32_i8 v154, v42, v146
	v_dot4c_i32_i8 v154, v43, v147
	;; [unrolled: 1-line block ×8, first 2 shown]
	v_cvt_f32_i32_e32 v146, v154
	v_mul_f32_e32 v154, v143, v55
	v_fmac_f32_e32 v79, v54, v146
	ds_read_b128 v[146:149], v135 offset:3072
	ds_read_b128 v[150:153], v135 offset:3088
	v_mov_b32_e32 v54, 0
	s_waitcnt lgkmcnt(1)
	v_dot4c_i32_i8 v54, v24, v146
	v_dot4c_i32_i8 v54, v25, v147
	;; [unrolled: 1-line block ×4, first 2 shown]
	s_waitcnt lgkmcnt(0)
	v_dot4c_i32_i8 v54, v34, v150
	v_dot4c_i32_i8 v54, v35, v151
	v_dot4c_i32_i8 v54, v38, v152
	v_dot4c_i32_i8 v54, v39, v153
	v_cvt_f32_i32_e32 v54, v54
	v_fmac_f32_e32 v77, v154, v54
	v_mov_b32_e32 v54, 0
	v_mul_f32_e32 v154, v142, v55
	v_dot4c_i32_i8 v54, v22, v146
	v_dot4c_i32_i8 v54, v23, v147
	;; [unrolled: 1-line block ×8, first 2 shown]
	v_cvt_f32_i32_e32 v54, v54
	v_fmac_f32_e32 v76, v154, v54
	v_mov_b32_e32 v54, 0
	v_mul_f32_e32 v154, v144, v55
	v_mul_f32_e32 v55, v145, v55
	v_dot4c_i32_i8 v54, v26, v146
	v_dot4c_i32_i8 v54, v27, v147
	;; [unrolled: 1-line block ×8, first 2 shown]
	v_cvt_f32_i32_e32 v54, v54
	v_fmac_f32_e32 v75, v154, v54
	v_mov_b32_e32 v54, 0
	v_mov_b32_e32 v154, 0
	v_dot4c_i32_i8 v54, v42, v146
	v_dot4c_i32_i8 v54, v43, v147
	v_dot4c_i32_i8 v54, v48, v148
	v_dot4c_i32_i8 v54, v49, v149
	v_dot4c_i32_i8 v54, v50, v150
	v_dot4c_i32_i8 v54, v51, v151
	v_dot4c_i32_i8 v54, v52, v152
	v_dot4c_i32_i8 v54, v53, v153
	v_cvt_f32_i32_e32 v54, v54
	v_fmac_f32_e32 v74, v55, v54
	ds_read2_b32 v[54:55], v136 offset0:128 offset1:160
	ds_read_b128 v[146:149], v135 offset:4096
	ds_read_b128 v[150:153], v135 offset:4112
	s_waitcnt lgkmcnt(2)
	v_mul_f32_e32 v155, v143, v54
	s_waitcnt lgkmcnt(1)
	v_dot4c_i32_i8 v154, v24, v146
	v_dot4c_i32_i8 v154, v25, v147
	;; [unrolled: 1-line block ×4, first 2 shown]
	s_waitcnt lgkmcnt(0)
	v_dot4c_i32_i8 v154, v34, v150
	v_dot4c_i32_i8 v154, v35, v151
	;; [unrolled: 1-line block ×4, first 2 shown]
	v_cvt_f32_i32_e32 v154, v154
	v_fmac_f32_e32 v73, v155, v154
	v_mov_b32_e32 v154, 0
	v_mul_f32_e32 v155, v142, v54
	v_dot4c_i32_i8 v154, v22, v146
	v_dot4c_i32_i8 v154, v23, v147
	;; [unrolled: 1-line block ×8, first 2 shown]
	v_cvt_f32_i32_e32 v154, v154
	v_fmac_f32_e32 v71, v155, v154
	v_mov_b32_e32 v154, 0
	v_mul_f32_e32 v155, v144, v54
	v_mul_f32_e32 v54, v145, v54
	v_dot4c_i32_i8 v154, v26, v146
	v_dot4c_i32_i8 v154, v27, v147
	;; [unrolled: 1-line block ×8, first 2 shown]
	v_cvt_f32_i32_e32 v154, v154
	v_fmac_f32_e32 v69, v155, v154
	v_mov_b32_e32 v154, 0
	v_dot4c_i32_i8 v154, v42, v146
	v_dot4c_i32_i8 v154, v43, v147
	;; [unrolled: 1-line block ×8, first 2 shown]
	v_cvt_f32_i32_e32 v146, v154
	v_mul_f32_e32 v154, v143, v55
	v_fmac_f32_e32 v68, v54, v146
	ds_read_b128 v[146:149], v135 offset:5120
	ds_read_b128 v[150:153], v135 offset:5136
	v_mov_b32_e32 v54, 0
	s_waitcnt lgkmcnt(1)
	v_dot4c_i32_i8 v54, v24, v146
	v_dot4c_i32_i8 v54, v25, v147
	;; [unrolled: 1-line block ×4, first 2 shown]
	s_waitcnt lgkmcnt(0)
	v_dot4c_i32_i8 v54, v34, v150
	v_dot4c_i32_i8 v54, v35, v151
	;; [unrolled: 1-line block ×4, first 2 shown]
	v_cvt_f32_i32_e32 v54, v54
	v_fmac_f32_e32 v67, v154, v54
	v_mov_b32_e32 v54, 0
	v_mul_f32_e32 v154, v142, v55
	v_dot4c_i32_i8 v54, v22, v146
	v_dot4c_i32_i8 v54, v23, v147
	;; [unrolled: 1-line block ×8, first 2 shown]
	v_cvt_f32_i32_e32 v54, v54
	v_fmac_f32_e32 v66, v154, v54
	v_mov_b32_e32 v54, 0
	v_mul_f32_e32 v154, v144, v55
	v_mul_f32_e32 v55, v145, v55
	v_dot4c_i32_i8 v54, v26, v146
	v_dot4c_i32_i8 v54, v27, v147
	;; [unrolled: 1-line block ×8, first 2 shown]
	v_cvt_f32_i32_e32 v54, v54
	v_fmac_f32_e32 v65, v154, v54
	v_mov_b32_e32 v54, 0
	v_mov_b32_e32 v154, 0
	v_dot4c_i32_i8 v54, v42, v146
	v_dot4c_i32_i8 v54, v43, v147
	;; [unrolled: 1-line block ×8, first 2 shown]
	v_cvt_f32_i32_e32 v54, v54
	v_fmac_f32_e32 v64, v55, v54
	ds_read2_b32 v[54:55], v136 offset0:192 offset1:224
	ds_read_b128 v[146:149], v135 offset:6144
	ds_read_b128 v[150:153], v135 offset:6160
	v_add_nc_u32_e32 v136, 4, v136
	s_waitcnt lgkmcnt(2)
	v_mul_f32_e32 v155, v143, v54
	s_waitcnt lgkmcnt(1)
	v_dot4c_i32_i8 v154, v24, v146
	v_dot4c_i32_i8 v154, v25, v147
	;; [unrolled: 1-line block ×4, first 2 shown]
	s_waitcnt lgkmcnt(0)
	v_dot4c_i32_i8 v154, v34, v150
	v_dot4c_i32_i8 v154, v35, v151
	;; [unrolled: 1-line block ×4, first 2 shown]
	v_cvt_f32_i32_e32 v154, v154
	v_fmac_f32_e32 v63, v155, v154
	v_mov_b32_e32 v154, 0
	v_mul_f32_e32 v155, v142, v54
	v_dot4c_i32_i8 v154, v22, v146
	v_dot4c_i32_i8 v154, v23, v147
	;; [unrolled: 1-line block ×8, first 2 shown]
	v_cvt_f32_i32_e32 v154, v154
	v_fmac_f32_e32 v62, v155, v154
	v_mov_b32_e32 v154, 0
	v_mul_f32_e32 v155, v144, v54
	v_mul_f32_e32 v54, v145, v54
	v_dot4c_i32_i8 v154, v26, v146
	v_dot4c_i32_i8 v154, v27, v147
	;; [unrolled: 1-line block ×8, first 2 shown]
	v_cvt_f32_i32_e32 v154, v154
	v_fmac_f32_e32 v61, v155, v154
	v_mov_b32_e32 v154, 0
	v_dot4c_i32_i8 v154, v42, v146
	v_dot4c_i32_i8 v154, v43, v147
	v_dot4c_i32_i8 v154, v48, v148
	v_dot4c_i32_i8 v154, v49, v149
	v_dot4c_i32_i8 v154, v50, v150
	v_dot4c_i32_i8 v154, v51, v151
	v_dot4c_i32_i8 v154, v52, v152
	v_dot4c_i32_i8 v154, v53, v153
	v_cvt_f32_i32_e32 v146, v154
	v_fmac_f32_e32 v60, v54, v146
	ds_read_b128 v[146:149], v135 offset:7168
	ds_read_b128 v[150:153], v135 offset:7184
	v_mov_b32_e32 v54, 0
	v_add_nc_u32_e32 v135, 32, v135
	s_waitcnt lgkmcnt(1)
	v_dot4c_i32_i8 v54, v24, v146
	v_mul_f32_e32 v24, v143, v55
	v_dot4c_i32_i8 v54, v25, v147
	v_dot4c_i32_i8 v54, v30, v148
	;; [unrolled: 1-line block ×3, first 2 shown]
	s_waitcnt lgkmcnt(0)
	v_dot4c_i32_i8 v54, v34, v150
	v_dot4c_i32_i8 v54, v35, v151
	;; [unrolled: 1-line block ×4, first 2 shown]
	v_cvt_f32_i32_e32 v25, v54
	v_fmac_f32_e32 v59, v24, v25
	v_mov_b32_e32 v24, 0
	v_dot4c_i32_i8 v24, v22, v146
	v_mul_f32_e32 v22, v142, v55
	v_dot4c_i32_i8 v24, v23, v147
	v_dot4c_i32_i8 v24, v28, v148
	;; [unrolled: 1-line block ×7, first 2 shown]
	v_cvt_f32_i32_e32 v23, v24
	v_fmac_f32_e32 v58, v22, v23
	v_mov_b32_e32 v22, 0
	v_mul_f32_e32 v23, v144, v55
	v_dot4c_i32_i8 v22, v26, v146
	v_dot4c_i32_i8 v22, v27, v147
	;; [unrolled: 1-line block ×8, first 2 shown]
	v_cvt_f32_i32_e32 v22, v22
	v_fmac_f32_e32 v57, v23, v22
	v_mov_b32_e32 v22, 0
	v_mul_f32_e32 v23, v145, v55
	v_dot4c_i32_i8 v22, v42, v146
	v_dot4c_i32_i8 v22, v43, v147
	;; [unrolled: 1-line block ×8, first 2 shown]
	v_cvt_f32_i32_e32 v22, v22
	v_fmac_f32_e32 v56, v23, v22
	s_cbranch_scc1 .LBB126_6
; %bb.7:                                ;   in Loop: Header=BB126_5 Depth=1
	s_add_i32 s9, s9, 4
	s_cmp_ge_i32 s9, s4
	s_barrier
	buffer_gl0_inv
	s_cbranch_scc0 .LBB126_5
; %bb.8:
	v_mov_b32_e32 v2, v70
.LBB126_9:
	s_mov_b32 s0, exec_lo
	v_cmpx_gt_u32_e64 s10, v2
	s_cbranch_execz .LBB126_60
; %bb.10:
	v_add_nc_u32_e32 v0, s6, v0
	v_mul_lo_u32 v5, v2, s14
	v_cmp_gt_u32_e32 vcc_lo, s14, v0
	s_and_saveexec_b32 s1, vcc_lo
	s_cbranch_execz .LBB126_12
; %bb.11:
	v_add_nc_u32_e32 v2, v0, v5
	v_mov_b32_e32 v3, 0
	v_lshlrev_b64 v[2:3], 2, v[2:3]
	s_waitcnt lgkmcnt(0)
	v_add_co_u32 v2, s0, s12, v2
	v_add_co_ci_u32_e64 v3, null, s13, v3, s0
	global_store_dword v[2:3], v72, off
.LBB126_12:
	s_or_b32 exec_lo, exec_lo, s1
	v_add_nc_u32_e32 v2, 32, v0
	v_cmp_gt_u32_e64 s0, s14, v2
	s_and_saveexec_b32 s2, s0
	s_cbranch_execz .LBB126_14
; %bb.13:
	v_add_nc_u32_e32 v3, v2, v5
	v_mov_b32_e32 v4, 0
	v_lshlrev_b64 v[3:4], 2, v[3:4]
	s_waitcnt lgkmcnt(0)
	v_add_co_u32 v3, s1, s12, v3
	v_add_co_ci_u32_e64 v4, null, s13, v4, s1
	global_store_dword v[3:4], v104, off
.LBB126_14:
	s_or_b32 exec_lo, exec_lo, s2
	v_add_nc_u32_e32 v3, 64, v0
	v_cmp_gt_u32_e64 s1, s14, v3
	s_and_saveexec_b32 s3, s1
	;; [unrolled: 14-line block ×3, first 2 shown]
	s_cbranch_execz .LBB126_18
; %bb.17:
	v_add_nc_u32_e32 v5, v4, v5
	v_mov_b32_e32 v6, 0
	v_lshlrev_b64 v[5:6], 2, v[5:6]
	s_waitcnt lgkmcnt(0)
	v_add_co_u32 v5, s3, s12, v5
	v_add_co_ci_u32_e64 v6, null, s13, v6, s3
	global_store_dword v[5:6], v102, off
.LBB126_18:
	s_or_b32 exec_lo, exec_lo, s4
	v_add3_u32 v5, v1, s7, 8
	v_cmp_gt_u32_e64 s3, s10, v5
	s_and_b32 exec_lo, exec_lo, s3
	s_cbranch_execz .LBB126_60
; %bb.19:
	v_mul_lo_u32 v5, v5, s14
	s_and_saveexec_b32 s4, vcc_lo
	s_cbranch_execnz .LBB126_61
; %bb.20:
	s_or_b32 exec_lo, exec_lo, s4
	s_and_saveexec_b32 s4, s0
	s_cbranch_execnz .LBB126_62
.LBB126_21:
	s_or_b32 exec_lo, exec_lo, s4
	s_and_saveexec_b32 s4, s1
	s_cbranch_execnz .LBB126_63
.LBB126_22:
	s_or_b32 exec_lo, exec_lo, s4
	s_and_saveexec_b32 s4, s2
	s_cbranch_execz .LBB126_24
.LBB126_23:
	v_add_nc_u32_e32 v5, v5, v4
	v_mov_b32_e32 v6, 0
	v_lshlrev_b64 v[5:6], 2, v[5:6]
	s_waitcnt lgkmcnt(0)
	v_add_co_u32 v5, s3, s12, v5
	v_add_co_ci_u32_e64 v6, null, s13, v6, s3
	global_store_dword v[5:6], v92, off
.LBB126_24:
	s_or_b32 exec_lo, exec_lo, s4
	v_add3_u32 v5, v1, s7, 16
	v_cmp_gt_u32_e64 s3, s10, v5
	s_and_b32 exec_lo, exec_lo, s3
	s_cbranch_execz .LBB126_60
; %bb.25:
	v_mul_lo_u32 v5, v5, s14
	s_and_saveexec_b32 s4, vcc_lo
	s_cbranch_execnz .LBB126_64
; %bb.26:
	s_or_b32 exec_lo, exec_lo, s4
	s_and_saveexec_b32 s4, s0
	s_cbranch_execnz .LBB126_65
.LBB126_27:
	s_or_b32 exec_lo, exec_lo, s4
	s_and_saveexec_b32 s4, s1
	s_cbranch_execnz .LBB126_66
.LBB126_28:
	s_or_b32 exec_lo, exec_lo, s4
	s_and_saveexec_b32 s4, s2
	s_cbranch_execz .LBB126_30
.LBB126_29:
	v_add_nc_u32_e32 v5, v5, v4
	v_mov_b32_e32 v6, 0
	v_lshlrev_b64 v[5:6], 2, v[5:6]
	s_waitcnt lgkmcnt(0)
	v_add_co_u32 v5, s3, s12, v5
	v_add_co_ci_u32_e64 v6, null, s13, v6, s3
	global_store_dword v[5:6], v79, off
.LBB126_30:
	s_or_b32 exec_lo, exec_lo, s4
	v_add3_u32 v5, v1, s7, 24
	v_cmp_gt_u32_e64 s3, s10, v5
	s_and_b32 exec_lo, exec_lo, s3
	s_cbranch_execz .LBB126_60
; %bb.31:
	v_mul_lo_u32 v5, v5, s14
	s_and_saveexec_b32 s4, vcc_lo
	s_cbranch_execnz .LBB126_67
; %bb.32:
	s_or_b32 exec_lo, exec_lo, s4
	s_and_saveexec_b32 s4, s0
	s_cbranch_execnz .LBB126_68
.LBB126_33:
	s_or_b32 exec_lo, exec_lo, s4
	s_and_saveexec_b32 s4, s1
	s_cbranch_execnz .LBB126_69
.LBB126_34:
	s_or_b32 exec_lo, exec_lo, s4
	s_and_saveexec_b32 s4, s2
	s_cbranch_execz .LBB126_36
.LBB126_35:
	v_add_nc_u32_e32 v5, v5, v4
	v_mov_b32_e32 v6, 0
	v_lshlrev_b64 v[5:6], 2, v[5:6]
	s_waitcnt lgkmcnt(0)
	v_add_co_u32 v5, s3, s12, v5
	v_add_co_ci_u32_e64 v6, null, s13, v6, s3
	global_store_dword v[5:6], v74, off
.LBB126_36:
	s_or_b32 exec_lo, exec_lo, s4
	v_add3_u32 v5, v1, s7, 32
	v_cmp_gt_u32_e64 s3, s10, v5
	s_and_b32 exec_lo, exec_lo, s3
	s_cbranch_execz .LBB126_60
; %bb.37:
	v_mul_lo_u32 v5, v5, s14
	s_and_saveexec_b32 s4, vcc_lo
	s_cbranch_execnz .LBB126_70
; %bb.38:
	s_or_b32 exec_lo, exec_lo, s4
	s_and_saveexec_b32 s4, s0
	s_cbranch_execnz .LBB126_71
.LBB126_39:
	s_or_b32 exec_lo, exec_lo, s4
	s_and_saveexec_b32 s4, s1
	s_cbranch_execnz .LBB126_72
.LBB126_40:
	s_or_b32 exec_lo, exec_lo, s4
	s_and_saveexec_b32 s4, s2
	s_cbranch_execz .LBB126_42
.LBB126_41:
	v_add_nc_u32_e32 v5, v5, v4
	v_mov_b32_e32 v6, 0
	v_lshlrev_b64 v[5:6], 2, v[5:6]
	s_waitcnt lgkmcnt(0)
	v_add_co_u32 v5, s3, s12, v5
	v_add_co_ci_u32_e64 v6, null, s13, v6, s3
	global_store_dword v[5:6], v68, off
.LBB126_42:
	s_or_b32 exec_lo, exec_lo, s4
	v_add3_u32 v5, v1, s7, 40
	v_cmp_gt_u32_e64 s3, s10, v5
	s_and_b32 exec_lo, exec_lo, s3
	s_cbranch_execz .LBB126_60
; %bb.43:
	v_mul_lo_u32 v5, v5, s14
	s_and_saveexec_b32 s4, vcc_lo
	s_cbranch_execnz .LBB126_73
; %bb.44:
	s_or_b32 exec_lo, exec_lo, s4
	s_and_saveexec_b32 s4, s0
	s_cbranch_execnz .LBB126_74
.LBB126_45:
	s_or_b32 exec_lo, exec_lo, s4
	s_and_saveexec_b32 s4, s1
	s_cbranch_execnz .LBB126_75
.LBB126_46:
	s_or_b32 exec_lo, exec_lo, s4
	s_and_saveexec_b32 s4, s2
	s_cbranch_execz .LBB126_48
.LBB126_47:
	v_add_nc_u32_e32 v5, v5, v4
	v_mov_b32_e32 v6, 0
	v_lshlrev_b64 v[5:6], 2, v[5:6]
	s_waitcnt lgkmcnt(0)
	v_add_co_u32 v5, s3, s12, v5
	v_add_co_ci_u32_e64 v6, null, s13, v6, s3
	global_store_dword v[5:6], v64, off
.LBB126_48:
	s_or_b32 exec_lo, exec_lo, s4
	v_add3_u32 v5, v1, s7, 48
	v_cmp_gt_u32_e64 s3, s10, v5
	s_and_b32 exec_lo, exec_lo, s3
	s_cbranch_execz .LBB126_60
; %bb.49:
	v_mul_lo_u32 v5, v5, s14
	s_and_saveexec_b32 s4, vcc_lo
	s_cbranch_execnz .LBB126_76
; %bb.50:
	s_or_b32 exec_lo, exec_lo, s4
	s_and_saveexec_b32 s4, s0
	s_cbranch_execnz .LBB126_77
.LBB126_51:
	s_or_b32 exec_lo, exec_lo, s4
	s_and_saveexec_b32 s4, s1
	s_cbranch_execnz .LBB126_78
.LBB126_52:
	s_or_b32 exec_lo, exec_lo, s4
	s_and_saveexec_b32 s4, s2
	s_cbranch_execz .LBB126_54
.LBB126_53:
	v_add_nc_u32_e32 v5, v5, v4
	v_mov_b32_e32 v6, 0
	v_lshlrev_b64 v[5:6], 2, v[5:6]
	s_waitcnt lgkmcnt(0)
	v_add_co_u32 v5, s3, s12, v5
	v_add_co_ci_u32_e64 v6, null, s13, v6, s3
	global_store_dword v[5:6], v60, off
.LBB126_54:
	s_or_b32 exec_lo, exec_lo, s4
	v_add3_u32 v1, v1, s7, 56
	v_cmp_gt_u32_e64 s3, s10, v1
	s_and_b32 exec_lo, exec_lo, s3
	s_cbranch_execz .LBB126_60
; %bb.55:
	v_mul_lo_u32 v1, v1, s14
	s_and_saveexec_b32 s3, vcc_lo
	s_cbranch_execnz .LBB126_79
; %bb.56:
	s_or_b32 exec_lo, exec_lo, s3
	s_and_saveexec_b32 s3, s0
	s_cbranch_execnz .LBB126_80
.LBB126_57:
	s_or_b32 exec_lo, exec_lo, s3
	s_and_saveexec_b32 s0, s1
	s_cbranch_execnz .LBB126_81
.LBB126_58:
	s_or_b32 exec_lo, exec_lo, s0
	s_and_b32 exec_lo, exec_lo, s2
	s_cbranch_execz .LBB126_60
.LBB126_59:
	v_add_nc_u32_e32 v0, v1, v4
	v_mov_b32_e32 v1, 0
	v_lshlrev_b64 v[0:1], 2, v[0:1]
	s_waitcnt lgkmcnt(0)
	v_add_co_u32 v0, vcc_lo, s12, v0
	v_add_co_ci_u32_e64 v1, null, s13, v1, vcc_lo
	global_store_dword v[0:1], v56, off
.LBB126_60:
	s_endpgm
.LBB126_61:
	v_add_nc_u32_e32 v6, v5, v0
	v_mov_b32_e32 v7, 0
	v_lshlrev_b64 v[6:7], 2, v[6:7]
	s_waitcnt lgkmcnt(0)
	v_add_co_u32 v6, s3, s12, v6
	v_add_co_ci_u32_e64 v7, null, s13, v7, s3
	global_store_dword v[6:7], v101, off
	s_or_b32 exec_lo, exec_lo, s4
	s_and_saveexec_b32 s4, s0
	s_cbranch_execz .LBB126_21
.LBB126_62:
	v_add_nc_u32_e32 v6, v5, v2
	v_mov_b32_e32 v7, 0
	v_lshlrev_b64 v[6:7], 2, v[6:7]
	s_waitcnt lgkmcnt(0)
	v_add_co_u32 v6, s3, s12, v6
	v_add_co_ci_u32_e64 v7, null, s13, v7, s3
	global_store_dword v[6:7], v99, off
	s_or_b32 exec_lo, exec_lo, s4
	s_and_saveexec_b32 s4, s1
	s_cbranch_execz .LBB126_22
.LBB126_63:
	v_add_nc_u32_e32 v6, v5, v3
	v_mov_b32_e32 v7, 0
	v_lshlrev_b64 v[6:7], 2, v[6:7]
	s_waitcnt lgkmcnt(0)
	v_add_co_u32 v6, s3, s12, v6
	v_add_co_ci_u32_e64 v7, null, s13, v7, s3
	global_store_dword v[6:7], v95, off
	s_or_b32 exec_lo, exec_lo, s4
	s_and_saveexec_b32 s4, s2
	s_cbranch_execnz .LBB126_23
	s_branch .LBB126_24
.LBB126_64:
	v_add_nc_u32_e32 v6, v5, v0
	v_mov_b32_e32 v7, 0
	v_lshlrev_b64 v[6:7], 2, v[6:7]
	s_waitcnt lgkmcnt(0)
	v_add_co_u32 v6, s3, s12, v6
	v_add_co_ci_u32_e64 v7, null, s13, v7, s3
	global_store_dword v[6:7], v87, off
	s_or_b32 exec_lo, exec_lo, s4
	s_and_saveexec_b32 s4, s0
	s_cbranch_execz .LBB126_27
.LBB126_65:
	v_add_nc_u32_e32 v6, v5, v2
	v_mov_b32_e32 v7, 0
	v_lshlrev_b64 v[6:7], 2, v[6:7]
	s_waitcnt lgkmcnt(0)
	v_add_co_u32 v6, s3, s12, v6
	v_add_co_ci_u32_e64 v7, null, s13, v7, s3
	global_store_dword v[6:7], v84, off
	s_or_b32 exec_lo, exec_lo, s4
	s_and_saveexec_b32 s4, s1
	s_cbranch_execz .LBB126_28
.LBB126_66:
	v_add_nc_u32_e32 v6, v5, v3
	v_mov_b32_e32 v7, 0
	v_lshlrev_b64 v[6:7], 2, v[6:7]
	s_waitcnt lgkmcnt(0)
	v_add_co_u32 v6, s3, s12, v6
	v_add_co_ci_u32_e64 v7, null, s13, v7, s3
	global_store_dword v[6:7], v80, off
	s_or_b32 exec_lo, exec_lo, s4
	s_and_saveexec_b32 s4, s2
	s_cbranch_execnz .LBB126_29
	s_branch .LBB126_30
.LBB126_67:
	v_add_nc_u32_e32 v6, v5, v0
	v_mov_b32_e32 v7, 0
	v_lshlrev_b64 v[6:7], 2, v[6:7]
	s_waitcnt lgkmcnt(0)
	v_add_co_u32 v6, s3, s12, v6
	v_add_co_ci_u32_e64 v7, null, s13, v7, s3
	global_store_dword v[6:7], v77, off
	s_or_b32 exec_lo, exec_lo, s4
	s_and_saveexec_b32 s4, s0
	s_cbranch_execz .LBB126_33
.LBB126_68:
	v_add_nc_u32_e32 v6, v5, v2
	v_mov_b32_e32 v7, 0
	v_lshlrev_b64 v[6:7], 2, v[6:7]
	s_waitcnt lgkmcnt(0)
	v_add_co_u32 v6, s3, s12, v6
	v_add_co_ci_u32_e64 v7, null, s13, v7, s3
	global_store_dword v[6:7], v76, off
	s_or_b32 exec_lo, exec_lo, s4
	s_and_saveexec_b32 s4, s1
	s_cbranch_execz .LBB126_34
.LBB126_69:
	v_add_nc_u32_e32 v6, v5, v3
	v_mov_b32_e32 v7, 0
	v_lshlrev_b64 v[6:7], 2, v[6:7]
	s_waitcnt lgkmcnt(0)
	v_add_co_u32 v6, s3, s12, v6
	v_add_co_ci_u32_e64 v7, null, s13, v7, s3
	global_store_dword v[6:7], v75, off
	s_or_b32 exec_lo, exec_lo, s4
	s_and_saveexec_b32 s4, s2
	s_cbranch_execnz .LBB126_35
	s_branch .LBB126_36
.LBB126_70:
	v_add_nc_u32_e32 v6, v5, v0
	v_mov_b32_e32 v7, 0
	v_lshlrev_b64 v[6:7], 2, v[6:7]
	s_waitcnt lgkmcnt(0)
	v_add_co_u32 v6, s3, s12, v6
	v_add_co_ci_u32_e64 v7, null, s13, v7, s3
	global_store_dword v[6:7], v73, off
	s_or_b32 exec_lo, exec_lo, s4
	s_and_saveexec_b32 s4, s0
	s_cbranch_execz .LBB126_39
.LBB126_71:
	v_add_nc_u32_e32 v6, v5, v2
	v_mov_b32_e32 v7, 0
	v_lshlrev_b64 v[6:7], 2, v[6:7]
	s_waitcnt lgkmcnt(0)
	v_add_co_u32 v6, s3, s12, v6
	v_add_co_ci_u32_e64 v7, null, s13, v7, s3
	global_store_dword v[6:7], v71, off
	s_or_b32 exec_lo, exec_lo, s4
	s_and_saveexec_b32 s4, s1
	s_cbranch_execz .LBB126_40
.LBB126_72:
	v_add_nc_u32_e32 v6, v5, v3
	v_mov_b32_e32 v7, 0
	v_lshlrev_b64 v[6:7], 2, v[6:7]
	s_waitcnt lgkmcnt(0)
	v_add_co_u32 v6, s3, s12, v6
	v_add_co_ci_u32_e64 v7, null, s13, v7, s3
	global_store_dword v[6:7], v69, off
	s_or_b32 exec_lo, exec_lo, s4
	s_and_saveexec_b32 s4, s2
	s_cbranch_execnz .LBB126_41
	s_branch .LBB126_42
.LBB126_73:
	v_add_nc_u32_e32 v6, v5, v0
	v_mov_b32_e32 v7, 0
	v_lshlrev_b64 v[6:7], 2, v[6:7]
	s_waitcnt lgkmcnt(0)
	v_add_co_u32 v6, s3, s12, v6
	v_add_co_ci_u32_e64 v7, null, s13, v7, s3
	global_store_dword v[6:7], v67, off
	s_or_b32 exec_lo, exec_lo, s4
	s_and_saveexec_b32 s4, s0
	s_cbranch_execz .LBB126_45
.LBB126_74:
	v_add_nc_u32_e32 v6, v5, v2
	v_mov_b32_e32 v7, 0
	v_lshlrev_b64 v[6:7], 2, v[6:7]
	s_waitcnt lgkmcnt(0)
	v_add_co_u32 v6, s3, s12, v6
	v_add_co_ci_u32_e64 v7, null, s13, v7, s3
	global_store_dword v[6:7], v66, off
	s_or_b32 exec_lo, exec_lo, s4
	s_and_saveexec_b32 s4, s1
	s_cbranch_execz .LBB126_46
.LBB126_75:
	v_add_nc_u32_e32 v6, v5, v3
	v_mov_b32_e32 v7, 0
	v_lshlrev_b64 v[6:7], 2, v[6:7]
	s_waitcnt lgkmcnt(0)
	v_add_co_u32 v6, s3, s12, v6
	v_add_co_ci_u32_e64 v7, null, s13, v7, s3
	global_store_dword v[6:7], v65, off
	s_or_b32 exec_lo, exec_lo, s4
	s_and_saveexec_b32 s4, s2
	s_cbranch_execnz .LBB126_47
	s_branch .LBB126_48
.LBB126_76:
	v_add_nc_u32_e32 v6, v5, v0
	v_mov_b32_e32 v7, 0
	v_lshlrev_b64 v[6:7], 2, v[6:7]
	s_waitcnt lgkmcnt(0)
	v_add_co_u32 v6, s3, s12, v6
	v_add_co_ci_u32_e64 v7, null, s13, v7, s3
	global_store_dword v[6:7], v63, off
	s_or_b32 exec_lo, exec_lo, s4
	s_and_saveexec_b32 s4, s0
	s_cbranch_execz .LBB126_51
.LBB126_77:
	v_add_nc_u32_e32 v6, v5, v2
	v_mov_b32_e32 v7, 0
	v_lshlrev_b64 v[6:7], 2, v[6:7]
	s_waitcnt lgkmcnt(0)
	v_add_co_u32 v6, s3, s12, v6
	v_add_co_ci_u32_e64 v7, null, s13, v7, s3
	global_store_dword v[6:7], v62, off
	s_or_b32 exec_lo, exec_lo, s4
	s_and_saveexec_b32 s4, s1
	s_cbranch_execz .LBB126_52
.LBB126_78:
	v_add_nc_u32_e32 v6, v5, v3
	v_mov_b32_e32 v7, 0
	v_lshlrev_b64 v[6:7], 2, v[6:7]
	s_waitcnt lgkmcnt(0)
	v_add_co_u32 v6, s3, s12, v6
	v_add_co_ci_u32_e64 v7, null, s13, v7, s3
	global_store_dword v[6:7], v61, off
	s_or_b32 exec_lo, exec_lo, s4
	s_and_saveexec_b32 s4, s2
	s_cbranch_execnz .LBB126_53
	s_branch .LBB126_54
.LBB126_79:
	v_add_nc_u32_e32 v5, v1, v0
	v_mov_b32_e32 v6, 0
	v_lshlrev_b64 v[5:6], 2, v[5:6]
	s_waitcnt lgkmcnt(0)
	v_add_co_u32 v5, vcc_lo, s12, v5
	v_add_co_ci_u32_e64 v6, null, s13, v6, vcc_lo
	global_store_dword v[5:6], v59, off
	s_or_b32 exec_lo, exec_lo, s3
	s_and_saveexec_b32 s3, s0
	s_cbranch_execz .LBB126_57
.LBB126_80:
	v_add_nc_u32_e32 v5, v1, v2
	v_mov_b32_e32 v6, 0
	v_lshlrev_b64 v[5:6], 2, v[5:6]
	s_waitcnt lgkmcnt(0)
	v_add_co_u32 v5, vcc_lo, s12, v5
	v_add_co_ci_u32_e64 v6, null, s13, v6, vcc_lo
	global_store_dword v[5:6], v58, off
	s_or_b32 exec_lo, exec_lo, s3
	s_and_saveexec_b32 s0, s1
	s_cbranch_execz .LBB126_58
.LBB126_81:
	v_add_nc_u32_e32 v2, v1, v3
	v_mov_b32_e32 v3, 0
	v_lshlrev_b64 v[2:3], 2, v[2:3]
	s_waitcnt lgkmcnt(0)
	v_add_co_u32 v2, vcc_lo, s12, v2
	v_add_co_ci_u32_e64 v3, null, s13, v3, vcc_lo
	global_store_dword v[2:3], v57, off
	s_or_b32 exec_lo, exec_lo, s0
	s_and_b32 exec_lo, exec_lo, s2
	s_cbranch_execnz .LBB126_59
	s_branch .LBB126_60
	.section	.rodata,"a",@progbits
	.p2align	6, 0x0
	.amdhsa_kernel _ZL12mul_mat_q8_0IfLb1EEvPKvS1_PT_iiiii
		.amdhsa_group_segment_fixed_size 28224
		.amdhsa_private_segment_fixed_size 0
		.amdhsa_kernarg_size 44
		.amdhsa_user_sgpr_count 6
		.amdhsa_user_sgpr_private_segment_buffer 1
		.amdhsa_user_sgpr_dispatch_ptr 0
		.amdhsa_user_sgpr_queue_ptr 0
		.amdhsa_user_sgpr_kernarg_segment_ptr 1
		.amdhsa_user_sgpr_dispatch_id 0
		.amdhsa_user_sgpr_flat_scratch_init 0
		.amdhsa_user_sgpr_private_segment_size 0
		.amdhsa_wavefront_size32 1
		.amdhsa_uses_dynamic_stack 0
		.amdhsa_system_sgpr_private_segment_wavefront_offset 0
		.amdhsa_system_sgpr_workgroup_id_x 1
		.amdhsa_system_sgpr_workgroup_id_y 1
		.amdhsa_system_sgpr_workgroup_id_z 0
		.amdhsa_system_sgpr_workgroup_info 0
		.amdhsa_system_vgpr_workitem_id 1
		.amdhsa_next_free_vgpr 156
		.amdhsa_next_free_sgpr 15
		.amdhsa_reserve_vcc 1
		.amdhsa_reserve_flat_scratch 0
		.amdhsa_float_round_mode_32 0
		.amdhsa_float_round_mode_16_64 0
		.amdhsa_float_denorm_mode_32 3
		.amdhsa_float_denorm_mode_16_64 3
		.amdhsa_dx10_clamp 1
		.amdhsa_ieee_mode 1
		.amdhsa_fp16_overflow 0
		.amdhsa_workgroup_processor_mode 1
		.amdhsa_memory_ordered 1
		.amdhsa_forward_progress 1
		.amdhsa_shared_vgpr_count 0
		.amdhsa_exception_fp_ieee_invalid_op 0
		.amdhsa_exception_fp_denorm_src 0
		.amdhsa_exception_fp_ieee_div_zero 0
		.amdhsa_exception_fp_ieee_overflow 0
		.amdhsa_exception_fp_ieee_underflow 0
		.amdhsa_exception_fp_ieee_inexact 0
		.amdhsa_exception_int_div_zero 0
	.end_amdhsa_kernel
	.section	.text._ZL12mul_mat_q8_0IfLb1EEvPKvS1_PT_iiiii,"axG",@progbits,_ZL12mul_mat_q8_0IfLb1EEvPKvS1_PT_iiiii,comdat
.Lfunc_end126:
	.size	_ZL12mul_mat_q8_0IfLb1EEvPKvS1_PT_iiiii, .Lfunc_end126-_ZL12mul_mat_q8_0IfLb1EEvPKvS1_PT_iiiii
                                        ; -- End function
	.set _ZL12mul_mat_q8_0IfLb1EEvPKvS1_PT_iiiii.num_vgpr, 156
	.set _ZL12mul_mat_q8_0IfLb1EEvPKvS1_PT_iiiii.num_agpr, 0
	.set _ZL12mul_mat_q8_0IfLb1EEvPKvS1_PT_iiiii.numbered_sgpr, 15
	.set _ZL12mul_mat_q8_0IfLb1EEvPKvS1_PT_iiiii.num_named_barrier, 0
	.set _ZL12mul_mat_q8_0IfLb1EEvPKvS1_PT_iiiii.private_seg_size, 0
	.set _ZL12mul_mat_q8_0IfLb1EEvPKvS1_PT_iiiii.uses_vcc, 1
	.set _ZL12mul_mat_q8_0IfLb1EEvPKvS1_PT_iiiii.uses_flat_scratch, 0
	.set _ZL12mul_mat_q8_0IfLb1EEvPKvS1_PT_iiiii.has_dyn_sized_stack, 0
	.set _ZL12mul_mat_q8_0IfLb1EEvPKvS1_PT_iiiii.has_recursion, 0
	.set _ZL12mul_mat_q8_0IfLb1EEvPKvS1_PT_iiiii.has_indirect_call, 0
	.section	.AMDGPU.csdata,"",@progbits
; Kernel info:
; codeLenInByte = 7176
; TotalNumSgprs: 17
; NumVgprs: 156
; ScratchSize: 0
; MemoryBound: 0
; FloatMode: 240
; IeeeMode: 1
; LDSByteSize: 28224 bytes/workgroup (compile time only)
; SGPRBlocks: 0
; VGPRBlocks: 19
; NumSGPRsForWavesPerEU: 17
; NumVGPRsForWavesPerEU: 156
; Occupancy: 6
; WaveLimiterHint : 0
; COMPUTE_PGM_RSRC2:SCRATCH_EN: 0
; COMPUTE_PGM_RSRC2:USER_SGPR: 6
; COMPUTE_PGM_RSRC2:TRAP_HANDLER: 0
; COMPUTE_PGM_RSRC2:TGID_X_EN: 1
; COMPUTE_PGM_RSRC2:TGID_Y_EN: 1
; COMPUTE_PGM_RSRC2:TGID_Z_EN: 0
; COMPUTE_PGM_RSRC2:TIDIG_COMP_CNT: 1
	.section	.text._ZL12mul_mat_q2_KIfLb0EEvPKvS1_PT_iiiii,"axG",@progbits,_ZL12mul_mat_q2_KIfLb0EEvPKvS1_PT_iiiii,comdat
	.globl	_ZL12mul_mat_q2_KIfLb0EEvPKvS1_PT_iiiii ; -- Begin function _ZL12mul_mat_q2_KIfLb0EEvPKvS1_PT_iiiii
	.p2align	8
	.type	_ZL12mul_mat_q2_KIfLb0EEvPKvS1_PT_iiiii,@function
_ZL12mul_mat_q2_KIfLb0EEvPKvS1_PT_iiiii: ; @_ZL12mul_mat_q2_KIfLb0EEvPKvS1_PT_iiiii
; %bb.0:
	s_mov_b64 s[18:19], s[2:3]
	s_mov_b64 s[16:17], s[0:1]
	s_add_u32 s16, s16, s8
	s_clause 0x1
	s_load_dword s14, s[4:5], 0x18
	s_load_dwordx4 s[8:11], s[4:5], 0x20
	s_addc_u32 s17, s17, 0
	s_lshl_b32 s7, s7, 6
	v_add_nc_u32_e32 v9, s7, v1
	s_waitcnt lgkmcnt(0)
	s_cmpk_gt_i32 s14, 0xff
	s_cbranch_scc1 .LBB127_2
; %bb.1:
	v_add_nc_u32_e32 v2, s7, v1
	s_mov_b32 s0, 0
	s_branch .LBB127_3
.LBB127_2:
	s_mov_b32 s0, -1
                                        ; implicit-def: $vgpr2
.LBB127_3:
	s_load_dwordx2 s[12:13], s[4:5], 0x10
	v_mov_b32_e32 v37, 0
	v_mov_b32_e32 v41, 0
	;; [unrolled: 1-line block ×32, first 2 shown]
	s_andn2_b32 vcc_lo, exec_lo, s0
	s_lshl_b32 s6, s6, 7
	s_cbranch_vccnz .LBB127_17
; %bb.4:
	s_load_dwordx4 s[0:3], s[4:5], 0x0
	s_ashr_i32 s4, s14, 31
	s_ashr_i32 s5, s9, 31
	s_lshr_b32 s4, s4, 24
	s_lshr_b32 s5, s5, 27
	s_add_i32 s14, s14, s4
	s_add_i32 s5, s9, s5
	s_ashr_i32 s4, s14, 8
	v_lshlrev_b32_e32 v21, 4, v1
	s_mul_i32 s9, s4, s6
	v_lshrrev_b32_e32 v4, 1, v0
	v_and_b32_e32 v5, 7, v0
	s_ashr_i32 s11, s5, 5
	s_mul_i32 s5, s9, 0x54
	v_add_nc_u32_e32 v6, 8, v9
	v_add_nc_u32_e32 v7, 16, v9
	;; [unrolled: 1-line block ×6, first 2 shown]
	s_mul_hi_i32 s9, s9, 0x54
	s_waitcnt lgkmcnt(0)
	s_add_u32 s5, s0, s5
	s_addc_u32 s9, s1, s9
	s_add_i32 s1, s8, -1
	s_lshl_b32 s0, s4, 3
	v_cvt_f64_u32_e32 v[2:3], v9
	buffer_store_dword v9, off, s[16:19], 0 offset:4 ; 4-byte Folded Spill
	v_add_nc_u32_e32 v16, 56, v9
	v_add_nc_u32_e32 v22, v4, v21
	v_cmp_lt_u32_e32 vcc_lo, 3, v5
	v_lshlrev_b32_e32 v25, 2, v5
	v_cvt_f64_u32_e32 v[4:5], v6
	v_cvt_f64_u32_e32 v[6:7], v7
	v_cvt_f64_u32_e32 v[8:9], v8
	v_cvt_f64_u32_e32 v[10:11], v10
	v_cvt_f64_u32_e32 v[12:13], v12
	v_cvt_f64_u32_e32 v[14:15], v14
	v_cvt_f64_i32_e32 v[18:19], s1
	v_mad_i32_i24 v64, s4, v1, s0
	v_cvt_f64_u32_e32 v[16:17], v16
	v_and_b32_e32 v58, 1, v0
	v_lshrrev_b32_e32 v60, 3, v0
	v_and_b32_e32 v26, 0x7f, v22
	v_add_nc_u32_e32 v66, s0, v64
	v_lshrrev_b32_e32 v22, 2, v22
	v_lshlrev_b32_e32 v23, 2, v58
	v_lshl_add_u32 v24, v1, 2, v60
	s_lshl_b32 s14, s4, 5
	v_add_nc_u32_e32 v69, s0, v66
	v_and_b32_e32 v22, 28, v22
	v_lshl_or_b32 v23, v26, 3, v23
	v_and_b32_e32 v27, 0x7fc, v24
	v_add_nc_u32_e32 v29, 32, v24
	v_add_nc_u32_e32 v72, s0, v69
	v_mul_i32_i24_e32 v100, s4, v24
	v_lshlrev_b32_e32 v28, 5, v24
	v_mul_i32_i24_e32 v102, s4, v26
	v_add3_u32 v26, v27, v25, 0x6200
	v_add_nc_u32_e32 v75, s0, v72
	v_min_f64 v[2:3], v[2:3], v[18:19]
	v_min_f64 v[6:7], v[6:7], v[18:19]
	;; [unrolled: 1-line block ×6, first 2 shown]
	v_add_nc_u32_e32 v76, s0, v75
	v_min_f64 v[4:5], v[4:5], v[18:19]
	v_min_f64 v[16:17], v[16:17], v[18:19]
	v_lshrrev_b32_e32 v18, 2, v0
	v_and_b32_e32 v27, 0xffc, v29
	v_add_nc_u32_e32 v79, s0, v76
	v_add3_u32 v106, v23, v22, 0x7280
	v_mad_i32_i24 v107, s4, v24, s14
	v_lshl_add_u32 v18, v1, 3, v18
	v_add_nc_u32_e32 v22, 64, v24
	v_add_nc_u32_e32 v84, s0, v79
	;; [unrolled: 1-line block ×3, first 2 shown]
	v_lshlrev_b32_e32 v20, 2, v0
	v_add3_u32 v23, v27, v25, 0x6200
	v_lshlrev_b32_e32 v27, 5, v29
	v_add_nc_u32_e32 v89, s0, v84
	v_cvt_i32_f64_e32 v3, v[2:3]
	v_cvt_i32_f64_e32 v6, v[6:7]
	;; [unrolled: 1-line block ×6, first 2 shown]
	v_add_nc_u32_e32 v94, s0, v89
	v_cvt_i32_f64_e32 v4, v[4:5]
	v_and_b32_e32 v5, 63, v18
	v_cvt_i32_f64_e32 v15, v[16:17]
	v_and_b32_e32 v29, 0xffc, v22
	v_add_nc_u32_e32 v98, s0, v94
	v_and_b32_e32 v19, 0xffc, v24
	v_or_b32_e32 v10, s7, v5
	v_and_b32_e32 v2, 3, v0
	v_add3_u32 v29, v29, v25, 0x6200
	v_add_nc_u32_e32 v101, s0, v98
	v_add3_u32 v25, v19, v25, 0x6200
	v_min_i32_e32 v10, s1, v10
	v_lshlrev_b32_e32 v12, 2, v2
	v_and_b32_e32 v14, 28, v20
	v_add_nc_u32_e32 v103, s0, v101
	v_add_nc_u32_e32 v16, 0x60, v0
	v_mad_u64_u32 v[18:19], null, v10, s11, v[2:3]
	v_add_nc_u32_e32 v10, 32, v0
	v_add_nc_u32_e32 v105, s0, v103
	v_mul_lo_u32 v119, s11, v11
	v_mul_lo_u32 v121, s11, v13
	v_mul_u32_u24_e32 v11, 33, v0
	v_add_nc_u32_e32 v13, 64, v0
	v_add_nc_u32_e32 v108, s0, v105
	v_and_b32_e32 v8, 31, v0
	v_lshl_or_b32 v5, v5, 4, v12
	v_lshlrev_b32_e32 v12, 7, v1
	v_lshlrev_b32_e32 v17, 1, v10
	v_lshrrev_b32_e32 v30, 4, v10
	v_lshlrev_b32_e32 v31, 1, v13
	v_lshrrev_b32_e32 v32, 4, v13
	;; [unrolled: 2-line block ×3, first 2 shown]
	v_lshrrev_b32_e32 v123, 3, v10
	v_lshrrev_b32_e32 v124, 3, v13
	;; [unrolled: 1-line block ×3, first 2 shown]
	v_add_co_u32 v19, s0, s2, v14
	v_lshlrev_b32_e32 v126, 2, v11
	v_lshlrev_b32_e32 v11, 5, v0
	v_and_b32_e32 v14, 0xfc, v0
	v_and_b32_e32 v10, 0x1fc, v10
	;; [unrolled: 1-line block ×4, first 2 shown]
	v_lshrrev_b32_e32 v54, 4, v0
	v_mad_u32_u24 v70, 0x84, v1, v20
	v_add_nc_u32_e32 v110, s14, v107
	v_lshlrev_b32_e32 v22, 5, v22
	v_lshlrev_b32_e32 v24, 5, v24
	v_lshl_or_b32 v8, v8, 2, 0x4200
	v_add_nc_u32_e32 v113, 0x76a0, v5
	v_mul_lo_u32 v114, s11, v3
	v_mul_lo_u32 v115, s11, v4
	v_add_nc_u32_e32 v2, 0x400, v12
	v_mul_lo_u32 v116, s11, v6
	v_add_nc_u32_e32 v3, 0x800, v12
	;; [unrolled: 2-line block ×4, first 2 shown]
	v_add_nc_u32_e32 v6, 0x1400, v12
	v_add_nc_u32_e32 v7, 0x1800, v12
	v_mul_lo_u32 v122, s11, v15
	v_add_nc_u32_e32 v9, 0x1c00, v12
	v_lshlrev_b32_e32 v15, 1, v0
	v_add_nc_u32_e32 v128, v11, v14
	v_add_nc_u32_e32 v129, v11, v10
	;; [unrolled: 1-line block ×4, first 2 shown]
	v_and_b32_e32 v68, 60, v20
	v_cndmask_b32_e64 v73, 0, 1, vcc_lo
	v_and_b32_e32 v74, 12, v20
	v_mul_i32_i24_e32 v78, s4, v1
	v_add_nc_u32_e32 v90, 0x2520, v70
	v_add_nc_u32_e32 v91, 0x2940, v70
	;; [unrolled: 1-line block ×8, first 2 shown]
	v_add_co_ci_u32_e64 v20, null, s3, 0, s0
	v_add_nc_u32_e32 v127, 0x76a0, v21
	v_add_nc_u32_e32 v132, 0x4200, v12
	;; [unrolled: 1-line block ×18, first 2 shown]
	v_lshlrev_b32_e32 v149, 2, v54
	v_lshlrev_b32_e32 v150, 2, v15
	;; [unrolled: 1-line block ×8, first 2 shown]
	v_mov_b32_e32 v157, 0xffff
	v_mov_b32_e32 v158, 15
	v_mov_b32_e32 v120, 0
	v_mov_b32_e32 v92, 0
	v_mov_b32_e32 v65, 0
	v_mov_b32_e32 v59, 0
	v_mov_b32_e32 v53, 0
	v_mov_b32_e32 v49, 0
	v_mov_b32_e32 v44, 0
	v_mov_b32_e32 v40, 0
	v_mov_b32_e32 v112, 0
	v_mov_b32_e32 v77, 0
	v_mov_b32_e32 v63, 0
	v_mov_b32_e32 v57, 0
	v_mov_b32_e32 v52, 0
	v_mov_b32_e32 v48, 0
	v_mov_b32_e32 v43, 0
	v_mov_b32_e32 v39, 0
	v_mov_b32_e32 v109, 0
	v_mov_b32_e32 v71, 0
	v_mov_b32_e32 v62, 0
	v_mov_b32_e32 v56, 0
	v_mov_b32_e32 v51, 0
	v_mov_b32_e32 v46, 0
	v_mov_b32_e32 v42, 0
	v_mov_b32_e32 v38, 0
	v_mov_b32_e32 v104, 0
	v_mov_b32_e32 v67, 0
	v_mov_b32_e32 v61, 0
	v_mov_b32_e32 v55, 0
	v_mov_b32_e32 v50, 0
	v_mov_b32_e32 v45, 0
	v_mov_b32_e32 v41, 0
	v_mov_b32_e32 v37, 0
	s_mov_b32 s11, 0
	buffer_store_dword v1, off, s[16:19], 0 ; 4-byte Folded Spill
	s_branch .LBB127_6
.LBB127_5:                              ;   in Loop: Header=BB127_6 Depth=1
	s_add_i32 s11, s11, 2
	s_cmp_ge_i32 s11, s4
	s_cbranch_scc1 .LBB127_16
.LBB127_6:                              ; =>This Loop Header: Depth=1
                                        ;     Child Loop BB127_7 Depth 2
                                        ;     Child Loop BB127_9 Depth 2
	;; [unrolled: 1-line block ×4, first 2 shown]
	s_mul_i32 s0, s11, 0x54
	s_mul_hi_u32 s1, s11, 0x54
	s_add_u32 s0, s5, s0
	s_addc_u32 s1, s9, s1
	v_add_nc_u32_e32 v1, 0x420, v70
	v_mad_u64_u32 v[2:3], null, 0x54, v54, s[0:1]
	v_mov_b32_e32 v160, v132
	v_mov_b32_e32 v161, v127
	v_mad_u64_u32 v[4:5], null, 0x54, v78, v[2:3]
	v_add_co_u32 v4, vcc_lo, v4, v68
	v_add_co_ci_u32_e64 v5, null, 0, v5, vcc_lo
	global_load_dword v4, v[4:5], off offset:16
	s_waitcnt vmcnt(0)
	ds_write_b32 v70, v4
	v_mad_u64_u32 v[4:5], null, 0x54, v64, v[2:3]
	v_add_co_u32 v4, vcc_lo, v4, v68
	v_add_co_ci_u32_e64 v5, null, 0, v5, vcc_lo
	global_load_dword v4, v[4:5], off offset:16
	s_waitcnt vmcnt(0)
	ds_write_b32 v1, v4
	v_mad_u64_u32 v[4:5], null, 0x54, v66, v[2:3]
	v_add_nc_u32_e32 v1, 0x840, v70
	v_add_co_u32 v4, vcc_lo, v4, v68
	v_add_co_ci_u32_e64 v5, null, 0, v5, vcc_lo
	global_load_dword v4, v[4:5], off offset:16
	s_waitcnt vmcnt(0)
	ds_write_b32 v1, v4
	v_mad_u64_u32 v[4:5], null, 0x54, v69, v[2:3]
	v_add_nc_u32_e32 v1, 0xc60, v70
	;; [unrolled: 7-line block ×7, first 2 shown]
	v_add_co_u32 v4, vcc_lo, v4, v68
	v_add_co_ci_u32_e64 v5, null, 0, v5, vcc_lo
	global_load_dword v4, v[4:5], off offset:16
	s_waitcnt vmcnt(0)
	ds_write_b32 v1, v4
	v_mad_u64_u32 v[4:5], null, 0x54, v89, v[2:3]
	v_add_co_u32 v4, vcc_lo, v4, v68
	v_add_co_ci_u32_e64 v5, null, 0, v5, vcc_lo
	global_load_dword v4, v[4:5], off offset:16
	s_waitcnt vmcnt(0)
	ds_write_b32 v90, v4
	v_mad_u64_u32 v[4:5], null, 0x54, v94, v[2:3]
	;; [unrolled: 6-line block ×6, first 2 shown]
	v_mad_u64_u32 v[2:3], null, 0x54, v108, v[2:3]
	v_add_co_u32 v4, vcc_lo, v4, v68
	v_add_co_ci_u32_e64 v5, null, 0, v5, vcc_lo
	v_add_co_u32 v2, vcc_lo, v2, v68
	v_add_co_ci_u32_e64 v3, null, 0, v3, vcc_lo
	s_clause 0x1
	global_load_dword v4, v[4:5], off offset:16
	global_load_dword v2, v[2:3], off offset:16
	s_waitcnt vmcnt(1)
	ds_write_b32 v97, v4
	s_waitcnt vmcnt(0)
	ds_write_b32 v99, v2
	v_mad_u64_u32 v[2:3], null, 0x54, v102, s[0:1]
	v_mad_u64_u32 v[2:3], null, 0x54, v58, v[2:3]
	global_load_dword v2, v[2:3], off offset:80
	s_waitcnt vmcnt(0)
	ds_write_b32 v106, v2
	v_mad_u64_u32 v[2:3], null, 0x54, v73, s[0:1]
	s_lshl_b32 s0, s11, 3
	s_mov_b32 s1, 0
	v_add_nc_u32_e32 v159, s0, v18
	v_add_co_u32 v2, vcc_lo, v2, v74
	v_add_co_ci_u32_e64 v3, null, 0, v3, vcc_lo
	v_mad_u64_u32 v[4:5], null, 0x54, v100, v[2:3]
	global_load_dword v4, v[4:5], off
	s_waitcnt vmcnt(0)
	ds_write_b32 v137, v4
	v_mad_u64_u32 v[4:5], null, 0x54, v107, v[2:3]
	global_load_dword v4, v[4:5], off
	s_waitcnt vmcnt(0)
	ds_write_b32 v138, v4
	v_mad_u64_u32 v[4:5], null, 0x54, v110, v[2:3]
	v_mad_u64_u32 v[2:3], null, 0x54, v111, v[2:3]
	s_clause 0x1
	global_load_dword v4, v[4:5], off
	global_load_dword v2, v[2:3], off
	s_waitcnt vmcnt(1)
	ds_write_b32 v139, v4
	v_add_nc_u32_e32 v4, s0, v60
	s_waitcnt vmcnt(0)
	ds_write_b32 v140, v2
	v_add_nc_u32_e32 v2, v4, v114
	v_mad_i64_i32 v[2:3], null, v2, 36, v[19:20]
	global_load_dword v2, v[2:3], off offset:4
	s_waitcnt vmcnt(0)
	ds_write_b32 v141, v2
	v_add_nc_u32_e32 v2, v4, v115
	v_mad_i64_i32 v[2:3], null, v2, 36, v[19:20]
	global_load_dword v2, v[2:3], off offset:4
	;; [unrolled: 5-line block ×8, first 2 shown]
	s_waitcnt vmcnt(0)
	ds_write_b32 v148, v2
	v_mad_u64_u32 v[2:3], null, v159, 36, s[2:3]
	global_load_dword v2, v[2:3], off
	s_waitcnt vmcnt(0)
	v_cvt_f32_f16_e32 v2, v2
	ds_write_b32 v113, v2
	s_waitcnt lgkmcnt(0)
	s_waitcnt_vscnt null, 0x0
	s_barrier
	buffer_gl0_inv
.LBB127_7:                              ;   Parent Loop BB127_6 Depth=1
                                        ; =>  This Inner Loop Header: Depth=2
	s_and_b32 s15, s1, 0x3ffffff8
	s_and_b32 s14, s1, -16
	v_lshl_add_u32 v230, s15, 2, v126
	ds_read_b128 v[2:5], v160
	ds_read_b128 v[206:209], v160 offset:16
	ds_read_b128 v[177:180], v160 offset:1024
	;; [unrolled: 1-line block ×7, first 2 shown]
	v_add_nc_u32_e32 v191, 0x1080, v230
	v_add_nc_u32_e32 v193, 0x1088, v230
	s_add_i32 s14, s1, s14
	ds_read2_b32 v[175:176], v230 offset1:1
	ds_read2_b32 v[189:190], v230 offset0:2 offset1:3
	ds_read2_b32 v[222:223], v230 offset0:4 offset1:5
	;; [unrolled: 1-line block ×3, first 2 shown]
	v_add_nc_u32_e32 v195, 0x2100, v230
	v_add_nc_u32_e32 v198, 0x2108, v230
	v_add_nc_u32_e32 v31, s14, v133
	v_add_nc_u32_e32 v33, s14, v134
	v_add_nc_u32_e32 v36, s14, v135
	v_add_nc_u32_e32 v201, 0x2110, v230
	v_add_nc_u32_e32 v202, 0x2118, v230
	v_add_nc_u32_e32 v203, 0x3180, v230
	v_add_nc_u32_e32 v204, 0x3188, v230
	v_add_nc_u32_e32 v197, s14, v136
	ds_read2_b32 v[191:192], v191 offset1:1
	ds_read2_b32 v[193:194], v193 offset1:1
	ds_read2_b32 v[195:196], v195 offset1:1
	ds_read2_b32 v[199:200], v198 offset1:1
	ds_read2_b32 v[226:227], v201 offset1:1
	ds_read2_b32 v[228:229], v202 offset1:1
	ds_read_u16 v198, v31
	ds_read_u16 v33, v33
	ds_read2_b32 v[201:202], v203 offset1:1
	ds_read2_b32 v[203:204], v204 offset1:1
	ds_read_u16 v31, v36
	ds_read_u16 v36, v197
	v_mov_b32_e32 v28, 0
	v_mov_b32_e32 v21, 0
	;; [unrolled: 1-line block ×5, first 2 shown]
	s_waitcnt lgkmcnt(15)
	v_ashrrev_i32_e32 v175, s1, v175
	v_ashrrev_i32_e32 v176, s1, v176
	s_waitcnt lgkmcnt(14)
	v_ashrrev_i32_e32 v189, s1, v189
	v_mov_b32_e32 v164, 0
	v_mov_b32_e32 v166, 0
	v_and_b32_e32 v231, 0x3030303, v175
	v_and_b32_e32 v232, 0x3030303, v176
	;; [unrolled: 1-line block ×3, first 2 shown]
	s_waitcnt lgkmcnt(11)
	v_ashrrev_i32_e32 v175, s1, v191
	v_ashrrev_i32_e32 v176, s1, v192
	s_waitcnt lgkmcnt(10)
	v_ashrrev_i32_e32 v189, s1, v193
	v_ashrrev_i32_e32 v191, s1, v194
	;; [unrolled: 3-line block ×6, first 2 shown]
	v_bfe_u32 v201, v198, 4, 4
	v_bfe_u32 v202, v33, 4, 4
	s_waitcnt lgkmcnt(1)
	v_bfe_u32 v203, v31, 4, 4
	s_waitcnt lgkmcnt(0)
	v_bfe_u32 v204, v36, 4, 4
	v_mov_b32_e32 v168, 0
	v_mul_lo_u32 v243, 0x1010101, v201
	v_mul_lo_u32 v244, 0x1010101, v202
	;; [unrolled: 1-line block ×4, first 2 shown]
	v_and_b32_e32 v234, 0x3030303, v175
	v_and_b32_e32 v192, 0x3030303, v192
	v_and_b32_e32 v239, 0x3030303, v196
	v_dot4c_i32_i8 v28, v231, v2
	v_and_b32_e32 v235, 0x3030303, v176
	v_and_b32_e32 v193, 0x3030303, v193
	;; [unrolled: 1-line block ×3, first 2 shown]
	v_dot4c_i32_i8 v21, v234, v2
	v_dot4c_i32_i8 v23, v192, v2
	;; [unrolled: 1-line block ×7, first 2 shown]
	v_ashrrev_i32_e32 v190, s1, v190
	v_and_b32_e32 v236, 0x3030303, v189
	v_and_b32_e32 v237, 0x3030303, v194
	;; [unrolled: 1-line block ×3, first 2 shown]
	v_dot4c_i32_i8 v28, v232, v3
	v_dot4c_i32_i8 v21, v235, v3
	v_dot4c_i32_i8 v23, v193, v3
	v_dot4c_i32_i8 v26, v240, v3
	v_dot4c_i32_i8 v162, v243, v3
	v_dot4c_i32_i8 v164, v244, v3
	v_dot4c_i32_i8 v166, v245, v3
	v_dot4c_i32_i8 v168, v246, v3
	v_mov_b32_e32 v29, 0
	v_mov_b32_e32 v163, 0
	;; [unrolled: 1-line block ×8, first 2 shown]
	v_and_b32_e32 v190, 0x3030303, v190
	v_and_b32_e32 v191, 0x3030303, v191
	;; [unrolled: 1-line block ×4, first 2 shown]
	v_dot4c_i32_i8 v28, v233, v4
	v_dot4c_i32_i8 v21, v236, v4
	;; [unrolled: 1-line block ×24, first 2 shown]
	ds_read_b128 v[2:5], v160 offset:4096
	ds_read_b128 v[210:213], v160 offset:4112
	v_dot4c_i32_i8 v29, v232, v178
	v_dot4c_i32_i8 v22, v235, v178
	;; [unrolled: 1-line block ×8, first 2 shown]
	v_mov_b32_e32 v30, 0
	v_mov_b32_e32 v170, 0
	;; [unrolled: 1-line block ×8, first 2 shown]
	v_dot4c_i32_i8 v29, v233, v179
	v_dot4c_i32_i8 v22, v236, v179
	;; [unrolled: 1-line block ×24, first 2 shown]
	v_mov_b32_e32 v204, 0
	v_mov_b32_e32 v247, 0
	;; [unrolled: 1-line block ×8, first 2 shown]
	s_waitcnt lgkmcnt(1)
	v_dot4c_i32_i8 v204, v231, v2
	v_dot4c_i32_i8 v247, v234, v2
	;; [unrolled: 1-line block ×32, first 2 shown]
	ds_read_b128 v[2:5], v160 offset:5120
	ds_read_b128 v[214:217], v160 offset:5136
	v_dot4c_i32_i8 v30, v232, v182
	v_dot4c_i32_i8 v27, v235, v182
	;; [unrolled: 1-line block ×8, first 2 shown]
	v_mov_b32_e32 v32, 0
	v_mov_b32_e32 v174, 0
	;; [unrolled: 1-line block ×8, first 2 shown]
	v_dot4c_i32_i8 v30, v233, v183
	v_dot4c_i32_i8 v27, v236, v183
	;; [unrolled: 1-line block ×24, first 2 shown]
	v_mov_b32_e32 v248, 0
	v_mov_b32_e32 v249, 0
	;; [unrolled: 1-line block ×8, first 2 shown]
	s_waitcnt lgkmcnt(1)
	v_dot4c_i32_i8 v248, v231, v2
	v_dot4c_i32_i8 v249, v234, v2
	;; [unrolled: 1-line block ×32, first 2 shown]
	ds_read_b128 v[2:5], v160 offset:6144
	ds_read_b128 v[218:221], v160 offset:6160
	v_dot4c_i32_i8 v32, v232, v186
	v_dot4c_i32_i8 v201, v235, v186
	;; [unrolled: 1-line block ×24, first 2 shown]
	v_mov_b32_e32 v251, 0
	v_mov_b32_e32 v252, 0
	;; [unrolled: 1-line block ×8, first 2 shown]
	s_waitcnt lgkmcnt(1)
	v_dot4c_i32_i8 v251, v231, v2
	v_dot4c_i32_i8 v252, v234, v2
	;; [unrolled: 1-line block ×32, first 2 shown]
	ds_read_b128 v[194:197], v160 offset:7168
	ds_read_b128 v[2:5], v160 offset:7184
	v_mov_b32_e32 v255, 0
	v_mov_b32_e32 v47, 0
	v_ashrrev_i32_e32 v222, s1, v222
	v_ashrrev_i32_e32 v226, s1, v226
	;; [unrolled: 1-line block ×5, first 2 shown]
	v_and_b32_e32 v222, 0x3030303, v222
	v_and_b32_e32 v226, 0x3030303, v226
	v_ashrrev_i32_e32 v228, s1, v228
	v_and_b32_e32 v223, 0x3030303, v223
	v_and_b32_e32 v227, 0x3030303, v227
	v_ashrrev_i32_e32 v225, s1, v225
	v_ashrrev_i32_e32 v229, s1, v229
	v_and_b32_e32 v224, 0x3030303, v224
	v_and_b32_e32 v228, 0x3030303, v228
	v_mov_b32_e32 v80, 0
	v_and_b32_e32 v225, 0x3030303, v225
	s_waitcnt lgkmcnt(1)
	v_dot4c_i32_i8 v255, v231, v194
	v_mov_b32_e32 v231, 0
	v_dot4c_i32_i8 v47, v239, v194
	v_and_b32_e32 v229, 0x3030303, v229
	v_mov_b32_e32 v1, 0
	v_dot4c_i32_i8 v255, v232, v195
	v_dot4c_i32_i8 v231, v234, v194
	v_mov_b32_e32 v234, 0
	v_dot4c_i32_i8 v47, v240, v195
	v_dot4c_i32_i8 v80, v226, v6
	;; [unrolled: 1-line block ×5, first 2 shown]
	v_mov_b32_e32 v192, 0
	v_dot4c_i32_i8 v47, v241, v196
	v_dot4c_i32_i8 v255, v190, v197
	v_dot4c_i32_i8 v231, v236, v196
	v_dot4c_i32_i8 v234, v193, v195
	v_mov_b32_e32 v190, 0
	v_mov_b32_e32 v193, 0
	v_dot4c_i32_i8 v192, v245, v194
	v_dot4c_i32_i8 v231, v191, v197
	v_mov_b32_e32 v191, 0
	v_dot4c_i32_i8 v190, v243, v194
	v_dot4c_i32_i8 v193, v246, v194
	;; [unrolled: 1-line block ×8, first 2 shown]
	v_add_nc_u32_e32 v194, 0x1090, v230
	v_dot4c_i32_i8 v191, v244, v195
	v_dot4c_i32_i8 v190, v243, v196
	;; [unrolled: 1-line block ×6, first 2 shown]
	v_add_nc_u32_e32 v196, 0x1098, v230
	v_dot4c_i32_i8 v190, v243, v197
	v_dot4c_i32_i8 v192, v245, v197
	;; [unrolled: 1-line block ×4, first 2 shown]
	ds_read2_b32 v[194:195], v194 offset1:1
	ds_read2_b32 v[196:197], v196 offset1:1
	v_mov_b32_e32 v243, 0
	v_mov_b32_e32 v244, 0
	;; [unrolled: 1-line block ×4, first 2 shown]
	v_dot4c_i32_i8 v80, v227, v7
	v_mov_b32_e32 v81, 0
	v_dot4c_i32_i8 v244, v226, v206
	v_mov_b32_e32 v82, 0
	v_mov_b32_e32 v83, 0
	v_dot4c_i32_i8 v80, v228, v8
	v_dot4c_i32_i8 v81, v226, v210
	;; [unrolled: 1-line block ×3, first 2 shown]
	v_mov_b32_e32 v85, 0
	v_mov_b32_e32 v86, 0
	v_dot4c_i32_i8 v80, v229, v9
	v_dot4c_i32_i8 v81, v227, v211
	;; [unrolled: 1-line block ×4, first 2 shown]
	s_waitcnt lgkmcnt(1)
	v_ashrrev_i32_e32 v232, s1, v194
	v_add_nc_u32_e32 v194, 0x3190, v230
	s_waitcnt lgkmcnt(0)
	v_ashrrev_i32_e32 v235, s1, v196
	v_add_nc_u32_e32 v196, 0x3198, v230
	v_ashrrev_i32_e32 v233, s1, v195
	v_ashrrev_i32_e32 v236, s1, v197
	ds_read2_b32 v[194:195], v194 offset1:1
	ds_read2_b32 v[196:197], v196 offset1:1
	v_mov_b32_e32 v230, 0
	v_and_b32_e32 v232, 0x3030303, v232
	v_and_b32_e32 v233, 0x3030303, v233
	;; [unrolled: 1-line block ×4, first 2 shown]
	v_dot4c_i32_i8 v230, v222, v206
	v_dot4c_i32_i8 v243, v232, v206
	;; [unrolled: 1-line block ×12, first 2 shown]
	v_mov_b32_e32 v87, 0
	s_waitcnt lgkmcnt(1)
	v_ashrrev_i32_e32 v194, s1, v194
	s_waitcnt lgkmcnt(0)
	v_ashrrev_i32_e32 v196, s1, v196
	v_ashrrev_i32_e32 v195, s1, v195
	;; [unrolled: 1-line block ×3, first 2 shown]
	v_dot4c_i32_i8 v230, v225, v209
	v_and_b32_e32 v237, 0x3030303, v194
	v_and_b32_e32 v239, 0x3030303, v196
	v_and_b32_sdwa v196, v157, v31 dst_sel:DWORD dst_unused:UNUSED_PAD src0_sel:DWORD src1_sel:BYTE_1
	v_and_b32_e32 v238, 0x3030303, v195
	v_and_b32_sdwa v194, v157, v198 dst_sel:DWORD dst_unused:UNUSED_PAD src0_sel:DWORD src1_sel:BYTE_1
	v_and_b32_sdwa v195, v157, v33 dst_sel:DWORD dst_unused:UNUSED_PAD src0_sel:DWORD src1_sel:BYTE_1
	v_and_b32_e32 v240, 0x3030303, v197
	v_lshrrev_b32_e32 v241, 4, v196
	v_and_b32_sdwa v196, v157, v36 dst_sel:DWORD dst_unused:UNUSED_PAD src0_sel:DWORD src1_sel:BYTE_1
	v_lshrrev_b32_e32 v194, 4, v194
	v_lshrrev_b32_e32 v195, 4, v195
	v_dot4c_i32_i8 v245, v237, v206
	v_dot4c_i32_i8 v246, v237, v14
	v_lshrrev_b32_e32 v242, 4, v196
	v_mul_lo_u32 v197, 0x1010101, v194
	v_mul_lo_u32 v196, 0x1010101, v195
	v_mul_lo_u32 v195, 0x1010101, v241
	v_mov_b32_e32 v241, 0
	v_mul_lo_u32 v194, 0x1010101, v242
	v_mov_b32_e32 v242, 0
	v_dot4c_i32_i8 v246, v238, v15
	v_dot4c_i32_i8 v1, v237, v6
	;; [unrolled: 1-line block ×7, first 2 shown]
	v_mov_b32_e32 v206, 0
	v_dot4c_i32_i8 v242, v226, v14
	v_dot4c_i32_i8 v163, v197, v14
	;; [unrolled: 1-line block ×29, first 2 shown]
	v_mov_b32_e32 v14, 0
	v_mov_b32_e32 v15, 0
	;; [unrolled: 1-line block ×4, first 2 shown]
	v_dot4c_i32_i8 v170, v197, v10
	v_dot4c_i32_i8 v14, v222, v10
	;; [unrolled: 1-line block ×16, first 2 shown]
	v_mov_b32_e32 v10, 0
	v_mov_b32_e32 v11, 0
	v_dot4c_i32_i8 v174, v197, v6
	v_dot4c_i32_i8 v175, v196, v6
	;; [unrolled: 1-line block ×35, first 2 shown]
	v_mov_b32_e32 v9, 0
	v_mov_b32_e32 v12, 0
	v_dot4c_i32_i8 v82, v237, v210
	v_dot4c_i32_i8 v178, v197, v210
	;; [unrolled: 1-line block ×7, first 2 shown]
	v_and_b32_e32 v6, 15, v198
	v_dot4c_i32_i8 v9, v223, v211
	v_dot4c_i32_i8 v12, v233, v211
	;; [unrolled: 1-line block ×7, first 2 shown]
	v_and_b32_sdwa v7, v198, v158 dst_sel:DWORD dst_unused:UNUSED_PAD src0_sel:BYTE_1 src1_sel:DWORD
	v_and_b32_e32 v198, 0xffff, v6
	v_dot4c_i32_i8 v9, v224, v212
	v_dot4c_i32_i8 v12, v235, v212
	;; [unrolled: 1-line block ×7, first 2 shown]
	v_mul_lo_u32 v6, v198, v28
	v_dot4c_i32_i8 v9, v225, v213
	v_dot4c_i32_i8 v12, v236, v213
	;; [unrolled: 1-line block ×7, first 2 shown]
	v_and_b32_e32 v213, 0xffff, v7
	v_dot4c_i32_i8 v14, v225, v13
	v_dot4c_i32_i8 v15, v236, v13
	;; [unrolled: 1-line block ×4, first 2 shown]
	v_mad_u64_u32 v[6:7], null, v213, v230, v[6:7]
	v_mul_lo_u32 v7, v29, v198
	v_dot4c_i32_i8 v170, v197, v13
	v_dot4c_i32_i8 v171, v196, v13
	;; [unrolled: 1-line block ×4, first 2 shown]
	v_mov_b32_e32 v13, 0
	v_dot4c_i32_i8 v245, v238, v207
	v_dot4c_i32_i8 v162, v197, v207
	v_mad_u64_u32 v[7:8], null, v206, v213, v[7:8]
	v_mul_lo_u32 v8, v30, v198
	v_dot4c_i32_i8 v164, v196, v207
	v_dot4c_i32_i8 v166, v195, v207
	;; [unrolled: 1-line block ×4, first 2 shown]
	v_mov_b32_e32 v211, 0
	v_dot4c_i32_i8 v245, v239, v208
	v_dot4c_i32_i8 v162, v197, v208
	v_mad_u64_u32 v[206:207], null, v14, v213, v[8:9]
	v_mul_lo_u32 v8, v32, v198
	v_dot4c_i32_i8 v164, v196, v208
	v_dot4c_i32_i8 v166, v195, v208
	;; [unrolled: 1-line block ×5, first 2 shown]
	v_mov_b32_e32 v212, 0
	v_dot4c_i32_i8 v243, v236, v209
	v_mad_u64_u32 v[207:208], null, v10, v213, v[8:9]
	v_mul_lo_u32 v8, v204, v198
	v_dot4c_i32_i8 v13, v224, v216
	v_dot4c_i32_i8 v245, v240, v209
	v_dot4c_i32_i8 v162, v197, v209
	v_dot4c_i32_i8 v164, v196, v209
	v_dot4c_i32_i8 v166, v195, v209
	v_dot4c_i32_i8 v168, v194, v209
	v_dot4c_i32_i8 v211, v223, v219
	v_mad_u64_u32 v[208:209], null, v9, v213, v[8:9]
	v_mul_lo_u32 v8, v248, v198
	v_dot4c_i32_i8 v13, v225, v217
	v_dot4c_i32_i8 v212, v222, v2
	;; [unrolled: 1-line block ×3, first 2 shown]
	v_and_b32_sdwa v10, v33, v158 dst_sel:DWORD dst_unused:UNUSED_PAD src0_sel:BYTE_1 src1_sel:DWORD
	v_dot4c_i32_i8 v86, v237, v214
	v_dot4c_i32_i8 v182, v197, v214
	;; [unrolled: 1-line block ×3, first 2 shown]
	v_mad_u64_u32 v[209:210], null, v13, v213, v[8:9]
	v_mul_lo_u32 v8, v251, v198
	v_dot4c_i32_i8 v211, v225, v221
	v_dot4c_i32_i8 v212, v224, v4
	v_and_b32_e32 v10, 0xffff, v10
	v_dot4c_i32_i8 v183, v196, v214
	v_dot4c_i32_i8 v184, v195, v214
	;; [unrolled: 1-line block ×4, first 2 shown]
	v_mad_u64_u32 v[210:211], null, v211, v213, v[8:9]
	v_mul_lo_u32 v8, v255, v198
	v_dot4c_i32_i8 v86, v238, v215
	v_dot4c_i32_i8 v182, v197, v215
	v_dot4c_i32_i8 v183, v196, v215
	v_dot4c_i32_i8 v184, v195, v215
	v_dot4c_i32_i8 v185, v194, v215
	v_dot4c_i32_i8 v83, v235, v216
	v_dot4c_i32_i8 v85, v228, v216
	v_mad_u64_u32 v[211:212], null, v212, v213, v[8:9]
	v_mov_b32_e32 v9, 0
	v_and_b32_e32 v8, 15, v33
	v_dot4c_i32_i8 v86, v239, v216
	v_dot4c_i32_i8 v182, v197, v216
	;; [unrolled: 1-line block ×4, first 2 shown]
	v_and_b32_e32 v14, 0xffff, v8
	v_dot4c_i32_i8 v184, v195, v216
	v_dot4c_i32_i8 v185, v194, v216
	v_mov_b32_e32 v216, 0
	v_dot4c_i32_i8 v9, v233, v3
	v_mul_lo_u32 v8, v14, v21
	v_dot4c_i32_i8 v83, v236, v217
	v_dot4c_i32_i8 v85, v229, v217
	;; [unrolled: 1-line block ×13, first 2 shown]
	v_mad_u64_u32 v[212:213], null, v10, v243, v[8:9]
	v_mul_lo_u32 v8, v22, v14
	v_dot4c_i32_i8 v87, v227, v219
	v_dot4c_i32_i8 v216, v236, v221
	v_mov_b32_e32 v88, 0
	v_dot4c_i32_i8 v186, v197, v218
	v_dot4c_i32_i8 v187, v196, v218
	;; [unrolled: 1-line block ×4, first 2 shown]
	v_mad_u64_u32 v[213:214], null, v241, v10, v[8:9]
	v_mul_lo_u32 v8, v27, v14
	v_dot4c_i32_i8 v87, v229, v221
	v_dot4c_i32_i8 v88, v237, v218
	;; [unrolled: 1-line block ×3, first 2 shown]
	s_lshr_b32 s14, s1, 2
	v_dot4c_i32_i8 v190, v197, v2
	s_and_b32 s14, s14, 0x3ffffffc
	v_dot4c_i32_i8 v88, v238, v219
	v_mad_u64_u32 v[214:215], null, v15, v10, v[8:9]
	v_mul_lo_u32 v8, v201, v14
	s_addk_i32 s14, 0x7280
	v_dot4c_i32_i8 v88, v239, v220
	v_cvt_f32_i32_e32 v204, v213
	v_dot4c_i32_i8 v191, v196, v2
	v_dot4c_i32_i8 v192, v195, v2
	;; [unrolled: 1-line block ×4, first 2 shown]
	v_mad_u64_u32 v[29:30], null, v11, v10, v[8:9]
	v_mul_lo_u32 v8, v247, v14
	v_and_b32_sdwa v11, v31, v158 dst_sel:DWORD dst_unused:UNUSED_PAD src0_sel:BYTE_1 src1_sel:DWORD
	v_dot4c_i32_i8 v186, v197, v219
	v_dot4c_i32_i8 v187, v196, v219
	;; [unrolled: 1-line block ×4, first 2 shown]
	v_and_b32_e32 v11, 0xffff, v11
	v_dot4c_i32_i8 v190, v197, v3
	v_mad_u64_u32 v[27:28], null, v12, v10, v[8:9]
	v_mul_lo_u32 v8, v249, v14
	v_dot4c_i32_i8 v191, v196, v3
	v_dot4c_i32_i8 v192, v195, v3
	;; [unrolled: 1-line block ×7, first 2 shown]
	v_mad_u64_u32 v[21:22], null, v83, v10, v[8:9]
	v_mul_lo_u32 v8, v252, v14
	v_dot4c_i32_i8 v190, v197, v4
	v_dot4c_i32_i8 v191, v196, v4
	;; [unrolled: 1-line block ×7, first 2 shown]
	v_mad_u64_u32 v[12:13], null, v216, v10, v[8:9]
	v_mul_lo_u32 v8, v231, v14
	v_dot4c_i32_i8 v189, v194, v221
	v_dot4c_i32_i8 v190, v197, v5
	;; [unrolled: 1-line block ×5, first 2 shown]
	v_cvt_f32_i32_e32 v83, v171
	v_cvt_f32_i32_e32 v171, v185
	v_mad_u64_u32 v[8:9], null, v9, v10, v[8:9]
	v_mov_b32_e32 v10, 0
	v_and_b32_e32 v9, 15, v31
	v_cvt_f32_i32_e32 v21, v21
	v_cvt_f32_i32_e32 v12, v12
	v_add_nc_u32_e32 v160, 32, v160
	v_dot4c_i32_i8 v10, v226, v2
	v_and_b32_e32 v15, 0xffff, v9
	v_dot4c_i32_i8 v10, v227, v3
	v_mul_lo_u32 v9, v15, v23
	v_dot4c_i32_i8 v10, v228, v4
	v_dot4c_i32_i8 v10, v229, v5
	v_mad_u64_u32 v[215:216], null, v11, v244, v[9:10]
	v_mul_lo_u32 v9, v24, v15
	v_mad_u64_u32 v[216:217], null, v242, v11, v[9:10]
	v_mul_lo_u32 v9, v25, v15
	v_cvt_f32_i32_e32 v201, v216
	v_mad_u64_u32 v[32:33], null, v16, v11, v[9:10]
	v_mul_lo_u32 v9, v199, v15
	v_mad_u64_u32 v[30:31], null, v80, v11, v[9:10]
	v_mul_lo_u32 v9, v203, v15
	v_add3_u32 v80, s14, v153, v154
	v_cvt_f32_i32_e32 v203, v7
	v_cvt_f32_i32_e32 v30, v30
	v_mad_u64_u32 v[24:25], null, v81, v11, v[9:10]
	v_mul_lo_u32 v9, v250, v15
	v_add3_u32 v81, s14, v155, v156
	v_cvt_f32_i32_e32 v24, v24
	v_mad_u64_u32 v[22:23], null, v85, v11, v[9:10]
	v_mul_lo_u32 v9, v253, v15
	v_cvt_f32_i32_e32 v85, v172
	v_cvt_f32_i32_e32 v172, v186
	;; [unrolled: 1-line block ×3, first 2 shown]
	v_mad_u64_u32 v[13:14], null, v87, v11, v[9:10]
	v_mul_lo_u32 v9, v234, v15
	v_and_b32_sdwa v14, v36, v158 dst_sel:DWORD dst_unused:UNUSED_PAD src0_sel:BYTE_1 src1_sel:DWORD
	v_cvt_f32_i32_e32 v87, v174
	v_cvt_f32_i32_e32 v174, v188
	v_and_b32_e32 v28, 0xffff, v14
	v_cvt_f32_i32_e32 v13, v13
	v_mad_u64_u32 v[9:10], null, v10, v11, v[9:10]
	v_mov_b32_e32 v11, 0
	v_and_b32_e32 v10, 15, v36
	v_dot4c_i32_i8 v11, v237, v2
	v_and_b32_e32 v23, 0xffff, v10
	v_cvt_f32_i32_e32 v2, v9
	v_cvt_f32_i32_e32 v9, v165
	;; [unrolled: 1-line block ×3, first 2 shown]
	v_dot4c_i32_i8 v11, v238, v3
	v_mul_lo_u32 v10, v23, v26
	v_cvt_f32_i32_e32 v179, v193
	v_dot4c_i32_i8 v11, v239, v4
	v_cvt_f32_i32_e32 v4, v162
	v_cvt_f32_i32_e32 v162, v176
	;; [unrolled: 1-line block ×3, first 2 shown]
	v_dot4c_i32_i8 v11, v240, v5
	v_cvt_f32_i32_e32 v5, v163
	v_cvt_f32_i32_e32 v163, v177
	;; [unrolled: 1-line block ×3, first 2 shown]
	v_mad_u64_u32 v[198:199], null, v28, v245, v[10:11]
	v_mul_lo_u32 v10, v34, v23
	v_mad_u64_u32 v[217:218], null, v246, v28, v[10:11]
	v_mul_lo_u32 v10, v35, v23
	v_cvt_f32_i32_e32 v199, v217
	v_mad_u64_u32 v[35:36], null, v17, v28, v[10:11]
	v_mul_lo_u32 v10, v200, v23
	v_cvt_f32_i32_e32 v36, v206
	v_cvt_f32_i32_e32 v206, v212
	;; [unrolled: 1-line block ×5, first 2 shown]
	v_mad_u64_u32 v[33:34], null, v1, v28, v[10:11]
	v_mul_lo_u32 v10, v202, v23
	v_add3_u32 v1, s14, v149, v150
	v_cvt_f32_i32_e32 v34, v207
	v_cvt_f32_i32_e32 v207, v32
	ds_read2_b32 v[31:32], v161 offset0:64 offset1:96
	v_cvt_f32_i32_e32 v202, v215
	v_mad_u64_u32 v[25:26], null, v82, v28, v[10:11]
	v_mul_lo_u32 v10, v205, v23
	v_cvt_f32_i32_e32 v205, v6
	ds_read2_b32 v[6:7], v161 offset1:32
	v_cvt_f32_i32_e32 v82, v170
	v_cvt_f32_i32_e32 v170, v184
	;; [unrolled: 1-line block ×3, first 2 shown]
	v_mad_u64_u32 v[16:17], null, v86, v28, v[10:11]
	v_mul_lo_u32 v10, v254, v23
	v_cvt_f32_i32_e32 v17, v209
	v_cvt_f32_i32_e32 v209, v33
	;; [unrolled: 1-line block ×3, first 2 shown]
	ds_read2_b32 v[26:27], v161 offset0:192 offset1:224
	v_cvt_f32_i32_e32 v86, v173
	v_cvt_f32_i32_e32 v173, v187
	;; [unrolled: 1-line block ×3, first 2 shown]
	v_mad_u64_u32 v[14:15], null, v88, v28, v[10:11]
	v_mul_lo_u32 v10, v47, v23
	v_add3_u32 v47, s14, v151, v152
	v_cvt_f32_i32_e32 v23, v208
	v_cvt_f32_i32_e32 v15, v210
	v_cvt_f32_i32_e32 v208, v29
	v_cvt_f32_i32_e32 v88, v175
	v_cvt_f32_i32_e32 v175, v189
	v_cvt_f32_i32_e32 v14, v14
	v_mad_u64_u32 v[10:11], null, v11, v28, v[10:11]
	v_cvt_f32_i32_e32 v11, v211
	ds_read2_b32 v[28:29], v161 offset0:128 offset1:160
	ds_read_b32 v210, v1
	ds_read_b32 v211, v47
	ds_read_b32 v212, v80
	ds_read_b32 v213, v81
	v_cvt_f32_i32_e32 v1, v8
	v_cvt_f32_i32_e32 v8, v164
	;; [unrolled: 1-line block ×13, first 2 shown]
	v_add_nc_u32_e32 v161, 4, v161
	s_add_i32 s14, s1, 2
	s_cmp_lt_u32 s1, 6
	s_waitcnt lgkmcnt(3)
	v_cvt_f32_f16_sdwa v214, v210 dst_sel:DWORD dst_unused:UNUSED_PAD src0_sel:WORD_1
	s_waitcnt lgkmcnt(2)
	v_cvt_f32_f16_sdwa v215, v211 dst_sel:DWORD dst_unused:UNUSED_PAD src0_sel:WORD_1
	;; [unrolled: 2-line block ×4, first 2 shown]
	s_mov_b32 s1, s14
	v_mul_f32_e32 v4, v214, v4
	v_mul_f32_e32 v5, v214, v5
	;; [unrolled: 1-line block ×32, first 2 shown]
	v_fma_mix_f32 v4, v210, v205, -v4 op_sel_hi:[1,0,0]
	v_fma_mix_f32 v5, v210, v203, -v5 op_sel_hi:[1,0,0]
	;; [unrolled: 1-line block ×32, first 2 shown]
	v_fmac_f32_e32 v120, v6, v4
	v_fmac_f32_e32 v92, v7, v5
	v_fmac_f32_e32 v112, v6, v8
	v_fmac_f32_e32 v77, v7, v9
	v_fmac_f32_e32 v109, v6, v10
	v_fmac_f32_e32 v71, v7, v47
	v_fmac_f32_e32 v104, v6, v80
	v_fmac_f32_e32 v67, v7, v81
	v_fmac_f32_e32 v65, v31, v36
	v_fmac_f32_e32 v63, v31, v82
	v_fmac_f32_e32 v62, v31, v83
	v_fmac_f32_e32 v61, v31, v35
	v_fmac_f32_e32 v59, v32, v34
	v_fmac_f32_e32 v57, v32, v85
	v_fmac_f32_e32 v56, v32, v30
	v_fmac_f32_e32 v55, v32, v86
	v_fmac_f32_e32 v53, v28, v23
	v_fmac_f32_e32 v52, v28, v33
	v_fmac_f32_e32 v51, v28, v24
	v_fmac_f32_e32 v50, v28, v25
	v_fmac_f32_e32 v49, v29, v17
	v_fmac_f32_e32 v48, v29, v21
	v_fmac_f32_e32 v46, v29, v22
	v_fmac_f32_e32 v45, v29, v16
	v_fmac_f32_e32 v44, v26, v15
	v_fmac_f32_e32 v43, v26, v12
	v_fmac_f32_e32 v42, v26, v13
	v_fmac_f32_e32 v41, v26, v14
	v_fmac_f32_e32 v40, v27, v11
	v_fmac_f32_e32 v39, v27, v1
	v_fmac_f32_e32 v38, v27, v2
	v_fmac_f32_e32 v37, v27, v3
	s_cbranch_scc1 .LBB127_7
; %bb.8:                                ;   in Loop: Header=BB127_6 Depth=1
	v_add_nc_u32_e32 v1, s0, v123
	v_add_nc_u32_e32 v12, 4, v159
	s_barrier
	buffer_gl0_inv
	v_add_nc_u32_e32 v2, v1, v114
	v_add_nc_u32_e32 v4, v1, v115
	;; [unrolled: 1-line block ×5, first 2 shown]
	v_mad_u64_u32 v[12:13], null, v12, 36, s[2:3]
	v_mad_i64_i32 v[2:3], null, v2, 36, v[19:20]
	v_add_nc_u32_e32 v14, v1, v119
	v_mad_i64_i32 v[4:5], null, v4, 36, v[19:20]
	v_add_nc_u32_e32 v16, v1, v121
	v_mad_i64_i32 v[6:7], null, v6, 36, v[19:20]
	v_add_nc_u32_e32 v1, v1, v122
	v_mad_i64_i32 v[8:9], null, v8, 36, v[19:20]
	v_mad_i64_i32 v[10:11], null, v10, 36, v[19:20]
	;; [unrolled: 1-line block ×5, first 2 shown]
	s_clause 0x8
	global_load_dword v1, v[12:13], off
	global_load_dword v12, v[2:3], off offset:4
	global_load_dword v4, v[4:5], off offset:4
	;; [unrolled: 1-line block ×8, first 2 shown]
	v_mov_b32_e32 v2, v132
	v_mov_b32_e32 v3, v127
	s_mov_b32 s1, 8
	s_waitcnt vmcnt(8)
	v_cvt_f32_f16_e32 v1, v1
	s_waitcnt vmcnt(7)
	ds_write_b32 v141, v12
	s_waitcnt vmcnt(6)
	ds_write_b32 v142, v4
	;; [unrolled: 2-line block ×8, first 2 shown]
	ds_write_b32 v113, v1
	s_waitcnt lgkmcnt(0)
	s_barrier
	buffer_gl0_inv
.LBB127_9:                              ;   Parent Loop BB127_6 Depth=1
                                        ; =>  This Inner Loop Header: Depth=2
	s_and_b32 s15, s1, 0x3ffffff8
	s_add_i32 s14, s1, -8
	v_lshl_add_u32 v1, s15, 2, v126
	s_and_b32 s15, s1, -16
	v_mov_b32_e32 v208, 0
	s_add_i32 s15, s1, s15
	v_mov_b32_e32 v210, 0
	ds_read2_b32 v[4:5], v1 offset1:1
	v_add_nc_u32_e32 v10, s15, v128
	v_mov_b32_e32 v211, 0
	v_mov_b32_e32 v212, 0
	;; [unrolled: 1-line block ×18, first 2 shown]
	s_waitcnt lgkmcnt(0)
	v_ashrrev_i32_e32 v6, s14, v4
	v_ashrrev_i32_e32 v7, s14, v5
	ds_read2_b32 v[4:5], v1 offset0:2 offset1:3
	v_mov_b32_e32 v174, 0
	v_mov_b32_e32 v35, 0
	v_and_b32_e32 v28, 0x3030303, v6
	v_and_b32_e32 v47, 0x3030303, v7
	v_mov_b32_e32 v7, 0
	v_mov_b32_e32 v175, 0
	;; [unrolled: 1-line block ×3, first 2 shown]
	ds_read_b128 v[166:169], v2 offset:4096
	ds_read_b128 v[180:183], v2 offset:5120
	v_mov_b32_e32 v27, 0
	v_mov_b32_e32 v164, 0
	;; [unrolled: 1-line block ×10, first 2 shown]
	s_waitcnt lgkmcnt(2)
	v_ashrrev_i32_e32 v8, s14, v4
	v_add_nc_u32_e32 v4, 0x1080, v1
	v_ashrrev_i32_e32 v9, s14, v5
	ds_read_u16 v205, v10 offset:25088
	v_add_nc_u32_e32 v10, s15, v129
	v_and_b32_e32 v80, 0x3030303, v8
	ds_read2_b32 v[4:5], v4 offset1:1
	v_and_b32_e32 v81, 0x3030303, v9
	v_mov_b32_e32 v237, 0
	s_waitcnt lgkmcnt(2)
	v_dot4c_i32_i8 v177, v28, v180
	v_mov_b32_e32 v238, 0
	v_mov_b32_e32 v239, 0
	v_mov_b32_e32 v240, 0
	v_mov_b32_e32 v241, 0
	v_dot4c_i32_i8 v177, v47, v181
	v_mov_b32_e32 v242, 0
	v_mov_b32_e32 v243, 0
	;; [unrolled: 1-line block ×4, first 2 shown]
	v_dot4c_i32_i8 v177, v80, v182
	v_mov_b32_e32 v197, 0
	v_mov_b32_e32 v198, 0
	;; [unrolled: 1-line block ×3, first 2 shown]
	s_waitcnt lgkmcnt(1)
	v_bfe_u32 v6, v205, 4, 4
	v_dot4c_i32_i8 v177, v81, v183
	v_mov_b32_e32 v204, 0
	s_waitcnt lgkmcnt(0)
	v_ashrrev_i32_e32 v12, s14, v4
	v_add_nc_u32_e32 v4, 0x1088, v1
	v_ashrrev_i32_e32 v13, s14, v5
	ds_read_u16 v207, v10 offset:26112
	v_add_nc_u32_e32 v10, s15, v130
	v_mul_lo_u32 v82, 0x1010101, v6
	ds_read2_b32 v[4:5], v4 offset1:1
	v_and_b32_e32 v87, 0x3030303, v12
	v_and_b32_e32 v88, 0x3030303, v13
	v_mov_b32_e32 v12, 0
	v_mov_b32_e32 v13, 0
	;; [unrolled: 1-line block ×3, first 2 shown]
	v_dot4c_i32_i8 v176, v87, v180
	v_dot4c_i32_i8 v27, v82, v166
	v_mov_b32_e32 v202, 0
	v_mov_b32_e32 v203, 0
	;; [unrolled: 1-line block ×3, first 2 shown]
	v_dot4c_i32_i8 v176, v88, v181
	v_dot4c_i32_i8 v27, v82, v167
	ds_read_u16 v209, v10 offset:27136
	v_add_nc_u32_e32 v10, s15, v131
	ds_read_b128 v[30:33], v2 offset:2048
	ds_read_b128 v[160:163], v2 offset:3072
	s_waitcnt lgkmcnt(4)
	v_bfe_u32 v6, v207, 4, 4
	v_dot4c_i32_i8 v27, v82, v168
	ds_read_u16 v200, v10 offset:28160
	s_waitcnt lgkmcnt(4)
	v_ashrrev_i32_e32 v14, s14, v4
	v_add_nc_u32_e32 v4, 0x2100, v1
	v_ashrrev_i32_e32 v15, s14, v5
	ds_read_b128 v[8:11], v2
	v_mul_lo_u32 v83, 0x1010101, v6
	v_and_b32_e32 v14, 0x3030303, v14
	ds_read2_b32 v[4:5], v4 offset1:1
	v_and_b32_e32 v184, 0x3030303, v15
	v_mov_b32_e32 v15, 0
	v_dot4c_i32_i8 v27, v82, v169
	v_dot4c_i32_i8 v176, v14, v182
	ds_read_b128 v[223:226], v2 offset:6160
	s_waitcnt lgkmcnt(6)
	v_bfe_u32 v6, v209, 4, 4
	s_waitcnt lgkmcnt(5)
	v_dot4c_i32_i8 v25, v87, v30
	s_waitcnt lgkmcnt(4)
	v_dot4c_i32_i8 v173, v28, v160
	v_dot4c_i32_i8 v171, v87, v160
	v_mul_lo_u32 v85, 0x1010101, v6
	s_waitcnt lgkmcnt(3)
	v_bfe_u32 v6, v200, 4, 4
	v_dot4c_i32_i8 v25, v88, v31
	v_dot4c_i32_i8 v34, v83, v160
	;; [unrolled: 1-line block ×3, first 2 shown]
	s_waitcnt lgkmcnt(2)
	v_dot4c_i32_i8 v208, v28, v8
	v_mul_lo_u32 v86, 0x1010101, v6
	v_dot4c_i32_i8 v210, v87, v8
	s_waitcnt lgkmcnt(1)
	v_ashrrev_i32_e32 v16, s14, v4
	v_add_nc_u32_e32 v4, 0x2108, v1
	v_ashrrev_i32_e32 v17, s14, v5
	v_dot4c_i32_i8 v217, v82, v8
	v_dot4c_i32_i8 v216, v83, v8
	v_and_b32_e32 v185, 0x3030303, v16
	ds_read2_b32 v[4:5], v4 offset1:1
	v_and_b32_e32 v186, 0x3030303, v17
	v_dot4c_i32_i8 v214, v85, v8
	v_dot4c_i32_i8 v7, v86, v8
	v_dot4c_i32_i8 v211, v185, v8
	v_dot4c_i32_i8 v208, v47, v9
	v_dot4c_i32_i8 v210, v88, v9
	v_dot4c_i32_i8 v217, v82, v9
	v_dot4c_i32_i8 v216, v83, v9
	v_dot4c_i32_i8 v211, v186, v9
	v_dot4c_i32_i8 v214, v85, v9
	v_dot4c_i32_i8 v7, v86, v9
	v_dot4c_i32_i8 v208, v80, v10
	v_dot4c_i32_i8 v210, v14, v10
	v_dot4c_i32_i8 v217, v82, v10
	v_dot4c_i32_i8 v216, v83, v10
	v_dot4c_i32_i8 v214, v85, v10
	v_dot4c_i32_i8 v7, v86, v10
	v_dot4c_i32_i8 v208, v81, v11
	v_dot4c_i32_i8 v210, v184, v11
	s_waitcnt lgkmcnt(0)
	v_ashrrev_i32_e32 v21, s14, v4
	v_add_nc_u32_e32 v4, 0x3180, v1
	v_ashrrev_i32_e32 v22, s14, v5
	v_dot4c_i32_i8 v217, v82, v11
	v_dot4c_i32_i8 v216, v83, v11
	v_and_b32_e32 v187, 0x3030303, v21
	ds_read2_b32 v[4:5], v4 offset1:1
	v_and_b32_e32 v188, 0x3030303, v22
	v_dot4c_i32_i8 v214, v85, v11
	v_dot4c_i32_i8 v7, v86, v11
	;; [unrolled: 1-line block ×18, first 2 shown]
	s_waitcnt lgkmcnt(0)
	v_ashrrev_i32_e32 v23, s14, v4
	v_add_nc_u32_e32 v4, 0x3188, v1
	v_ashrrev_i32_e32 v24, s14, v5
	v_dot4c_i32_i8 v34, v83, v161
	v_dot4c_i32_i8 v174, v186, v161
	v_and_b32_e32 v22, 0x3030303, v23
	ds_read2_b32 v[4:5], v4 offset1:1
	v_and_b32_e32 v189, 0x3030303, v24
	v_mov_b32_e32 v24, 0
	v_dot4c_i32_i8 v35, v85, v161
	v_dot4c_i32_i8 v212, v22, v8
	v_dot4c_i32_i8 v29, v22, v30
	v_dot4c_i32_i8 v175, v22, v160
	v_dot4c_i32_i8 v24, v28, v30
	v_dot4c_i32_i8 v36, v86, v161
	v_dot4c_i32_i8 v212, v189, v9
	v_dot4c_i32_i8 v29, v189, v31
	v_dot4c_i32_i8 v175, v189, v161
	v_dot4c_i32_i8 v24, v47, v31
	v_dot4c_i32_i8 v173, v80, v162
	v_dot4c_i32_i8 v171, v14, v162
	v_dot4c_i32_i8 v34, v83, v162
	v_dot4c_i32_i8 v174, v187, v162
	v_dot4c_i32_i8 v24, v80, v32
	v_dot4c_i32_i8 v35, v85, v162
	v_dot4c_i32_i8 v36, v86, v162
	s_waitcnt lgkmcnt(0)
	v_ashrrev_i32_e32 v4, s14, v4
	v_ashrrev_i32_e32 v5, s14, v5
	v_dot4c_i32_i8 v24, v81, v33
	v_dot4c_i32_i8 v25, v184, v33
	;; [unrolled: 1-line block ×3, first 2 shown]
	v_and_b32_e32 v190, 0x3030303, v4
	v_and_b32_e32 v191, 0x3030303, v5
	v_dot4c_i32_i8 v12, v85, v33
	v_dot4c_i32_i8 v13, v86, v33
	;; [unrolled: 1-line block ×9, first 2 shown]
	ds_read_b128 v[8:11], v2 offset:1024
	v_dot4c_i32_i8 v29, v191, v33
	v_dot4c_i32_i8 v174, v188, v163
	;; [unrolled: 1-line block ×19, first 2 shown]
	s_waitcnt lgkmcnt(0)
	v_dot4c_i32_i8 v222, v28, v8
	v_dot4c_i32_i8 v219, v82, v8
	v_dot4c_i32_i8 v221, v87, v8
	v_dot4c_i32_i8 v218, v83, v8
	v_dot4c_i32_i8 v220, v185, v8
	v_dot4c_i32_i8 v215, v85, v8
	v_dot4c_i32_i8 v213, v22, v8
	v_dot4c_i32_i8 v15, v86, v8
	v_dot4c_i32_i8 v222, v47, v9
	v_dot4c_i32_i8 v219, v82, v9
	v_dot4c_i32_i8 v221, v88, v9
	v_dot4c_i32_i8 v218, v83, v9
	v_dot4c_i32_i8 v220, v186, v9
	v_dot4c_i32_i8 v215, v85, v9
	v_dot4c_i32_i8 v213, v189, v9
	v_dot4c_i32_i8 v15, v86, v9
	v_dot4c_i32_i8 v222, v80, v10
	v_dot4c_i32_i8 v219, v82, v10
	v_dot4c_i32_i8 v221, v14, v10
	v_dot4c_i32_i8 v218, v83, v10
	v_dot4c_i32_i8 v220, v187, v10
	v_dot4c_i32_i8 v215, v85, v10
	v_dot4c_i32_i8 v213, v190, v10
	v_dot4c_i32_i8 v15, v86, v10
	v_dot4c_i32_i8 v222, v81, v11
	v_dot4c_i32_i8 v219, v82, v11
	v_dot4c_i32_i8 v221, v184, v11
	v_dot4c_i32_i8 v218, v83, v11
	v_dot4c_i32_i8 v220, v188, v11
	v_dot4c_i32_i8 v215, v85, v11
	v_dot4c_i32_i8 v213, v191, v11
	v_dot4c_i32_i8 v15, v86, v11
	v_mov_b32_e32 v10, 0
	v_mov_b32_e32 v11, 0
	v_dot4c_i32_i8 v164, v188, v169
	v_dot4c_i32_i8 v165, v191, v169
	;; [unrolled: 1-line block ×5, first 2 shown]
	v_mov_b32_e32 v30, 0
	v_dot4c_i32_i8 v176, v184, v183
	v_dot4c_i32_i8 v178, v188, v183
	v_dot4c_i32_i8 v10, v82, v31
	v_dot4c_i32_i8 v11, v83, v31
	v_mov_b32_e32 v31, 0
	v_dot4c_i32_i8 v30, v83, v166
	v_dot4c_i32_i8 v179, v191, v183
	v_dot4c_i32_i8 v10, v82, v32
	v_dot4c_i32_i8 v11, v83, v32
	v_mov_b32_e32 v32, 0
	v_dot4c_i32_i8 v31, v85, v166
	v_dot4c_i32_i8 v30, v83, v167
	v_dot4c_i32_i8 v10, v82, v33
	v_dot4c_i32_i8 v11, v83, v33
	v_dot4c_i32_i8 v32, v82, v160
	v_mov_b32_e32 v33, 0
	v_dot4c_i32_i8 v31, v85, v167
	v_dot4c_i32_i8 v30, v83, v168
	v_dot4c_i32_i8 v172, v86, v183
	v_dot4c_i32_i8 v32, v82, v161
	v_mov_b32_e32 v161, 0
	v_dot4c_i32_i8 v33, v86, v166
	v_dot4c_i32_i8 v31, v85, v168
	;; [unrolled: 1-line block ×7, first 2 shown]
	v_mov_b32_e32 v23, 0
	v_dot4c_i32_i8 v32, v82, v163
	v_mov_b32_e32 v163, 0
	v_dot4c_i32_i8 v161, v47, v167
	v_dot4c_i32_i8 v33, v86, v168
	v_mov_b32_e32 v8, 0
	v_mov_b32_e32 v21, 0
	v_dot4c_i32_i8 v163, v87, v166
	v_dot4c_i32_i8 v161, v80, v168
	;; [unrolled: 1-line block ×3, first 2 shown]
	v_mov_b32_e32 v6, 0
	v_mov_b32_e32 v17, 0
	v_dot4c_i32_i8 v163, v88, v167
	v_dot4c_i32_i8 v161, v81, v169
	v_mov_b32_e32 v167, 0
	v_mov_b32_e32 v5, 0
	;; [unrolled: 1-line block ×3, first 2 shown]
	v_dot4c_i32_i8 v163, v14, v168
	v_mov_b32_e32 v168, 0
	v_dot4c_i32_i8 v167, v82, v180
	v_mov_b32_e32 v4, 0
	v_mov_b32_e32 v166, 0
	v_dot4c_i32_i8 v163, v184, v169
	v_mov_b32_e32 v169, 0
	v_dot4c_i32_i8 v168, v83, v180
	v_dot4c_i32_i8 v167, v82, v181
	v_mov_b32_e32 v160, 0
	v_mov_b32_e32 v162, 0
	v_dot4c_i32_i8 v169, v85, v180
	v_dot4c_i32_i8 v168, v83, v181
	;; [unrolled: 1-line block ×3, first 2 shown]
	v_mov_b32_e32 v9, 0
	v_dot4c_i32_i8 v169, v85, v181
	v_dot4c_i32_i8 v168, v83, v182
	;; [unrolled: 1-line block ×6, first 2 shown]
	ds_read_b128 v[180:183], v2 offset:6144
	s_waitcnt lgkmcnt(0)
	v_dot4c_i32_i8 v23, v28, v180
	v_dot4c_i32_i8 v8, v82, v180
	v_dot4c_i32_i8 v21, v87, v180
	v_dot4c_i32_i8 v6, v83, v180
	v_dot4c_i32_i8 v17, v185, v180
	v_dot4c_i32_i8 v5, v85, v180
	v_dot4c_i32_i8 v16, v22, v180
	v_dot4c_i32_i8 v4, v86, v180
	v_dot4c_i32_i8 v23, v47, v181
	v_dot4c_i32_i8 v8, v82, v181
	v_dot4c_i32_i8 v21, v88, v181
	v_dot4c_i32_i8 v6, v83, v181
	v_dot4c_i32_i8 v17, v186, v181
	v_dot4c_i32_i8 v5, v85, v181
	v_dot4c_i32_i8 v16, v189, v181
	v_dot4c_i32_i8 v4, v86, v181
	v_dot4c_i32_i8 v23, v80, v182
	v_dot4c_i32_i8 v8, v82, v182
	v_dot4c_i32_i8 v21, v14, v182
	v_dot4c_i32_i8 v6, v83, v182
	v_dot4c_i32_i8 v17, v187, v182
	v_dot4c_i32_i8 v5, v85, v182
	v_dot4c_i32_i8 v16, v190, v182
	v_dot4c_i32_i8 v4, v86, v182
	v_dot4c_i32_i8 v23, v81, v183
	v_dot4c_i32_i8 v8, v82, v183
	v_dot4c_i32_i8 v21, v184, v183
	v_dot4c_i32_i8 v6, v83, v183
	v_dot4c_i32_i8 v17, v188, v183
	v_dot4c_i32_i8 v5, v85, v183
	v_dot4c_i32_i8 v16, v191, v183
	v_dot4c_i32_i8 v4, v86, v183
	ds_read_b128 v[180:183], v2 offset:7168
	s_waitcnt lgkmcnt(0)
	v_dot4c_i32_i8 v166, v87, v180
	v_dot4c_i32_i8 v170, v28, v180
	v_dot4c_i32_i8 v160, v22, v180
	v_mov_b32_e32 v28, 0
	v_mov_b32_e32 v22, 0
	v_dot4c_i32_i8 v166, v88, v181
	v_dot4c_i32_i8 v162, v185, v180
	;; [unrolled: 1-line block ×6, first 2 shown]
	v_mov_b32_e32 v14, 0
	v_dot4c_i32_i8 v170, v47, v181
	v_dot4c_i32_i8 v162, v186, v181
	;; [unrolled: 1-line block ×10, first 2 shown]
	ds_read2_b32 v[180:181], v1 offset0:4 offset1:5
	v_dot4c_i32_i8 v22, v83, v182
	v_dot4c_i32_i8 v170, v81, v183
	v_dot4c_i32_i8 v28, v82, v183
	v_dot4c_i32_i8 v9, v86, v182
	v_dot4c_i32_i8 v14, v85, v182
	v_dot4c_i32_i8 v22, v83, v183
	v_add_nc_u32_e32 v83, 0x1090, v1
	v_add_nc_u32_e32 v88, 0x2110, v1
	v_dot4c_i32_i8 v9, v86, v183
	v_add_nc_u32_e32 v86, 0x1098, v1
	v_dot4c_i32_i8 v14, v85, v183
	v_dot4c_i32_i8 v166, v184, v183
	;; [unrolled: 1-line block ×6, first 2 shown]
	s_waitcnt lgkmcnt(0)
	v_ashrrev_i32_e32 v47, s14, v180
	v_ashrrev_i32_e32 v80, s14, v181
	ds_read2_b32 v[180:181], v1 offset0:6 offset1:7
	v_and_b32_e32 v47, 0x3030303, v47
	v_and_b32_e32 v80, 0x3030303, v80
	s_waitcnt lgkmcnt(0)
	v_ashrrev_i32_e32 v81, s14, v180
	v_ashrrev_i32_e32 v82, s14, v181
	ds_read2_b32 v[180:181], v83 offset1:1
	v_and_b32_e32 v81, 0x3030303, v81
	v_and_b32_e32 v82, 0x3030303, v82
	s_waitcnt lgkmcnt(0)
	v_ashrrev_i32_e32 v83, s14, v180
	v_ashrrev_i32_e32 v85, s14, v181
	ds_read2_b32 v[180:181], v86 offset1:1
	;; [unrolled: 6-line block ×3, first 2 shown]
	v_and_b32_e32 v86, 0x3030303, v86
	v_and_b32_e32 v87, 0x3030303, v87
	s_waitcnt lgkmcnt(0)
	v_ashrrev_i32_e32 v88, s14, v180
	v_add_nc_u32_e32 v180, 0x2118, v1
	v_ashrrev_i32_e32 v184, s14, v181
	v_and_b32_e32 v88, 0x3030303, v88
	ds_read2_b32 v[180:181], v180 offset1:1
	v_and_b32_e32 v206, 0x3030303, v184
	v_mov_b32_e32 v184, 0
	s_waitcnt lgkmcnt(0)
	v_ashrrev_i32_e32 v185, s14, v180
	v_add_nc_u32_e32 v180, 0x3190, v1
	v_ashrrev_i32_e32 v186, s14, v181
	v_add_nc_u32_e32 v1, 0x3198, v1
	v_and_b32_e32 v228, 0x3030303, v185
	ds_read2_b32 v[180:181], v180 offset1:1
	v_and_b32_e32 v229, 0x3030303, v186
	v_mov_b32_e32 v185, 0
	v_mov_b32_e32 v186, 0
	s_waitcnt lgkmcnt(0)
	v_ashrrev_i32_e32 v187, s14, v180
	v_ashrrev_i32_e32 v188, s14, v181
	ds_read2_b32 v[180:181], v1 offset1:1
	v_and_b32_e32 v230, 0x3030303, v187
	v_and_b32_e32 v231, 0x3030303, v188
	v_mov_b32_e32 v188, 0
	v_mov_b32_e32 v187, 0
	s_waitcnt lgkmcnt(0)
	v_ashrrev_i32_e32 v1, s14, v180
	v_and_b32_sdwa v180, v157, v205 dst_sel:DWORD dst_unused:UNUSED_PAD src0_sel:DWORD src1_sel:BYTE_1
	v_ashrrev_i32_e32 v189, s14, v181
	s_lshr_b32 s14, s1, 2
	v_and_b32_e32 v1, 0x3030303, v1
	v_lshrrev_b32_e32 v190, 4, v180
	v_and_b32_sdwa v180, v157, v207 dst_sel:DWORD dst_unused:UNUSED_PAD src0_sel:DWORD src1_sel:BYTE_1
	v_and_b32_e32 v232, 0x3030303, v189
	v_mov_b32_e32 v189, 0
	s_and_b32 s14, s14, 0x3ffffffc
	v_mul_lo_u32 v233, 0x1010101, v190
	v_lshrrev_b32_e32 v191, 4, v180
	v_and_b32_sdwa v180, v157, v209 dst_sel:DWORD dst_unused:UNUSED_PAD src0_sel:DWORD src1_sel:BYTE_1
	v_mov_b32_e32 v190, 0
	s_addk_i32 s14, 0x7280
	v_mul_lo_u32 v234, 0x1010101, v191
	v_lshrrev_b32_e32 v192, 4, v180
	v_and_b32_sdwa v180, v157, v200 dst_sel:DWORD dst_unused:UNUSED_PAD src0_sel:DWORD src1_sel:BYTE_1
	v_mov_b32_e32 v191, 0
	v_dot4c_i32_i8 v8, v233, v223
	v_mul_lo_u32 v235, 0x1010101, v192
	v_lshrrev_b32_e32 v193, 4, v180
	ds_read_b128 v[180:183], v2 offset:16
	v_mov_b32_e32 v192, 0
	v_dot4c_i32_i8 v6, v234, v223
	v_dot4c_i32_i8 v8, v233, v224
	v_mul_lo_u32 v236, 0x1010101, v193
	v_mov_b32_e32 v193, 0
	v_dot4c_i32_i8 v5, v235, v223
	v_dot4c_i32_i8 v6, v234, v224
	;; [unrolled: 1-line block ×10, first 2 shown]
	s_waitcnt lgkmcnt(0)
	v_dot4c_i32_i8 v227, v47, v180
	v_dot4c_i32_i8 v237, v83, v180
	;; [unrolled: 1-line block ×32, first 2 shown]
	ds_read_b128 v[180:183], v2 offset:1040
	v_dot4c_i32_i8 v4, v236, v225
	v_dot4c_i32_i8 v5, v235, v226
	v_cvt_f32_i32_e32 v6, v6
	v_dot4c_i32_i8 v4, v236, v226
	v_cvt_f32_i32_e32 v5, v5
	v_cvt_f32_i32_e32 v4, v4
	s_waitcnt lgkmcnt(0)
	v_dot4c_i32_i8 v240, v47, v180
	v_dot4c_i32_i8 v241, v83, v180
	;; [unrolled: 1-line block ×32, first 2 shown]
	ds_read_b128 v[180:183], v2 offset:2064
	s_waitcnt lgkmcnt(0)
	v_dot4c_i32_i8 v188, v47, v180
	v_dot4c_i32_i8 v185, v83, v180
	v_dot4c_i32_i8 v186, v88, v180
	v_dot4c_i32_i8 v187, v230, v180
	v_dot4c_i32_i8 v10, v233, v180
	v_dot4c_i32_i8 v11, v234, v180
	v_dot4c_i32_i8 v12, v235, v180
	v_dot4c_i32_i8 v13, v236, v180
	v_dot4c_i32_i8 v188, v80, v181
	v_dot4c_i32_i8 v185, v85, v181
	v_dot4c_i32_i8 v186, v206, v181
	v_dot4c_i32_i8 v187, v231, v181
	v_dot4c_i32_i8 v10, v233, v181
	v_dot4c_i32_i8 v11, v234, v181
	v_dot4c_i32_i8 v12, v235, v181
	v_dot4c_i32_i8 v13, v236, v181
	v_dot4c_i32_i8 v188, v81, v182
	v_dot4c_i32_i8 v185, v86, v182
	v_dot4c_i32_i8 v186, v228, v182
	v_dot4c_i32_i8 v187, v1, v182
	v_dot4c_i32_i8 v10, v233, v182
	v_dot4c_i32_i8 v11, v234, v182
	v_dot4c_i32_i8 v12, v235, v182
	v_dot4c_i32_i8 v13, v236, v182
	v_dot4c_i32_i8 v188, v82, v183
	v_dot4c_i32_i8 v185, v87, v183
	v_dot4c_i32_i8 v186, v229, v183
	v_dot4c_i32_i8 v187, v232, v183
	v_dot4c_i32_i8 v10, v233, v183
	v_dot4c_i32_i8 v11, v234, v183
	v_dot4c_i32_i8 v12, v235, v183
	v_dot4c_i32_i8 v13, v236, v183
	ds_read_b128 v[180:183], v2 offset:3088
	v_cvt_f32_i32_e32 v10, v10
	s_waitcnt lgkmcnt(0)
	v_dot4c_i32_i8 v199, v47, v180
	v_dot4c_i32_i8 v196, v83, v180
	;; [unrolled: 1-line block ×32, first 2 shown]
	ds_read_b128 v[180:183], v2 offset:4112
	s_waitcnt lgkmcnt(0)
	v_dot4c_i32_i8 v195, v47, v180
	v_dot4c_i32_i8 v191, v83, v180
	;; [unrolled: 1-line block ×32, first 2 shown]
	ds_read_b128 v[180:183], v2 offset:5136
	s_waitcnt lgkmcnt(0)
	v_dot4c_i32_i8 v204, v47, v180
	v_dot4c_i32_i8 v201, v83, v180
	;; [unrolled: 1-line block ×32, first 2 shown]
	v_mov_b32_e32 v183, 0
	v_mov_b32_e32 v182, 0
	;; [unrolled: 1-line block ×4, first 2 shown]
	v_dot4c_i32_i8 v183, v47, v223
	v_dot4c_i32_i8 v182, v83, v223
	;; [unrolled: 1-line block ×16, first 2 shown]
	ds_read_b128 v[223:226], v2 offset:7184
	v_add_nc_u32_e32 v2, 32, v2
	s_waitcnt lgkmcnt(0)
	v_dot4c_i32_i8 v184, v230, v223
	v_dot4c_i32_i8 v189, v88, v223
	;; [unrolled: 1-line block ×3, first 2 shown]
	v_and_b32_sdwa v47, v205, v158 dst_sel:DWORD dst_unused:UNUSED_PAD src0_sel:BYTE_1 src1_sel:DWORD
	v_dot4c_i32_i8 v190, v83, v223
	v_dot4c_i32_i8 v184, v231, v224
	;; [unrolled: 1-line block ×7, first 2 shown]
	v_and_b32_e32 v1, 15, v205
	v_dot4c_i32_i8 v9, v236, v223
	v_and_b32_e32 v205, 0xffff, v47
	v_dot4c_i32_i8 v194, v80, v224
	v_dot4c_i32_i8 v190, v85, v224
	v_and_b32_e32 v206, 0xffff, v1
	v_dot4c_i32_i8 v28, v233, v224
	v_dot4c_i32_i8 v22, v234, v224
	v_dot4c_i32_i8 v14, v235, v224
	v_dot4c_i32_i8 v9, v236, v224
	v_mul_lo_u32 v208, v206, v208
	v_and_b32_e32 v1, 15, v207
	v_dot4c_i32_i8 v194, v81, v225
	v_dot4c_i32_i8 v190, v86, v225
	;; [unrolled: 1-line block ×6, first 2 shown]
	v_mad_u64_u32 v[223:224], null, v205, v227, v[208:209]
	v_mul_lo_u32 v208, v222, v206
	v_dot4c_i32_i8 v9, v236, v225
	v_and_b32_sdwa v47, v207, v158 dst_sel:DWORD dst_unused:UNUSED_PAD src0_sel:BYTE_1 src1_sel:DWORD
	v_dot4c_i32_i8 v194, v82, v226
	v_dot4c_i32_i8 v190, v87, v226
	;; [unrolled: 1-line block ×4, first 2 shown]
	v_and_b32_e32 v207, 0xffff, v47
	v_mad_u64_u32 v[224:225], null, v240, v205, v[208:209]
	v_and_b32_e32 v208, 0xffff, v1
	v_dot4c_i32_i8 v28, v233, v226
	v_dot4c_i32_i8 v22, v234, v226
	;; [unrolled: 1-line block ×4, first 2 shown]
	v_mul_lo_u32 v210, v208, v210
	v_and_b32_e32 v1, 15, v209
	v_and_b32_sdwa v47, v209, v158 dst_sel:DWORD dst_unused:UNUSED_PAD src0_sel:BYTE_1 src1_sel:DWORD
	v_cvt_f32_i32_e32 v225, v223
	v_cvt_f32_i32_e32 v224, v224
	v_cvt_f32_i32_e32 v9, v9
	v_and_b32_e32 v209, 0xffff, v47
	v_mad_u64_u32 v[226:227], null, v207, v237, v[210:211]
	v_mul_lo_u32 v210, v221, v208
	v_and_b32_sdwa v47, v200, v158 dst_sel:DWORD dst_unused:UNUSED_PAD src0_sel:BYTE_1 src1_sel:DWORD
	v_cvt_f32_i32_e32 v223, v226
	v_mad_u64_u32 v[221:222], null, v241, v207, v[210:211]
	v_and_b32_e32 v210, 0xffff, v1
	v_and_b32_e32 v1, 15, v200
	v_and_b32_e32 v200, 0xffff, v47
	v_mul_lo_u32 v211, v210, v211
	v_cvt_f32_i32_e32 v222, v221
	v_mad_u64_u32 v[227:228], null, v209, v238, v[211:212]
	v_mul_lo_u32 v211, v220, v210
	v_cvt_f32_i32_e32 v221, v227
	v_mad_u64_u32 v[228:229], null, v242, v209, v[211:212]
	v_and_b32_e32 v211, 0xffff, v1
	v_add3_u32 v1, s14, v149, v150
	v_mul_lo_u32 v212, v211, v212
	ds_read_b32 v226, v1
	v_cvt_f32_i32_e32 v1, v217
	v_cvt_f32_i32_e32 v220, v228
	v_mad_u64_u32 v[229:230], null, v200, v239, v[212:213]
	v_mul_lo_u32 v212, v213, v211
	v_mad_u64_u32 v[212:213], null, v243, v200, v[212:213]
	v_cvt_f32_i32_e32 v213, v229
	s_waitcnt lgkmcnt(0)
	v_cvt_f32_f16_sdwa v227, v226 dst_sel:DWORD dst_unused:UNUSED_PAD src0_sel:WORD_1
	v_mul_f32_e32 v1, v227, v1
	v_cvt_f32_i32_e32 v212, v212
	v_mul_f32_e32 v10, v227, v10
	v_fma_mix_f32 v225, v226, v225, -v1 op_sel_hi:[1,0,0]
	v_cvt_f32_i32_e32 v1, v219
	v_mul_f32_e32 v1, v227, v1
	v_fma_mix_f32 v219, v226, v224, -v1 op_sel_hi:[1,0,0]
	v_add3_u32 v1, s14, v151, v152
	ds_read_b32 v217, v1
	v_cvt_f32_i32_e32 v1, v216
	s_waitcnt lgkmcnt(0)
	v_cvt_f32_f16_sdwa v216, v217 dst_sel:DWORD dst_unused:UNUSED_PAD src0_sel:WORD_1
	v_mul_f32_e32 v1, v216, v1
	v_mul_f32_e32 v6, v216, v6
	v_fma_mix_f32 v223, v217, v223, -v1 op_sel_hi:[1,0,0]
	v_cvt_f32_i32_e32 v1, v218
	v_mul_f32_e32 v1, v216, v1
	v_fma_mix_f32 v222, v217, v222, -v1 op_sel_hi:[1,0,0]
	v_add3_u32 v1, s14, v153, v154
	ds_read_b32 v218, v1
	v_cvt_f32_i32_e32 v1, v214
	s_waitcnt lgkmcnt(0)
	v_cvt_f32_f16_sdwa v214, v218 dst_sel:DWORD dst_unused:UNUSED_PAD src0_sel:WORD_1
	v_mul_f32_e32 v1, v214, v1
	v_mul_f32_e32 v5, v214, v5
	v_fma_mix_f32 v221, v218, v221, -v1 op_sel_hi:[1,0,0]
	v_cvt_f32_i32_e32 v1, v215
	v_mul_f32_e32 v1, v214, v1
	v_fma_mix_f32 v220, v218, v220, -v1 op_sel_hi:[1,0,0]
	v_add3_u32 v1, s14, v155, v156
	s_add_i32 s14, s1, 2
	s_cmp_lt_u32 s1, 14
	s_mov_b32 s1, s14
	ds_read_b32 v215, v1
	v_cvt_f32_i32_e32 v1, v7
	v_cvt_f32_i32_e32 v7, v15
	s_waitcnt lgkmcnt(0)
	v_cvt_f32_f16_sdwa v47, v215 dst_sel:DWORD dst_unused:UNUSED_PAD src0_sel:WORD_1
	v_mul_f32_e32 v1, v47, v1
	v_mul_f32_e32 v7, v47, v7
	;; [unrolled: 1-line block ×4, first 2 shown]
	v_fma_mix_f32 v1, v215, v213, -v1 op_sel_hi:[1,0,0]
	v_fma_mix_f32 v7, v215, v212, -v7 op_sel_hi:[1,0,0]
	ds_read2_b32 v[212:213], v3 offset1:32
	s_waitcnt lgkmcnt(0)
	v_fmac_f32_e32 v67, v213, v7
	v_mul_lo_u32 v7, v24, v206
	v_fmac_f32_e32 v120, v212, v225
	v_fmac_f32_e32 v92, v213, v219
	;; [unrolled: 1-line block ×7, first 2 shown]
	v_mad_u64_u32 v[212:213], null, v188, v205, v[7:8]
	v_mul_lo_u32 v7, v173, v206
	v_cvt_f32_i32_e32 v1, v212
	v_mad_u64_u32 v[219:220], null, v199, v205, v[7:8]
	v_mul_lo_u32 v7, v25, v208
	v_fma_mix_f32 v1, v226, v1, -v10 op_sel_hi:[1,0,0]
	v_cvt_f32_i32_e32 v10, v11
	v_mul_f32_e32 v10, v216, v10
	v_mad_u64_u32 v[24:25], null, v185, v207, v[7:8]
	v_mul_lo_u32 v7, v26, v210
	v_cvt_f32_i32_e32 v15, v24
	v_mad_u64_u32 v[25:26], null, v186, v209, v[7:8]
	v_mul_lo_u32 v7, v29, v211
	v_fma_mix_f32 v15, v217, v15, -v10 op_sel_hi:[1,0,0]
	v_cvt_f32_i32_e32 v10, v12
	v_cvt_f32_i32_e32 v24, v25
	v_mul_f32_e32 v10, v214, v10
	v_mad_u64_u32 v[185:186], null, v187, v200, v[7:8]
	v_mul_lo_u32 v7, v171, v208
	v_fma_mix_f32 v12, v218, v24, -v10 op_sel_hi:[1,0,0]
	v_cvt_f32_i32_e32 v10, v13
	v_cvt_f32_i32_e32 v25, v185
	v_mad_u64_u32 v[186:187], null, v196, v207, v[7:8]
	v_mul_lo_u32 v7, v174, v210
	v_mul_f32_e32 v10, v47, v10
	v_fma_mix_f32 v13, v215, v25, -v10 op_sel_hi:[1,0,0]
	v_cvt_f32_i32_e32 v10, v32
	v_mad_u64_u32 v[173:174], null, v197, v209, v[7:8]
	v_mul_lo_u32 v7, v175, v211
	v_cvt_f32_i32_e32 v26, v186
	v_mul_f32_e32 v10, v227, v10
	v_cvt_f32_i32_e32 v29, v173
	v_mad_u64_u32 v[174:175], null, v198, v200, v[7:8]
	v_cvt_f32_i32_e32 v7, v219
	v_fma_mix_f32 v7, v226, v7, -v10 op_sel_hi:[1,0,0]
	v_cvt_f32_i32_e32 v10, v34
	v_cvt_f32_i32_e32 v80, v174
	v_mul_f32_e32 v10, v216, v10
	v_fma_mix_f32 v24, v217, v26, -v10 op_sel_hi:[1,0,0]
	v_cvt_f32_i32_e32 v10, v35
	v_mul_f32_e32 v10, v214, v10
	v_fma_mix_f32 v25, v218, v29, -v10 op_sel_hi:[1,0,0]
	;; [unrolled: 3-line block ×3, first 2 shown]
	ds_read2_b32 v[10:11], v3 offset0:64 offset1:96
	s_waitcnt lgkmcnt(0)
	v_fmac_f32_e32 v59, v11, v7
	v_mul_lo_u32 v7, v161, v206
	v_fmac_f32_e32 v65, v10, v1
	v_fmac_f32_e32 v63, v10, v15
	;; [unrolled: 1-line block ×7, first 2 shown]
	v_mad_u64_u32 v[10:11], null, v195, v205, v[7:8]
	v_mul_lo_u32 v7, v177, v206
	v_cvt_f32_i32_e32 v1, v10
	v_mad_u64_u32 v[11:12], null, v204, v205, v[7:8]
	v_mul_lo_u32 v7, v163, v208
	v_mad_u64_u32 v[12:13], null, v191, v207, v[7:8]
	v_mul_lo_u32 v7, v164, v210
	v_cvt_f32_i32_e32 v10, v12
	v_mad_u64_u32 v[24:25], null, v192, v209, v[7:8]
	v_mul_lo_u32 v7, v165, v211
	v_mad_u64_u32 v[25:26], null, v193, v200, v[7:8]
	v_mul_lo_u32 v7, v176, v208
	v_cvt_f32_i32_e32 v12, v25
	v_cvt_f32_i32_e32 v25, v27
	v_mad_u64_u32 v[34:35], null, v201, v207, v[7:8]
	v_mul_lo_u32 v7, v178, v210
	v_mul_f32_e32 v25, v227, v25
	v_cvt_f32_i32_e32 v13, v34
	v_fma_mix_f32 v1, v226, v1, -v25 op_sel_hi:[1,0,0]
	v_cvt_f32_i32_e32 v25, v30
	v_mad_u64_u32 v[35:36], null, v202, v209, v[7:8]
	v_mul_lo_u32 v7, v179, v211
	v_mul_f32_e32 v25, v216, v25
	v_cvt_f32_i32_e32 v15, v35
	v_fma_mix_f32 v25, v217, v10, -v25 op_sel_hi:[1,0,0]
	v_cvt_f32_i32_e32 v10, v31
	v_mad_u64_u32 v[163:164], null, v203, v200, v[7:8]
	v_cvt_f32_i32_e32 v7, v11
	v_cvt_f32_i32_e32 v11, v24
	v_mul_f32_e32 v10, v214, v10
	v_cvt_f32_i32_e32 v24, v163
	v_fma_mix_f32 v26, v218, v11, -v10 op_sel_hi:[1,0,0]
	v_cvt_f32_i32_e32 v10, v33
	v_mul_f32_e32 v10, v47, v10
	v_fma_mix_f32 v12, v215, v12, -v10 op_sel_hi:[1,0,0]
	v_cvt_f32_i32_e32 v10, v167
	v_mul_f32_e32 v10, v227, v10
	;; [unrolled: 3-line block ×5, first 2 shown]
	v_fma_mix_f32 v24, v215, v24, -v10 op_sel_hi:[1,0,0]
	ds_read2_b32 v[10:11], v3 offset0:128 offset1:160
	s_waitcnt lgkmcnt(0)
	v_fmac_f32_e32 v49, v11, v7
	v_mul_lo_u32 v7, v23, v206
	v_fmac_f32_e32 v53, v10, v1
	v_fmac_f32_e32 v52, v10, v25
	;; [unrolled: 1-line block ×7, first 2 shown]
	v_mad_u64_u32 v[10:11], null, v183, v205, v[7:8]
	v_mul_lo_u32 v7, v170, v206
	v_cvt_f32_i32_e32 v1, v10
	v_cvt_f32_i32_e32 v10, v28
	v_mad_u64_u32 v[11:12], null, v194, v205, v[7:8]
	v_mul_lo_u32 v7, v21, v208
	v_mul_f32_e32 v10, v227, v10
	v_mad_u64_u32 v[12:13], null, v182, v207, v[7:8]
	v_mul_lo_u32 v7, v166, v208
	v_mad_u64_u32 v[23:24], null, v190, v207, v[7:8]
	v_mul_lo_u32 v7, v17, v210
	v_mad_u64_u32 v[24:25], null, v181, v209, v[7:8]
	v_mul_lo_u32 v7, v162, v210
	v_mad_u64_u32 v[25:26], null, v189, v209, v[7:8]
	v_mul_lo_u32 v7, v16, v211
	v_mad_u64_u32 v[15:16], null, v180, v200, v[7:8]
	v_mul_lo_u32 v7, v160, v211
	v_mad_u64_u32 v[16:17], null, v184, v200, v[7:8]
	v_cvt_f32_i32_e32 v8, v8
	v_cvt_f32_i32_e32 v7, v11
	;; [unrolled: 1-line block ×3, first 2 shown]
	v_mul_f32_e32 v8, v227, v8
	v_fma_mix_f32 v7, v226, v7, -v10 op_sel_hi:[1,0,0]
	v_cvt_f32_i32_e32 v10, v23
	v_mul_f32_e32 v11, v216, v11
	v_fma_mix_f32 v1, v226, v1, -v8 op_sel_hi:[1,0,0]
	v_cvt_f32_i32_e32 v8, v12
	v_cvt_f32_i32_e32 v12, v14
	v_fma_mix_f32 v6, v217, v8, -v6 op_sel_hi:[1,0,0]
	v_fma_mix_f32 v8, v217, v10, -v11 op_sel_hi:[1,0,0]
	v_cvt_f32_i32_e32 v10, v24
	v_cvt_f32_i32_e32 v11, v25
	v_mul_f32_e32 v12, v214, v12
	v_fma_mix_f32 v10, v218, v10, -v5 op_sel_hi:[1,0,0]
	v_cvt_f32_i32_e32 v5, v15
	v_fma_mix_f32 v11, v218, v11, -v12 op_sel_hi:[1,0,0]
	v_cvt_f32_i32_e32 v12, v16
	v_fma_mix_f32 v13, v215, v5, -v4 op_sel_hi:[1,0,0]
	ds_read2_b32 v[4:5], v3 offset0:192 offset1:224
	v_fma_mix_f32 v9, v215, v12, -v9 op_sel_hi:[1,0,0]
	v_add_nc_u32_e32 v3, 4, v3
	s_waitcnt lgkmcnt(0)
	v_fmac_f32_e32 v44, v4, v1
	v_fmac_f32_e32 v43, v4, v6
	v_fmac_f32_e32 v42, v4, v10
	v_fmac_f32_e32 v41, v4, v13
	v_fmac_f32_e32 v40, v5, v7
	v_fmac_f32_e32 v39, v5, v8
	v_fmac_f32_e32 v38, v5, v11
	v_fmac_f32_e32 v37, v5, v9
	s_cbranch_scc1 .LBB127_9
; %bb.10:                               ;   in Loop: Header=BB127_6 Depth=1
	s_or_b32 s1, s11, 1
	s_cmp_ge_i32 s1, s4
	s_barrier
	buffer_gl0_inv
	s_cbranch_scc1 .LBB127_5
; %bb.11:                               ;   in Loop: Header=BB127_6 Depth=1
	v_add_nc_u32_e32 v1, s0, v124
	v_add_nc_u32_e32 v12, 8, v159
	s_mov_b32 s1, 16
	v_add_nc_u32_e32 v2, v1, v114
	v_add_nc_u32_e32 v4, v1, v115
	;; [unrolled: 1-line block ×5, first 2 shown]
	v_mad_u64_u32 v[12:13], null, v12, 36, s[2:3]
	v_mad_i64_i32 v[2:3], null, v2, 36, v[19:20]
	v_add_nc_u32_e32 v14, v1, v119
	v_mad_i64_i32 v[4:5], null, v4, 36, v[19:20]
	v_add_nc_u32_e32 v16, v1, v121
	;; [unrolled: 2-line block ×3, first 2 shown]
	v_mad_i64_i32 v[8:9], null, v8, 36, v[19:20]
	v_mad_i64_i32 v[10:11], null, v10, 36, v[19:20]
	;; [unrolled: 1-line block ×5, first 2 shown]
	s_clause 0x8
	global_load_dword v1, v[12:13], off
	global_load_dword v12, v[2:3], off offset:4
	global_load_dword v4, v[4:5], off offset:4
	;; [unrolled: 1-line block ×8, first 2 shown]
	v_mov_b32_e32 v2, v132
	v_mov_b32_e32 v3, v127
	s_waitcnt vmcnt(8)
	v_cvt_f32_f16_e32 v1, v1
	s_waitcnt vmcnt(7)
	ds_write_b32 v141, v12
	s_waitcnt vmcnt(6)
	ds_write_b32 v142, v4
	;; [unrolled: 2-line block ×8, first 2 shown]
	ds_write_b32 v113, v1
	s_waitcnt lgkmcnt(0)
	s_barrier
	buffer_gl0_inv
.LBB127_12:                             ;   Parent Loop BB127_6 Depth=1
                                        ; =>  This Inner Loop Header: Depth=2
	s_and_b32 s15, s1, 0x3ffffff8
	s_add_i32 s14, s1, -16
	v_lshl_add_u32 v1, s15, 2, v126
	s_and_b32 s15, s1, -16
	v_mov_b32_e32 v208, 0
	s_add_i32 s15, s1, s15
	v_mov_b32_e32 v210, 0
	ds_read2_b32 v[4:5], v1 offset1:1
	v_add_nc_u32_e32 v10, s15, v128
	v_mov_b32_e32 v211, 0
	v_mov_b32_e32 v212, 0
	;; [unrolled: 1-line block ×18, first 2 shown]
	s_waitcnt lgkmcnt(0)
	v_ashrrev_i32_e32 v6, s14, v4
	v_ashrrev_i32_e32 v7, s14, v5
	ds_read2_b32 v[4:5], v1 offset0:2 offset1:3
	v_mov_b32_e32 v174, 0
	v_mov_b32_e32 v35, 0
	v_and_b32_e32 v28, 0x3030303, v6
	v_and_b32_e32 v47, 0x3030303, v7
	v_mov_b32_e32 v7, 0
	v_mov_b32_e32 v175, 0
	;; [unrolled: 1-line block ×3, first 2 shown]
	ds_read_b128 v[166:169], v2 offset:4096
	ds_read_b128 v[180:183], v2 offset:5120
	v_mov_b32_e32 v27, 0
	v_mov_b32_e32 v164, 0
	;; [unrolled: 1-line block ×10, first 2 shown]
	s_waitcnt lgkmcnt(2)
	v_ashrrev_i32_e32 v8, s14, v4
	v_add_nc_u32_e32 v4, 0x1080, v1
	v_ashrrev_i32_e32 v9, s14, v5
	ds_read_u16 v205, v10 offset:25072
	v_add_nc_u32_e32 v10, s15, v129
	v_and_b32_e32 v80, 0x3030303, v8
	ds_read2_b32 v[4:5], v4 offset1:1
	v_and_b32_e32 v81, 0x3030303, v9
	v_mov_b32_e32 v237, 0
	s_waitcnt lgkmcnt(2)
	v_dot4c_i32_i8 v177, v28, v180
	v_mov_b32_e32 v238, 0
	v_mov_b32_e32 v239, 0
	;; [unrolled: 1-line block ×4, first 2 shown]
	v_dot4c_i32_i8 v177, v47, v181
	v_mov_b32_e32 v242, 0
	v_mov_b32_e32 v243, 0
	;; [unrolled: 1-line block ×4, first 2 shown]
	v_dot4c_i32_i8 v177, v80, v182
	v_mov_b32_e32 v197, 0
	v_mov_b32_e32 v198, 0
	;; [unrolled: 1-line block ×3, first 2 shown]
	s_waitcnt lgkmcnt(1)
	v_bfe_u32 v6, v205, 4, 4
	v_dot4c_i32_i8 v177, v81, v183
	v_mov_b32_e32 v204, 0
	s_waitcnt lgkmcnt(0)
	v_ashrrev_i32_e32 v12, s14, v4
	v_add_nc_u32_e32 v4, 0x1088, v1
	v_ashrrev_i32_e32 v13, s14, v5
	ds_read_u16 v207, v10 offset:26096
	v_add_nc_u32_e32 v10, s15, v130
	v_mul_lo_u32 v82, 0x1010101, v6
	ds_read2_b32 v[4:5], v4 offset1:1
	v_and_b32_e32 v87, 0x3030303, v12
	v_and_b32_e32 v88, 0x3030303, v13
	v_mov_b32_e32 v12, 0
	v_mov_b32_e32 v13, 0
	;; [unrolled: 1-line block ×3, first 2 shown]
	v_dot4c_i32_i8 v176, v87, v180
	v_dot4c_i32_i8 v27, v82, v166
	v_mov_b32_e32 v202, 0
	v_mov_b32_e32 v203, 0
	;; [unrolled: 1-line block ×3, first 2 shown]
	v_dot4c_i32_i8 v176, v88, v181
	v_dot4c_i32_i8 v27, v82, v167
	ds_read_u16 v209, v10 offset:27120
	v_add_nc_u32_e32 v10, s15, v131
	ds_read_b128 v[30:33], v2 offset:2048
	ds_read_b128 v[160:163], v2 offset:3072
	s_waitcnt lgkmcnt(4)
	v_bfe_u32 v6, v207, 4, 4
	v_dot4c_i32_i8 v27, v82, v168
	ds_read_u16 v200, v10 offset:28144
	s_waitcnt lgkmcnt(4)
	v_ashrrev_i32_e32 v14, s14, v4
	v_add_nc_u32_e32 v4, 0x2100, v1
	v_ashrrev_i32_e32 v15, s14, v5
	ds_read_b128 v[8:11], v2
	v_mul_lo_u32 v83, 0x1010101, v6
	v_and_b32_e32 v14, 0x3030303, v14
	ds_read2_b32 v[4:5], v4 offset1:1
	v_and_b32_e32 v184, 0x3030303, v15
	v_mov_b32_e32 v15, 0
	v_dot4c_i32_i8 v27, v82, v169
	v_dot4c_i32_i8 v176, v14, v182
	ds_read_b128 v[223:226], v2 offset:6160
	s_waitcnt lgkmcnt(6)
	v_bfe_u32 v6, v209, 4, 4
	s_waitcnt lgkmcnt(5)
	v_dot4c_i32_i8 v25, v87, v30
	s_waitcnt lgkmcnt(4)
	v_dot4c_i32_i8 v173, v28, v160
	v_dot4c_i32_i8 v171, v87, v160
	v_mul_lo_u32 v85, 0x1010101, v6
	s_waitcnt lgkmcnt(3)
	v_bfe_u32 v6, v200, 4, 4
	v_dot4c_i32_i8 v25, v88, v31
	v_dot4c_i32_i8 v34, v83, v160
	;; [unrolled: 1-line block ×3, first 2 shown]
	s_waitcnt lgkmcnt(2)
	v_dot4c_i32_i8 v208, v28, v8
	v_mul_lo_u32 v86, 0x1010101, v6
	v_dot4c_i32_i8 v210, v87, v8
	s_waitcnt lgkmcnt(1)
	v_ashrrev_i32_e32 v16, s14, v4
	v_add_nc_u32_e32 v4, 0x2108, v1
	v_ashrrev_i32_e32 v17, s14, v5
	v_dot4c_i32_i8 v217, v82, v8
	v_dot4c_i32_i8 v216, v83, v8
	v_and_b32_e32 v185, 0x3030303, v16
	ds_read2_b32 v[4:5], v4 offset1:1
	v_and_b32_e32 v186, 0x3030303, v17
	v_dot4c_i32_i8 v214, v85, v8
	v_dot4c_i32_i8 v7, v86, v8
	;; [unrolled: 1-line block ×18, first 2 shown]
	s_waitcnt lgkmcnt(0)
	v_ashrrev_i32_e32 v21, s14, v4
	v_add_nc_u32_e32 v4, 0x3180, v1
	v_ashrrev_i32_e32 v22, s14, v5
	v_dot4c_i32_i8 v217, v82, v11
	v_dot4c_i32_i8 v216, v83, v11
	v_and_b32_e32 v187, 0x3030303, v21
	ds_read2_b32 v[4:5], v4 offset1:1
	v_and_b32_e32 v188, 0x3030303, v22
	v_dot4c_i32_i8 v214, v85, v11
	v_dot4c_i32_i8 v7, v86, v11
	;; [unrolled: 1-line block ×18, first 2 shown]
	s_waitcnt lgkmcnt(0)
	v_ashrrev_i32_e32 v23, s14, v4
	v_add_nc_u32_e32 v4, 0x3188, v1
	v_ashrrev_i32_e32 v24, s14, v5
	v_dot4c_i32_i8 v34, v83, v161
	v_dot4c_i32_i8 v174, v186, v161
	v_and_b32_e32 v22, 0x3030303, v23
	ds_read2_b32 v[4:5], v4 offset1:1
	v_and_b32_e32 v189, 0x3030303, v24
	v_mov_b32_e32 v24, 0
	v_dot4c_i32_i8 v35, v85, v161
	v_dot4c_i32_i8 v212, v22, v8
	;; [unrolled: 1-line block ×17, first 2 shown]
	s_waitcnt lgkmcnt(0)
	v_ashrrev_i32_e32 v4, s14, v4
	v_ashrrev_i32_e32 v5, s14, v5
	v_dot4c_i32_i8 v24, v81, v33
	v_dot4c_i32_i8 v25, v184, v33
	;; [unrolled: 1-line block ×3, first 2 shown]
	v_and_b32_e32 v190, 0x3030303, v4
	v_and_b32_e32 v191, 0x3030303, v5
	v_dot4c_i32_i8 v12, v85, v33
	v_dot4c_i32_i8 v13, v86, v33
	;; [unrolled: 1-line block ×9, first 2 shown]
	ds_read_b128 v[8:11], v2 offset:1024
	v_dot4c_i32_i8 v29, v191, v33
	v_dot4c_i32_i8 v174, v188, v163
	;; [unrolled: 1-line block ×19, first 2 shown]
	s_waitcnt lgkmcnt(0)
	v_dot4c_i32_i8 v222, v28, v8
	v_dot4c_i32_i8 v219, v82, v8
	;; [unrolled: 1-line block ×32, first 2 shown]
	v_mov_b32_e32 v10, 0
	v_mov_b32_e32 v11, 0
	v_dot4c_i32_i8 v164, v188, v169
	v_dot4c_i32_i8 v165, v191, v169
	;; [unrolled: 1-line block ×5, first 2 shown]
	v_mov_b32_e32 v30, 0
	v_dot4c_i32_i8 v176, v184, v183
	v_dot4c_i32_i8 v178, v188, v183
	v_dot4c_i32_i8 v10, v82, v31
	v_dot4c_i32_i8 v11, v83, v31
	v_mov_b32_e32 v31, 0
	v_dot4c_i32_i8 v30, v83, v166
	v_dot4c_i32_i8 v179, v191, v183
	v_dot4c_i32_i8 v10, v82, v32
	v_dot4c_i32_i8 v11, v83, v32
	;; [unrolled: 5-line block ×3, first 2 shown]
	v_dot4c_i32_i8 v32, v82, v160
	v_mov_b32_e32 v33, 0
	v_dot4c_i32_i8 v31, v85, v167
	v_dot4c_i32_i8 v30, v83, v168
	;; [unrolled: 1-line block ×4, first 2 shown]
	v_mov_b32_e32 v161, 0
	v_dot4c_i32_i8 v33, v86, v166
	v_dot4c_i32_i8 v31, v85, v168
	;; [unrolled: 1-line block ×7, first 2 shown]
	v_mov_b32_e32 v23, 0
	v_dot4c_i32_i8 v32, v82, v163
	v_mov_b32_e32 v163, 0
	v_dot4c_i32_i8 v161, v47, v167
	v_dot4c_i32_i8 v33, v86, v168
	v_mov_b32_e32 v8, 0
	v_mov_b32_e32 v21, 0
	v_dot4c_i32_i8 v163, v87, v166
	v_dot4c_i32_i8 v161, v80, v168
	;; [unrolled: 1-line block ×3, first 2 shown]
	v_mov_b32_e32 v6, 0
	v_mov_b32_e32 v17, 0
	v_dot4c_i32_i8 v163, v88, v167
	v_dot4c_i32_i8 v161, v81, v169
	v_mov_b32_e32 v167, 0
	v_mov_b32_e32 v5, 0
	v_mov_b32_e32 v16, 0
	v_dot4c_i32_i8 v163, v14, v168
	v_mov_b32_e32 v168, 0
	v_dot4c_i32_i8 v167, v82, v180
	v_mov_b32_e32 v4, 0
	v_mov_b32_e32 v166, 0
	v_dot4c_i32_i8 v163, v184, v169
	v_mov_b32_e32 v169, 0
	v_dot4c_i32_i8 v168, v83, v180
	v_dot4c_i32_i8 v167, v82, v181
	v_mov_b32_e32 v160, 0
	v_mov_b32_e32 v162, 0
	v_dot4c_i32_i8 v169, v85, v180
	v_dot4c_i32_i8 v168, v83, v181
	;; [unrolled: 1-line block ×3, first 2 shown]
	v_mov_b32_e32 v9, 0
	v_dot4c_i32_i8 v169, v85, v181
	v_dot4c_i32_i8 v168, v83, v182
	;; [unrolled: 1-line block ×6, first 2 shown]
	ds_read_b128 v[180:183], v2 offset:6144
	s_waitcnt lgkmcnt(0)
	v_dot4c_i32_i8 v23, v28, v180
	v_dot4c_i32_i8 v8, v82, v180
	v_dot4c_i32_i8 v21, v87, v180
	v_dot4c_i32_i8 v6, v83, v180
	v_dot4c_i32_i8 v17, v185, v180
	v_dot4c_i32_i8 v5, v85, v180
	v_dot4c_i32_i8 v16, v22, v180
	v_dot4c_i32_i8 v4, v86, v180
	v_dot4c_i32_i8 v23, v47, v181
	v_dot4c_i32_i8 v8, v82, v181
	v_dot4c_i32_i8 v21, v88, v181
	v_dot4c_i32_i8 v6, v83, v181
	v_dot4c_i32_i8 v17, v186, v181
	v_dot4c_i32_i8 v5, v85, v181
	v_dot4c_i32_i8 v16, v189, v181
	v_dot4c_i32_i8 v4, v86, v181
	v_dot4c_i32_i8 v23, v80, v182
	v_dot4c_i32_i8 v8, v82, v182
	v_dot4c_i32_i8 v21, v14, v182
	v_dot4c_i32_i8 v6, v83, v182
	v_dot4c_i32_i8 v17, v187, v182
	v_dot4c_i32_i8 v5, v85, v182
	v_dot4c_i32_i8 v16, v190, v182
	v_dot4c_i32_i8 v4, v86, v182
	v_dot4c_i32_i8 v23, v81, v183
	v_dot4c_i32_i8 v8, v82, v183
	v_dot4c_i32_i8 v21, v184, v183
	v_dot4c_i32_i8 v6, v83, v183
	v_dot4c_i32_i8 v17, v188, v183
	v_dot4c_i32_i8 v5, v85, v183
	v_dot4c_i32_i8 v16, v191, v183
	v_dot4c_i32_i8 v4, v86, v183
	ds_read_b128 v[180:183], v2 offset:7168
	s_waitcnt lgkmcnt(0)
	v_dot4c_i32_i8 v166, v87, v180
	v_dot4c_i32_i8 v170, v28, v180
	;; [unrolled: 1-line block ×3, first 2 shown]
	v_mov_b32_e32 v28, 0
	v_mov_b32_e32 v22, 0
	v_dot4c_i32_i8 v166, v88, v181
	v_dot4c_i32_i8 v162, v185, v180
	;; [unrolled: 1-line block ×6, first 2 shown]
	v_mov_b32_e32 v14, 0
	v_dot4c_i32_i8 v170, v47, v181
	v_dot4c_i32_i8 v162, v186, v181
	;; [unrolled: 1-line block ×10, first 2 shown]
	ds_read2_b32 v[180:181], v1 offset0:4 offset1:5
	v_dot4c_i32_i8 v22, v83, v182
	v_dot4c_i32_i8 v170, v81, v183
	;; [unrolled: 1-line block ×6, first 2 shown]
	v_add_nc_u32_e32 v83, 0x1090, v1
	v_add_nc_u32_e32 v88, 0x2110, v1
	v_dot4c_i32_i8 v9, v86, v183
	v_add_nc_u32_e32 v86, 0x1098, v1
	v_dot4c_i32_i8 v14, v85, v183
	v_dot4c_i32_i8 v166, v184, v183
	;; [unrolled: 1-line block ×6, first 2 shown]
	s_waitcnt lgkmcnt(0)
	v_ashrrev_i32_e32 v47, s14, v180
	v_ashrrev_i32_e32 v80, s14, v181
	ds_read2_b32 v[180:181], v1 offset0:6 offset1:7
	v_and_b32_e32 v47, 0x3030303, v47
	v_and_b32_e32 v80, 0x3030303, v80
	s_waitcnt lgkmcnt(0)
	v_ashrrev_i32_e32 v81, s14, v180
	v_ashrrev_i32_e32 v82, s14, v181
	ds_read2_b32 v[180:181], v83 offset1:1
	v_and_b32_e32 v81, 0x3030303, v81
	v_and_b32_e32 v82, 0x3030303, v82
	s_waitcnt lgkmcnt(0)
	v_ashrrev_i32_e32 v83, s14, v180
	v_ashrrev_i32_e32 v85, s14, v181
	ds_read2_b32 v[180:181], v86 offset1:1
	;; [unrolled: 6-line block ×3, first 2 shown]
	v_and_b32_e32 v86, 0x3030303, v86
	v_and_b32_e32 v87, 0x3030303, v87
	s_waitcnt lgkmcnt(0)
	v_ashrrev_i32_e32 v88, s14, v180
	v_add_nc_u32_e32 v180, 0x2118, v1
	v_ashrrev_i32_e32 v184, s14, v181
	v_and_b32_e32 v88, 0x3030303, v88
	ds_read2_b32 v[180:181], v180 offset1:1
	v_and_b32_e32 v206, 0x3030303, v184
	v_mov_b32_e32 v184, 0
	s_waitcnt lgkmcnt(0)
	v_ashrrev_i32_e32 v185, s14, v180
	v_add_nc_u32_e32 v180, 0x3190, v1
	v_ashrrev_i32_e32 v186, s14, v181
	v_add_nc_u32_e32 v1, 0x3198, v1
	v_and_b32_e32 v228, 0x3030303, v185
	ds_read2_b32 v[180:181], v180 offset1:1
	v_and_b32_e32 v229, 0x3030303, v186
	v_mov_b32_e32 v185, 0
	v_mov_b32_e32 v186, 0
	s_waitcnt lgkmcnt(0)
	v_ashrrev_i32_e32 v187, s14, v180
	v_ashrrev_i32_e32 v188, s14, v181
	ds_read2_b32 v[180:181], v1 offset1:1
	v_and_b32_e32 v230, 0x3030303, v187
	v_and_b32_e32 v231, 0x3030303, v188
	v_mov_b32_e32 v188, 0
	v_mov_b32_e32 v187, 0
	s_waitcnt lgkmcnt(0)
	v_ashrrev_i32_e32 v1, s14, v180
	v_and_b32_sdwa v180, v157, v205 dst_sel:DWORD dst_unused:UNUSED_PAD src0_sel:DWORD src1_sel:BYTE_1
	v_ashrrev_i32_e32 v189, s14, v181
	s_lshr_b32 s14, s1, 2
	v_and_b32_e32 v1, 0x3030303, v1
	v_lshrrev_b32_e32 v190, 4, v180
	v_and_b32_sdwa v180, v157, v207 dst_sel:DWORD dst_unused:UNUSED_PAD src0_sel:DWORD src1_sel:BYTE_1
	v_and_b32_e32 v232, 0x3030303, v189
	v_mov_b32_e32 v189, 0
	s_and_b32 s14, s14, 0x3ffffffc
	v_mul_lo_u32 v233, 0x1010101, v190
	v_lshrrev_b32_e32 v191, 4, v180
	v_and_b32_sdwa v180, v157, v209 dst_sel:DWORD dst_unused:UNUSED_PAD src0_sel:DWORD src1_sel:BYTE_1
	v_mov_b32_e32 v190, 0
	s_addk_i32 s14, 0x7280
	v_mul_lo_u32 v234, 0x1010101, v191
	v_lshrrev_b32_e32 v192, 4, v180
	v_and_b32_sdwa v180, v157, v200 dst_sel:DWORD dst_unused:UNUSED_PAD src0_sel:DWORD src1_sel:BYTE_1
	v_mov_b32_e32 v191, 0
	v_dot4c_i32_i8 v8, v233, v223
	v_mul_lo_u32 v235, 0x1010101, v192
	v_lshrrev_b32_e32 v193, 4, v180
	ds_read_b128 v[180:183], v2 offset:16
	v_mov_b32_e32 v192, 0
	v_dot4c_i32_i8 v6, v234, v223
	v_dot4c_i32_i8 v8, v233, v224
	v_mul_lo_u32 v236, 0x1010101, v193
	v_mov_b32_e32 v193, 0
	v_dot4c_i32_i8 v5, v235, v223
	v_dot4c_i32_i8 v6, v234, v224
	;; [unrolled: 1-line block ×10, first 2 shown]
	s_waitcnt lgkmcnt(0)
	v_dot4c_i32_i8 v227, v47, v180
	v_dot4c_i32_i8 v237, v83, v180
	;; [unrolled: 1-line block ×32, first 2 shown]
	ds_read_b128 v[180:183], v2 offset:1040
	v_dot4c_i32_i8 v4, v236, v225
	v_dot4c_i32_i8 v5, v235, v226
	v_cvt_f32_i32_e32 v6, v6
	v_dot4c_i32_i8 v4, v236, v226
	v_cvt_f32_i32_e32 v5, v5
	v_cvt_f32_i32_e32 v4, v4
	s_waitcnt lgkmcnt(0)
	v_dot4c_i32_i8 v240, v47, v180
	v_dot4c_i32_i8 v241, v83, v180
	;; [unrolled: 1-line block ×32, first 2 shown]
	ds_read_b128 v[180:183], v2 offset:2064
	s_waitcnt lgkmcnt(0)
	v_dot4c_i32_i8 v188, v47, v180
	v_dot4c_i32_i8 v185, v83, v180
	;; [unrolled: 1-line block ×32, first 2 shown]
	ds_read_b128 v[180:183], v2 offset:3088
	v_cvt_f32_i32_e32 v10, v10
	s_waitcnt lgkmcnt(0)
	v_dot4c_i32_i8 v199, v47, v180
	v_dot4c_i32_i8 v196, v83, v180
	;; [unrolled: 1-line block ×32, first 2 shown]
	ds_read_b128 v[180:183], v2 offset:4112
	s_waitcnt lgkmcnt(0)
	v_dot4c_i32_i8 v195, v47, v180
	v_dot4c_i32_i8 v191, v83, v180
	;; [unrolled: 1-line block ×32, first 2 shown]
	ds_read_b128 v[180:183], v2 offset:5136
	s_waitcnt lgkmcnt(0)
	v_dot4c_i32_i8 v204, v47, v180
	v_dot4c_i32_i8 v201, v83, v180
	;; [unrolled: 1-line block ×32, first 2 shown]
	v_mov_b32_e32 v183, 0
	v_mov_b32_e32 v182, 0
	;; [unrolled: 1-line block ×4, first 2 shown]
	v_dot4c_i32_i8 v183, v47, v223
	v_dot4c_i32_i8 v182, v83, v223
	;; [unrolled: 1-line block ×16, first 2 shown]
	ds_read_b128 v[223:226], v2 offset:7184
	v_add_nc_u32_e32 v2, 32, v2
	s_waitcnt lgkmcnt(0)
	v_dot4c_i32_i8 v184, v230, v223
	v_dot4c_i32_i8 v189, v88, v223
	;; [unrolled: 1-line block ×3, first 2 shown]
	v_and_b32_sdwa v47, v205, v158 dst_sel:DWORD dst_unused:UNUSED_PAD src0_sel:BYTE_1 src1_sel:DWORD
	v_dot4c_i32_i8 v190, v83, v223
	v_dot4c_i32_i8 v184, v231, v224
	;; [unrolled: 1-line block ×7, first 2 shown]
	v_and_b32_e32 v1, 15, v205
	v_dot4c_i32_i8 v9, v236, v223
	v_and_b32_e32 v205, 0xffff, v47
	v_dot4c_i32_i8 v194, v80, v224
	v_dot4c_i32_i8 v190, v85, v224
	v_and_b32_e32 v206, 0xffff, v1
	v_dot4c_i32_i8 v28, v233, v224
	v_dot4c_i32_i8 v22, v234, v224
	;; [unrolled: 1-line block ×4, first 2 shown]
	v_mul_lo_u32 v208, v206, v208
	v_and_b32_e32 v1, 15, v207
	v_dot4c_i32_i8 v194, v81, v225
	v_dot4c_i32_i8 v190, v86, v225
	;; [unrolled: 1-line block ×6, first 2 shown]
	v_mad_u64_u32 v[223:224], null, v205, v227, v[208:209]
	v_mul_lo_u32 v208, v222, v206
	v_dot4c_i32_i8 v9, v236, v225
	v_and_b32_sdwa v47, v207, v158 dst_sel:DWORD dst_unused:UNUSED_PAD src0_sel:BYTE_1 src1_sel:DWORD
	v_dot4c_i32_i8 v194, v82, v226
	v_dot4c_i32_i8 v190, v87, v226
	v_dot4c_i32_i8 v189, v229, v226
	v_dot4c_i32_i8 v184, v232, v226
	v_and_b32_e32 v207, 0xffff, v47
	v_mad_u64_u32 v[224:225], null, v240, v205, v[208:209]
	v_and_b32_e32 v208, 0xffff, v1
	v_dot4c_i32_i8 v28, v233, v226
	v_dot4c_i32_i8 v22, v234, v226
	;; [unrolled: 1-line block ×4, first 2 shown]
	v_mul_lo_u32 v210, v208, v210
	v_and_b32_e32 v1, 15, v209
	v_and_b32_sdwa v47, v209, v158 dst_sel:DWORD dst_unused:UNUSED_PAD src0_sel:BYTE_1 src1_sel:DWORD
	v_cvt_f32_i32_e32 v225, v223
	v_cvt_f32_i32_e32 v224, v224
	v_cvt_f32_i32_e32 v9, v9
	v_and_b32_e32 v209, 0xffff, v47
	v_mad_u64_u32 v[226:227], null, v207, v237, v[210:211]
	v_mul_lo_u32 v210, v221, v208
	v_and_b32_sdwa v47, v200, v158 dst_sel:DWORD dst_unused:UNUSED_PAD src0_sel:BYTE_1 src1_sel:DWORD
	v_cvt_f32_i32_e32 v223, v226
	v_mad_u64_u32 v[221:222], null, v241, v207, v[210:211]
	v_and_b32_e32 v210, 0xffff, v1
	v_and_b32_e32 v1, 15, v200
	;; [unrolled: 1-line block ×3, first 2 shown]
	v_mul_lo_u32 v211, v210, v211
	v_cvt_f32_i32_e32 v222, v221
	v_mad_u64_u32 v[227:228], null, v209, v238, v[211:212]
	v_mul_lo_u32 v211, v220, v210
	v_cvt_f32_i32_e32 v221, v227
	v_mad_u64_u32 v[228:229], null, v242, v209, v[211:212]
	v_and_b32_e32 v211, 0xffff, v1
	v_add3_u32 v1, s14, v149, v150
	v_mul_lo_u32 v212, v211, v212
	ds_read_b32 v226, v1
	v_cvt_f32_i32_e32 v1, v217
	v_cvt_f32_i32_e32 v220, v228
	v_mad_u64_u32 v[229:230], null, v200, v239, v[212:213]
	v_mul_lo_u32 v212, v213, v211
	v_mad_u64_u32 v[212:213], null, v243, v200, v[212:213]
	v_cvt_f32_i32_e32 v213, v229
	s_waitcnt lgkmcnt(0)
	v_cvt_f32_f16_sdwa v227, v226 dst_sel:DWORD dst_unused:UNUSED_PAD src0_sel:WORD_1
	v_mul_f32_e32 v1, v227, v1
	v_cvt_f32_i32_e32 v212, v212
	v_mul_f32_e32 v10, v227, v10
	v_fma_mix_f32 v225, v226, v225, -v1 op_sel_hi:[1,0,0]
	v_cvt_f32_i32_e32 v1, v219
	v_mul_f32_e32 v1, v227, v1
	v_fma_mix_f32 v219, v226, v224, -v1 op_sel_hi:[1,0,0]
	v_add3_u32 v1, s14, v151, v152
	ds_read_b32 v217, v1
	v_cvt_f32_i32_e32 v1, v216
	s_waitcnt lgkmcnt(0)
	v_cvt_f32_f16_sdwa v216, v217 dst_sel:DWORD dst_unused:UNUSED_PAD src0_sel:WORD_1
	v_mul_f32_e32 v1, v216, v1
	v_mul_f32_e32 v6, v216, v6
	v_fma_mix_f32 v223, v217, v223, -v1 op_sel_hi:[1,0,0]
	v_cvt_f32_i32_e32 v1, v218
	v_mul_f32_e32 v1, v216, v1
	v_fma_mix_f32 v222, v217, v222, -v1 op_sel_hi:[1,0,0]
	v_add3_u32 v1, s14, v153, v154
	ds_read_b32 v218, v1
	v_cvt_f32_i32_e32 v1, v214
	s_waitcnt lgkmcnt(0)
	v_cvt_f32_f16_sdwa v214, v218 dst_sel:DWORD dst_unused:UNUSED_PAD src0_sel:WORD_1
	v_mul_f32_e32 v1, v214, v1
	v_mul_f32_e32 v5, v214, v5
	v_fma_mix_f32 v221, v218, v221, -v1 op_sel_hi:[1,0,0]
	v_cvt_f32_i32_e32 v1, v215
	v_mul_f32_e32 v1, v214, v1
	v_fma_mix_f32 v220, v218, v220, -v1 op_sel_hi:[1,0,0]
	v_add3_u32 v1, s14, v155, v156
	s_add_i32 s14, s1, 2
	s_cmp_lt_u32 s1, 22
	s_mov_b32 s1, s14
	ds_read_b32 v215, v1
	v_cvt_f32_i32_e32 v1, v7
	v_cvt_f32_i32_e32 v7, v15
	s_waitcnt lgkmcnt(0)
	v_cvt_f32_f16_sdwa v47, v215 dst_sel:DWORD dst_unused:UNUSED_PAD src0_sel:WORD_1
	v_mul_f32_e32 v1, v47, v1
	v_mul_f32_e32 v7, v47, v7
	;; [unrolled: 1-line block ×4, first 2 shown]
	v_fma_mix_f32 v1, v215, v213, -v1 op_sel_hi:[1,0,0]
	v_fma_mix_f32 v7, v215, v212, -v7 op_sel_hi:[1,0,0]
	ds_read2_b32 v[212:213], v3 offset1:32
	s_waitcnt lgkmcnt(0)
	v_fmac_f32_e32 v67, v213, v7
	v_mul_lo_u32 v7, v24, v206
	v_fmac_f32_e32 v120, v212, v225
	v_fmac_f32_e32 v92, v213, v219
	;; [unrolled: 1-line block ×7, first 2 shown]
	v_mad_u64_u32 v[212:213], null, v188, v205, v[7:8]
	v_mul_lo_u32 v7, v173, v206
	v_cvt_f32_i32_e32 v1, v212
	v_mad_u64_u32 v[219:220], null, v199, v205, v[7:8]
	v_mul_lo_u32 v7, v25, v208
	v_fma_mix_f32 v1, v226, v1, -v10 op_sel_hi:[1,0,0]
	v_cvt_f32_i32_e32 v10, v11
	v_mul_f32_e32 v10, v216, v10
	v_mad_u64_u32 v[24:25], null, v185, v207, v[7:8]
	v_mul_lo_u32 v7, v26, v210
	v_cvt_f32_i32_e32 v15, v24
	v_mad_u64_u32 v[25:26], null, v186, v209, v[7:8]
	v_mul_lo_u32 v7, v29, v211
	v_fma_mix_f32 v15, v217, v15, -v10 op_sel_hi:[1,0,0]
	v_cvt_f32_i32_e32 v10, v12
	v_cvt_f32_i32_e32 v24, v25
	v_mul_f32_e32 v10, v214, v10
	v_mad_u64_u32 v[185:186], null, v187, v200, v[7:8]
	v_mul_lo_u32 v7, v171, v208
	v_fma_mix_f32 v12, v218, v24, -v10 op_sel_hi:[1,0,0]
	v_cvt_f32_i32_e32 v10, v13
	v_cvt_f32_i32_e32 v25, v185
	v_mad_u64_u32 v[186:187], null, v196, v207, v[7:8]
	v_mul_lo_u32 v7, v174, v210
	v_mul_f32_e32 v10, v47, v10
	v_fma_mix_f32 v13, v215, v25, -v10 op_sel_hi:[1,0,0]
	v_cvt_f32_i32_e32 v10, v32
	v_mad_u64_u32 v[173:174], null, v197, v209, v[7:8]
	v_mul_lo_u32 v7, v175, v211
	v_cvt_f32_i32_e32 v26, v186
	v_mul_f32_e32 v10, v227, v10
	v_cvt_f32_i32_e32 v29, v173
	v_mad_u64_u32 v[174:175], null, v198, v200, v[7:8]
	v_cvt_f32_i32_e32 v7, v219
	v_fma_mix_f32 v7, v226, v7, -v10 op_sel_hi:[1,0,0]
	v_cvt_f32_i32_e32 v10, v34
	v_cvt_f32_i32_e32 v80, v174
	v_mul_f32_e32 v10, v216, v10
	v_fma_mix_f32 v24, v217, v26, -v10 op_sel_hi:[1,0,0]
	v_cvt_f32_i32_e32 v10, v35
	v_mul_f32_e32 v10, v214, v10
	v_fma_mix_f32 v25, v218, v29, -v10 op_sel_hi:[1,0,0]
	;; [unrolled: 3-line block ×3, first 2 shown]
	ds_read2_b32 v[10:11], v3 offset0:64 offset1:96
	s_waitcnt lgkmcnt(0)
	v_fmac_f32_e32 v59, v11, v7
	v_mul_lo_u32 v7, v161, v206
	v_fmac_f32_e32 v65, v10, v1
	v_fmac_f32_e32 v63, v10, v15
	;; [unrolled: 1-line block ×7, first 2 shown]
	v_mad_u64_u32 v[10:11], null, v195, v205, v[7:8]
	v_mul_lo_u32 v7, v177, v206
	v_cvt_f32_i32_e32 v1, v10
	v_mad_u64_u32 v[11:12], null, v204, v205, v[7:8]
	v_mul_lo_u32 v7, v163, v208
	v_mad_u64_u32 v[12:13], null, v191, v207, v[7:8]
	v_mul_lo_u32 v7, v164, v210
	v_cvt_f32_i32_e32 v10, v12
	v_mad_u64_u32 v[24:25], null, v192, v209, v[7:8]
	v_mul_lo_u32 v7, v165, v211
	v_mad_u64_u32 v[25:26], null, v193, v200, v[7:8]
	v_mul_lo_u32 v7, v176, v208
	v_cvt_f32_i32_e32 v12, v25
	v_cvt_f32_i32_e32 v25, v27
	v_mad_u64_u32 v[34:35], null, v201, v207, v[7:8]
	v_mul_lo_u32 v7, v178, v210
	v_mul_f32_e32 v25, v227, v25
	v_cvt_f32_i32_e32 v13, v34
	v_fma_mix_f32 v1, v226, v1, -v25 op_sel_hi:[1,0,0]
	v_cvt_f32_i32_e32 v25, v30
	v_mad_u64_u32 v[35:36], null, v202, v209, v[7:8]
	v_mul_lo_u32 v7, v179, v211
	v_mul_f32_e32 v25, v216, v25
	v_cvt_f32_i32_e32 v15, v35
	v_fma_mix_f32 v25, v217, v10, -v25 op_sel_hi:[1,0,0]
	v_cvt_f32_i32_e32 v10, v31
	v_mad_u64_u32 v[163:164], null, v203, v200, v[7:8]
	v_cvt_f32_i32_e32 v7, v11
	v_cvt_f32_i32_e32 v11, v24
	v_mul_f32_e32 v10, v214, v10
	v_cvt_f32_i32_e32 v24, v163
	v_fma_mix_f32 v26, v218, v11, -v10 op_sel_hi:[1,0,0]
	v_cvt_f32_i32_e32 v10, v33
	v_mul_f32_e32 v10, v47, v10
	v_fma_mix_f32 v12, v215, v12, -v10 op_sel_hi:[1,0,0]
	v_cvt_f32_i32_e32 v10, v167
	v_mul_f32_e32 v10, v227, v10
	;; [unrolled: 3-line block ×5, first 2 shown]
	v_fma_mix_f32 v24, v215, v24, -v10 op_sel_hi:[1,0,0]
	ds_read2_b32 v[10:11], v3 offset0:128 offset1:160
	s_waitcnt lgkmcnt(0)
	v_fmac_f32_e32 v49, v11, v7
	v_mul_lo_u32 v7, v23, v206
	v_fmac_f32_e32 v53, v10, v1
	v_fmac_f32_e32 v52, v10, v25
	;; [unrolled: 1-line block ×7, first 2 shown]
	v_mad_u64_u32 v[10:11], null, v183, v205, v[7:8]
	v_mul_lo_u32 v7, v170, v206
	v_cvt_f32_i32_e32 v1, v10
	v_cvt_f32_i32_e32 v10, v28
	v_mad_u64_u32 v[11:12], null, v194, v205, v[7:8]
	v_mul_lo_u32 v7, v21, v208
	v_mul_f32_e32 v10, v227, v10
	v_mad_u64_u32 v[12:13], null, v182, v207, v[7:8]
	v_mul_lo_u32 v7, v166, v208
	v_mad_u64_u32 v[23:24], null, v190, v207, v[7:8]
	v_mul_lo_u32 v7, v17, v210
	v_mad_u64_u32 v[24:25], null, v181, v209, v[7:8]
	v_mul_lo_u32 v7, v162, v210
	v_mad_u64_u32 v[25:26], null, v189, v209, v[7:8]
	v_mul_lo_u32 v7, v16, v211
	v_mad_u64_u32 v[15:16], null, v180, v200, v[7:8]
	v_mul_lo_u32 v7, v160, v211
	v_mad_u64_u32 v[16:17], null, v184, v200, v[7:8]
	v_cvt_f32_i32_e32 v8, v8
	v_cvt_f32_i32_e32 v7, v11
	v_cvt_f32_i32_e32 v11, v22
	v_mul_f32_e32 v8, v227, v8
	v_fma_mix_f32 v7, v226, v7, -v10 op_sel_hi:[1,0,0]
	v_cvt_f32_i32_e32 v10, v23
	v_mul_f32_e32 v11, v216, v11
	v_fma_mix_f32 v1, v226, v1, -v8 op_sel_hi:[1,0,0]
	v_cvt_f32_i32_e32 v8, v12
	v_cvt_f32_i32_e32 v12, v14
	v_fma_mix_f32 v6, v217, v8, -v6 op_sel_hi:[1,0,0]
	v_fma_mix_f32 v8, v217, v10, -v11 op_sel_hi:[1,0,0]
	v_cvt_f32_i32_e32 v10, v24
	v_cvt_f32_i32_e32 v11, v25
	v_mul_f32_e32 v12, v214, v12
	v_fma_mix_f32 v10, v218, v10, -v5 op_sel_hi:[1,0,0]
	v_cvt_f32_i32_e32 v5, v15
	v_fma_mix_f32 v11, v218, v11, -v12 op_sel_hi:[1,0,0]
	v_cvt_f32_i32_e32 v12, v16
	v_fma_mix_f32 v13, v215, v5, -v4 op_sel_hi:[1,0,0]
	ds_read2_b32 v[4:5], v3 offset0:192 offset1:224
	v_fma_mix_f32 v9, v215, v12, -v9 op_sel_hi:[1,0,0]
	v_add_nc_u32_e32 v3, 4, v3
	s_waitcnt lgkmcnt(0)
	v_fmac_f32_e32 v44, v4, v1
	v_fmac_f32_e32 v43, v4, v6
	;; [unrolled: 1-line block ×8, first 2 shown]
	s_cbranch_scc1 .LBB127_12
; %bb.13:                               ;   in Loop: Header=BB127_6 Depth=1
	v_add_nc_u32_e32 v1, s0, v125
	v_add_nc_u32_e32 v12, 12, v159
	s_barrier
	buffer_gl0_inv
	v_add_nc_u32_e32 v2, v1, v114
	v_add_nc_u32_e32 v4, v1, v115
	v_add_nc_u32_e32 v6, v1, v116
	v_add_nc_u32_e32 v8, v1, v117
	v_add_nc_u32_e32 v10, v1, v118
	v_mad_u64_u32 v[12:13], null, v12, 36, s[2:3]
	v_mad_i64_i32 v[2:3], null, v2, 36, v[19:20]
	v_add_nc_u32_e32 v14, v1, v119
	v_mad_i64_i32 v[4:5], null, v4, 36, v[19:20]
	v_add_nc_u32_e32 v16, v1, v121
	;; [unrolled: 2-line block ×3, first 2 shown]
	v_mad_i64_i32 v[8:9], null, v8, 36, v[19:20]
	v_mad_i64_i32 v[10:11], null, v10, 36, v[19:20]
	;; [unrolled: 1-line block ×5, first 2 shown]
	s_clause 0x8
	global_load_dword v1, v[12:13], off
	global_load_dword v12, v[2:3], off offset:4
	global_load_dword v4, v[4:5], off offset:4
	;; [unrolled: 1-line block ×8, first 2 shown]
	v_mov_b32_e32 v2, v132
	v_mov_b32_e32 v3, v127
	s_mov_b32 s0, 24
	s_waitcnt vmcnt(8)
	v_cvt_f32_f16_e32 v1, v1
	s_waitcnt vmcnt(7)
	ds_write_b32 v141, v12
	s_waitcnt vmcnt(6)
	ds_write_b32 v142, v4
	;; [unrolled: 2-line block ×8, first 2 shown]
	ds_write_b32 v113, v1
	s_waitcnt lgkmcnt(0)
	s_barrier
	buffer_gl0_inv
.LBB127_14:                             ;   Parent Loop BB127_6 Depth=1
                                        ; =>  This Inner Loop Header: Depth=2
	s_and_b32 s14, s0, 0x3ffffff8
	s_sub_i32 s1, s0, 24
	v_lshl_add_u32 v1, s14, 2, v126
	s_and_b32 s14, s0, -16
	v_mov_b32_e32 v207, 0
	s_add_i32 s14, s0, s14
	v_mov_b32_e32 v209, 0
	ds_read2_b32 v[4:5], v1 offset1:1
	v_add_nc_u32_e32 v10, s14, v128
	v_mov_b32_e32 v210, 0
	v_mov_b32_e32 v211, 0
	;; [unrolled: 1-line block ×18, first 2 shown]
	s_waitcnt lgkmcnt(0)
	v_ashrrev_i32_e32 v6, s1, v4
	v_ashrrev_i32_e32 v7, s1, v5
	ds_read2_b32 v[4:5], v1 offset0:2 offset1:3
	v_mov_b32_e32 v173, 0
	v_mov_b32_e32 v35, 0
	v_and_b32_e32 v28, 0x3030303, v6
	v_and_b32_e32 v47, 0x3030303, v7
	v_mov_b32_e32 v7, 0
	v_mov_b32_e32 v174, 0
	;; [unrolled: 1-line block ×3, first 2 shown]
	ds_read_b128 v[165:168], v2 offset:4096
	ds_read_b128 v[179:182], v2 offset:5120
	v_mov_b32_e32 v27, 0
	v_mov_b32_e32 v163, 0
	;; [unrolled: 1-line block ×10, first 2 shown]
	s_waitcnt lgkmcnt(2)
	v_ashrrev_i32_e32 v8, s1, v4
	v_add_nc_u32_e32 v4, 0x1080, v1
	v_ashrrev_i32_e32 v9, s1, v5
	ds_read_u16 v204, v10 offset:25072
	v_add_nc_u32_e32 v10, s14, v129
	v_and_b32_e32 v80, 0x3030303, v8
	ds_read2_b32 v[4:5], v4 offset1:1
	v_and_b32_e32 v81, 0x3030303, v9
	v_mov_b32_e32 v236, 0
	s_waitcnt lgkmcnt(2)
	v_dot4c_i32_i8 v176, v28, v179
	v_mov_b32_e32 v237, 0
	v_mov_b32_e32 v238, 0
	;; [unrolled: 1-line block ×4, first 2 shown]
	v_dot4c_i32_i8 v176, v47, v180
	v_mov_b32_e32 v241, 0
	v_mov_b32_e32 v242, 0
	;; [unrolled: 1-line block ×4, first 2 shown]
	v_dot4c_i32_i8 v176, v80, v181
	v_mov_b32_e32 v196, 0
	v_mov_b32_e32 v197, 0
	;; [unrolled: 1-line block ×3, first 2 shown]
	s_waitcnt lgkmcnt(1)
	v_bfe_u32 v6, v204, 4, 4
	v_dot4c_i32_i8 v176, v81, v182
	v_mov_b32_e32 v203, 0
	s_waitcnt lgkmcnt(0)
	v_ashrrev_i32_e32 v12, s1, v4
	v_add_nc_u32_e32 v4, 0x1088, v1
	v_ashrrev_i32_e32 v13, s1, v5
	ds_read_u16 v206, v10 offset:26096
	v_add_nc_u32_e32 v10, s14, v130
	v_mul_lo_u32 v82, 0x1010101, v6
	ds_read2_b32 v[4:5], v4 offset1:1
	v_and_b32_e32 v87, 0x3030303, v12
	v_and_b32_e32 v88, 0x3030303, v13
	v_mov_b32_e32 v12, 0
	v_mov_b32_e32 v13, 0
	;; [unrolled: 1-line block ×3, first 2 shown]
	v_dot4c_i32_i8 v175, v87, v179
	v_dot4c_i32_i8 v27, v82, v165
	v_mov_b32_e32 v201, 0
	v_mov_b32_e32 v202, 0
	;; [unrolled: 1-line block ×3, first 2 shown]
	v_dot4c_i32_i8 v175, v88, v180
	v_dot4c_i32_i8 v27, v82, v166
	ds_read_u16 v208, v10 offset:27120
	v_add_nc_u32_e32 v10, s14, v131
	ds_read_b128 v[30:33], v2 offset:2048
	ds_read_b128 v[159:162], v2 offset:3072
	s_waitcnt lgkmcnt(4)
	v_bfe_u32 v6, v206, 4, 4
	v_dot4c_i32_i8 v27, v82, v167
	ds_read_u16 v199, v10 offset:28144
	s_waitcnt lgkmcnt(4)
	v_ashrrev_i32_e32 v14, s1, v4
	v_add_nc_u32_e32 v4, 0x2100, v1
	v_ashrrev_i32_e32 v15, s1, v5
	ds_read_b128 v[8:11], v2
	v_mul_lo_u32 v83, 0x1010101, v6
	v_and_b32_e32 v14, 0x3030303, v14
	ds_read2_b32 v[4:5], v4 offset1:1
	v_and_b32_e32 v183, 0x3030303, v15
	v_mov_b32_e32 v15, 0
	v_dot4c_i32_i8 v27, v82, v168
	v_dot4c_i32_i8 v175, v14, v181
	ds_read_b128 v[222:225], v2 offset:6160
	s_waitcnt lgkmcnt(6)
	v_bfe_u32 v6, v208, 4, 4
	s_waitcnt lgkmcnt(5)
	v_dot4c_i32_i8 v25, v87, v30
	s_waitcnt lgkmcnt(4)
	v_dot4c_i32_i8 v172, v28, v159
	v_dot4c_i32_i8 v170, v87, v159
	v_mul_lo_u32 v85, 0x1010101, v6
	s_waitcnt lgkmcnt(3)
	v_bfe_u32 v6, v199, 4, 4
	v_dot4c_i32_i8 v25, v88, v31
	v_dot4c_i32_i8 v34, v83, v159
	;; [unrolled: 1-line block ×3, first 2 shown]
	s_waitcnt lgkmcnt(2)
	v_dot4c_i32_i8 v207, v28, v8
	v_mul_lo_u32 v86, 0x1010101, v6
	v_dot4c_i32_i8 v209, v87, v8
	s_waitcnt lgkmcnt(1)
	v_ashrrev_i32_e32 v16, s1, v4
	v_add_nc_u32_e32 v4, 0x2108, v1
	v_ashrrev_i32_e32 v17, s1, v5
	v_dot4c_i32_i8 v216, v82, v8
	v_dot4c_i32_i8 v215, v83, v8
	v_and_b32_e32 v184, 0x3030303, v16
	ds_read2_b32 v[4:5], v4 offset1:1
	v_and_b32_e32 v185, 0x3030303, v17
	v_dot4c_i32_i8 v213, v85, v8
	v_dot4c_i32_i8 v7, v86, v8
	;; [unrolled: 1-line block ×18, first 2 shown]
	s_waitcnt lgkmcnt(0)
	v_ashrrev_i32_e32 v21, s1, v4
	v_add_nc_u32_e32 v4, 0x3180, v1
	v_ashrrev_i32_e32 v22, s1, v5
	v_dot4c_i32_i8 v216, v82, v11
	v_dot4c_i32_i8 v215, v83, v11
	v_and_b32_e32 v186, 0x3030303, v21
	ds_read2_b32 v[4:5], v4 offset1:1
	v_and_b32_e32 v187, 0x3030303, v22
	v_dot4c_i32_i8 v213, v85, v11
	v_dot4c_i32_i8 v7, v86, v11
	;; [unrolled: 1-line block ×18, first 2 shown]
	s_waitcnt lgkmcnt(0)
	v_ashrrev_i32_e32 v23, s1, v4
	v_add_nc_u32_e32 v4, 0x3188, v1
	v_ashrrev_i32_e32 v24, s1, v5
	v_dot4c_i32_i8 v34, v83, v160
	v_dot4c_i32_i8 v173, v185, v160
	v_and_b32_e32 v22, 0x3030303, v23
	ds_read2_b32 v[4:5], v4 offset1:1
	v_and_b32_e32 v188, 0x3030303, v24
	v_mov_b32_e32 v24, 0
	v_dot4c_i32_i8 v35, v85, v160
	v_dot4c_i32_i8 v211, v22, v8
	;; [unrolled: 1-line block ×17, first 2 shown]
	s_waitcnt lgkmcnt(0)
	v_ashrrev_i32_e32 v4, s1, v4
	v_ashrrev_i32_e32 v5, s1, v5
	v_dot4c_i32_i8 v24, v81, v33
	v_dot4c_i32_i8 v25, v183, v33
	;; [unrolled: 1-line block ×3, first 2 shown]
	v_and_b32_e32 v189, 0x3030303, v4
	v_and_b32_e32 v190, 0x3030303, v5
	v_dot4c_i32_i8 v12, v85, v33
	v_dot4c_i32_i8 v13, v86, v33
	;; [unrolled: 1-line block ×9, first 2 shown]
	ds_read_b128 v[8:11], v2 offset:1024
	v_dot4c_i32_i8 v29, v190, v33
	v_dot4c_i32_i8 v173, v187, v162
	;; [unrolled: 1-line block ×19, first 2 shown]
	s_waitcnt lgkmcnt(0)
	v_dot4c_i32_i8 v221, v28, v8
	v_dot4c_i32_i8 v218, v82, v8
	;; [unrolled: 1-line block ×32, first 2 shown]
	v_mov_b32_e32 v10, 0
	v_mov_b32_e32 v11, 0
	v_dot4c_i32_i8 v163, v187, v168
	v_dot4c_i32_i8 v164, v190, v168
	v_dot4c_i32_i8 v171, v86, v181
	v_dot4c_i32_i8 v10, v82, v30
	v_dot4c_i32_i8 v11, v83, v30
	v_mov_b32_e32 v30, 0
	v_dot4c_i32_i8 v175, v183, v182
	v_dot4c_i32_i8 v177, v187, v182
	v_dot4c_i32_i8 v10, v82, v31
	v_dot4c_i32_i8 v11, v83, v31
	v_mov_b32_e32 v31, 0
	v_dot4c_i32_i8 v30, v83, v165
	v_dot4c_i32_i8 v178, v190, v182
	v_dot4c_i32_i8 v10, v82, v32
	v_dot4c_i32_i8 v11, v83, v32
	;; [unrolled: 5-line block ×3, first 2 shown]
	v_dot4c_i32_i8 v32, v82, v159
	v_mov_b32_e32 v33, 0
	v_dot4c_i32_i8 v31, v85, v166
	v_dot4c_i32_i8 v30, v83, v167
	;; [unrolled: 1-line block ×4, first 2 shown]
	v_mov_b32_e32 v160, 0
	v_dot4c_i32_i8 v33, v86, v165
	v_dot4c_i32_i8 v31, v85, v167
	;; [unrolled: 1-line block ×7, first 2 shown]
	v_mov_b32_e32 v23, 0
	v_dot4c_i32_i8 v32, v82, v162
	v_mov_b32_e32 v162, 0
	v_dot4c_i32_i8 v160, v47, v166
	v_dot4c_i32_i8 v33, v86, v167
	v_mov_b32_e32 v8, 0
	v_mov_b32_e32 v21, 0
	v_dot4c_i32_i8 v162, v87, v165
	v_dot4c_i32_i8 v160, v80, v167
	;; [unrolled: 1-line block ×3, first 2 shown]
	v_mov_b32_e32 v6, 0
	v_mov_b32_e32 v17, 0
	v_dot4c_i32_i8 v162, v88, v166
	v_dot4c_i32_i8 v160, v81, v168
	v_mov_b32_e32 v166, 0
	v_mov_b32_e32 v5, 0
	;; [unrolled: 1-line block ×3, first 2 shown]
	v_dot4c_i32_i8 v162, v14, v167
	v_mov_b32_e32 v167, 0
	v_dot4c_i32_i8 v166, v82, v179
	v_mov_b32_e32 v4, 0
	v_mov_b32_e32 v165, 0
	v_dot4c_i32_i8 v162, v183, v168
	v_mov_b32_e32 v168, 0
	v_dot4c_i32_i8 v167, v83, v179
	v_dot4c_i32_i8 v166, v82, v180
	v_mov_b32_e32 v159, 0
	v_mov_b32_e32 v161, 0
	v_dot4c_i32_i8 v168, v85, v179
	v_dot4c_i32_i8 v167, v83, v180
	;; [unrolled: 1-line block ×3, first 2 shown]
	v_mov_b32_e32 v9, 0
	v_dot4c_i32_i8 v168, v85, v180
	v_dot4c_i32_i8 v167, v83, v181
	;; [unrolled: 1-line block ×6, first 2 shown]
	ds_read_b128 v[179:182], v2 offset:6144
	s_waitcnt lgkmcnt(0)
	v_dot4c_i32_i8 v23, v28, v179
	v_dot4c_i32_i8 v8, v82, v179
	;; [unrolled: 1-line block ×32, first 2 shown]
	ds_read_b128 v[179:182], v2 offset:7168
	s_waitcnt lgkmcnt(0)
	v_dot4c_i32_i8 v165, v87, v179
	v_dot4c_i32_i8 v169, v28, v179
	;; [unrolled: 1-line block ×3, first 2 shown]
	v_mov_b32_e32 v28, 0
	v_mov_b32_e32 v22, 0
	v_dot4c_i32_i8 v165, v88, v180
	v_dot4c_i32_i8 v161, v184, v179
	;; [unrolled: 1-line block ×6, first 2 shown]
	v_mov_b32_e32 v14, 0
	v_dot4c_i32_i8 v169, v47, v180
	v_dot4c_i32_i8 v161, v185, v180
	;; [unrolled: 1-line block ×10, first 2 shown]
	ds_read2_b32 v[179:180], v1 offset0:4 offset1:5
	v_dot4c_i32_i8 v22, v83, v181
	v_dot4c_i32_i8 v169, v81, v182
	;; [unrolled: 1-line block ×6, first 2 shown]
	v_add_nc_u32_e32 v83, 0x1090, v1
	v_add_nc_u32_e32 v88, 0x2110, v1
	v_dot4c_i32_i8 v9, v86, v182
	v_add_nc_u32_e32 v86, 0x1098, v1
	v_dot4c_i32_i8 v14, v85, v182
	v_dot4c_i32_i8 v165, v183, v182
	;; [unrolled: 1-line block ×6, first 2 shown]
	s_waitcnt lgkmcnt(0)
	v_ashrrev_i32_e32 v47, s1, v179
	v_ashrrev_i32_e32 v80, s1, v180
	ds_read2_b32 v[179:180], v1 offset0:6 offset1:7
	v_and_b32_e32 v47, 0x3030303, v47
	v_and_b32_e32 v80, 0x3030303, v80
	s_waitcnt lgkmcnt(0)
	v_ashrrev_i32_e32 v81, s1, v179
	v_ashrrev_i32_e32 v82, s1, v180
	ds_read2_b32 v[179:180], v83 offset1:1
	v_and_b32_e32 v81, 0x3030303, v81
	v_and_b32_e32 v82, 0x3030303, v82
	s_waitcnt lgkmcnt(0)
	v_ashrrev_i32_e32 v83, s1, v179
	v_ashrrev_i32_e32 v85, s1, v180
	ds_read2_b32 v[179:180], v86 offset1:1
	;; [unrolled: 6-line block ×3, first 2 shown]
	v_and_b32_e32 v86, 0x3030303, v86
	v_and_b32_e32 v87, 0x3030303, v87
	s_waitcnt lgkmcnt(0)
	v_ashrrev_i32_e32 v88, s1, v179
	v_add_nc_u32_e32 v179, 0x2118, v1
	v_ashrrev_i32_e32 v183, s1, v180
	v_and_b32_e32 v88, 0x3030303, v88
	ds_read2_b32 v[179:180], v179 offset1:1
	v_and_b32_e32 v205, 0x3030303, v183
	v_mov_b32_e32 v183, 0
	s_waitcnt lgkmcnt(0)
	v_ashrrev_i32_e32 v184, s1, v179
	v_add_nc_u32_e32 v179, 0x3190, v1
	v_ashrrev_i32_e32 v185, s1, v180
	v_add_nc_u32_e32 v1, 0x3198, v1
	v_and_b32_e32 v227, 0x3030303, v184
	ds_read2_b32 v[179:180], v179 offset1:1
	v_and_b32_e32 v228, 0x3030303, v185
	v_mov_b32_e32 v184, 0
	v_mov_b32_e32 v185, 0
	s_waitcnt lgkmcnt(0)
	v_ashrrev_i32_e32 v186, s1, v179
	v_ashrrev_i32_e32 v187, s1, v180
	ds_read2_b32 v[179:180], v1 offset1:1
	v_and_b32_e32 v229, 0x3030303, v186
	v_and_b32_e32 v230, 0x3030303, v187
	v_mov_b32_e32 v187, 0
	v_mov_b32_e32 v186, 0
	s_waitcnt lgkmcnt(0)
	v_ashrrev_i32_e32 v1, s1, v179
	v_and_b32_sdwa v179, v157, v204 dst_sel:DWORD dst_unused:UNUSED_PAD src0_sel:DWORD src1_sel:BYTE_1
	v_ashrrev_i32_e32 v188, s1, v180
	s_lshr_b32 s1, s0, 2
	v_and_b32_e32 v1, 0x3030303, v1
	v_lshrrev_b32_e32 v189, 4, v179
	v_and_b32_sdwa v179, v157, v206 dst_sel:DWORD dst_unused:UNUSED_PAD src0_sel:DWORD src1_sel:BYTE_1
	v_and_b32_e32 v231, 0x3030303, v188
	v_mov_b32_e32 v188, 0
	s_and_b32 s1, s1, 0x3ffffffc
	v_mul_lo_u32 v232, 0x1010101, v189
	v_lshrrev_b32_e32 v190, 4, v179
	v_and_b32_sdwa v179, v157, v208 dst_sel:DWORD dst_unused:UNUSED_PAD src0_sel:DWORD src1_sel:BYTE_1
	v_mov_b32_e32 v189, 0
	s_addk_i32 s1, 0x7280
	v_mul_lo_u32 v233, 0x1010101, v190
	v_lshrrev_b32_e32 v191, 4, v179
	v_and_b32_sdwa v179, v157, v199 dst_sel:DWORD dst_unused:UNUSED_PAD src0_sel:DWORD src1_sel:BYTE_1
	v_mov_b32_e32 v190, 0
	v_dot4c_i32_i8 v8, v232, v222
	v_mul_lo_u32 v234, 0x1010101, v191
	v_lshrrev_b32_e32 v192, 4, v179
	ds_read_b128 v[179:182], v2 offset:16
	v_mov_b32_e32 v191, 0
	v_dot4c_i32_i8 v6, v233, v222
	v_dot4c_i32_i8 v8, v232, v223
	v_mul_lo_u32 v235, 0x1010101, v192
	v_mov_b32_e32 v192, 0
	v_dot4c_i32_i8 v5, v234, v222
	v_dot4c_i32_i8 v6, v233, v223
	;; [unrolled: 1-line block ×10, first 2 shown]
	s_waitcnt lgkmcnt(0)
	v_dot4c_i32_i8 v226, v47, v179
	v_dot4c_i32_i8 v236, v83, v179
	;; [unrolled: 1-line block ×32, first 2 shown]
	ds_read_b128 v[179:182], v2 offset:1040
	v_dot4c_i32_i8 v4, v235, v224
	v_dot4c_i32_i8 v5, v234, v225
	v_cvt_f32_i32_e32 v6, v6
	v_dot4c_i32_i8 v4, v235, v225
	v_cvt_f32_i32_e32 v5, v5
	v_cvt_f32_i32_e32 v4, v4
	s_waitcnt lgkmcnt(0)
	v_dot4c_i32_i8 v239, v47, v179
	v_dot4c_i32_i8 v240, v83, v179
	;; [unrolled: 1-line block ×32, first 2 shown]
	ds_read_b128 v[179:182], v2 offset:2064
	s_waitcnt lgkmcnt(0)
	v_dot4c_i32_i8 v187, v47, v179
	v_dot4c_i32_i8 v184, v83, v179
	;; [unrolled: 1-line block ×32, first 2 shown]
	ds_read_b128 v[179:182], v2 offset:3088
	v_cvt_f32_i32_e32 v10, v10
	s_waitcnt lgkmcnt(0)
	v_dot4c_i32_i8 v198, v47, v179
	v_dot4c_i32_i8 v195, v83, v179
	;; [unrolled: 1-line block ×32, first 2 shown]
	ds_read_b128 v[179:182], v2 offset:4112
	s_waitcnt lgkmcnt(0)
	v_dot4c_i32_i8 v194, v47, v179
	v_dot4c_i32_i8 v190, v83, v179
	;; [unrolled: 1-line block ×32, first 2 shown]
	ds_read_b128 v[179:182], v2 offset:5136
	s_waitcnt lgkmcnt(0)
	v_dot4c_i32_i8 v203, v47, v179
	v_dot4c_i32_i8 v200, v83, v179
	;; [unrolled: 1-line block ×32, first 2 shown]
	v_mov_b32_e32 v182, 0
	v_mov_b32_e32 v181, 0
	;; [unrolled: 1-line block ×4, first 2 shown]
	v_dot4c_i32_i8 v182, v47, v222
	v_dot4c_i32_i8 v181, v83, v222
	;; [unrolled: 1-line block ×16, first 2 shown]
	ds_read_b128 v[222:225], v2 offset:7184
	v_add_nc_u32_e32 v2, 32, v2
	s_waitcnt lgkmcnt(0)
	v_dot4c_i32_i8 v183, v229, v222
	v_dot4c_i32_i8 v188, v88, v222
	;; [unrolled: 1-line block ×3, first 2 shown]
	v_and_b32_sdwa v47, v204, v158 dst_sel:DWORD dst_unused:UNUSED_PAD src0_sel:BYTE_1 src1_sel:DWORD
	v_dot4c_i32_i8 v189, v83, v222
	v_dot4c_i32_i8 v183, v230, v223
	;; [unrolled: 1-line block ×7, first 2 shown]
	v_and_b32_e32 v1, 15, v204
	v_dot4c_i32_i8 v9, v235, v222
	v_and_b32_e32 v204, 0xffff, v47
	v_dot4c_i32_i8 v193, v80, v223
	v_dot4c_i32_i8 v189, v85, v223
	v_and_b32_e32 v205, 0xffff, v1
	v_dot4c_i32_i8 v28, v232, v223
	v_dot4c_i32_i8 v22, v233, v223
	;; [unrolled: 1-line block ×4, first 2 shown]
	v_mul_lo_u32 v207, v205, v207
	v_and_b32_e32 v1, 15, v206
	v_dot4c_i32_i8 v193, v81, v224
	v_dot4c_i32_i8 v189, v86, v224
	;; [unrolled: 1-line block ×6, first 2 shown]
	v_mad_u64_u32 v[222:223], null, v204, v226, v[207:208]
	v_mul_lo_u32 v207, v221, v205
	v_dot4c_i32_i8 v9, v235, v224
	v_and_b32_sdwa v47, v206, v158 dst_sel:DWORD dst_unused:UNUSED_PAD src0_sel:BYTE_1 src1_sel:DWORD
	v_dot4c_i32_i8 v193, v82, v225
	v_dot4c_i32_i8 v189, v87, v225
	;; [unrolled: 1-line block ×4, first 2 shown]
	v_and_b32_e32 v206, 0xffff, v47
	v_mad_u64_u32 v[223:224], null, v239, v204, v[207:208]
	v_and_b32_e32 v207, 0xffff, v1
	v_dot4c_i32_i8 v28, v232, v225
	v_dot4c_i32_i8 v22, v233, v225
	;; [unrolled: 1-line block ×4, first 2 shown]
	v_mul_lo_u32 v209, v207, v209
	v_and_b32_e32 v1, 15, v208
	v_and_b32_sdwa v47, v208, v158 dst_sel:DWORD dst_unused:UNUSED_PAD src0_sel:BYTE_1 src1_sel:DWORD
	v_cvt_f32_i32_e32 v224, v222
	v_cvt_f32_i32_e32 v223, v223
	;; [unrolled: 1-line block ×3, first 2 shown]
	v_and_b32_e32 v208, 0xffff, v47
	v_mad_u64_u32 v[225:226], null, v206, v236, v[209:210]
	v_mul_lo_u32 v209, v220, v207
	v_and_b32_sdwa v47, v199, v158 dst_sel:DWORD dst_unused:UNUSED_PAD src0_sel:BYTE_1 src1_sel:DWORD
	v_cvt_f32_i32_e32 v222, v225
	v_mad_u64_u32 v[220:221], null, v240, v206, v[209:210]
	v_and_b32_e32 v209, 0xffff, v1
	v_and_b32_e32 v1, 15, v199
	;; [unrolled: 1-line block ×3, first 2 shown]
	v_mul_lo_u32 v210, v209, v210
	v_cvt_f32_i32_e32 v221, v220
	v_mad_u64_u32 v[226:227], null, v208, v237, v[210:211]
	v_mul_lo_u32 v210, v219, v209
	v_cvt_f32_i32_e32 v220, v226
	v_mad_u64_u32 v[227:228], null, v241, v208, v[210:211]
	v_and_b32_e32 v210, 0xffff, v1
	v_add3_u32 v1, s1, v149, v150
	v_mul_lo_u32 v211, v210, v211
	ds_read_b32 v225, v1
	v_cvt_f32_i32_e32 v1, v216
	v_cvt_f32_i32_e32 v219, v227
	v_mad_u64_u32 v[228:229], null, v199, v238, v[211:212]
	v_mul_lo_u32 v211, v212, v210
	v_mad_u64_u32 v[211:212], null, v242, v199, v[211:212]
	v_cvt_f32_i32_e32 v212, v228
	s_waitcnt lgkmcnt(0)
	v_cvt_f32_f16_sdwa v226, v225 dst_sel:DWORD dst_unused:UNUSED_PAD src0_sel:WORD_1
	v_mul_f32_e32 v1, v226, v1
	v_cvt_f32_i32_e32 v211, v211
	v_mul_f32_e32 v10, v226, v10
	v_fma_mix_f32 v224, v225, v224, -v1 op_sel_hi:[1,0,0]
	v_cvt_f32_i32_e32 v1, v218
	v_mul_f32_e32 v1, v226, v1
	v_fma_mix_f32 v218, v225, v223, -v1 op_sel_hi:[1,0,0]
	v_add3_u32 v1, s1, v151, v152
	ds_read_b32 v216, v1
	v_cvt_f32_i32_e32 v1, v215
	s_waitcnt lgkmcnt(0)
	v_cvt_f32_f16_sdwa v215, v216 dst_sel:DWORD dst_unused:UNUSED_PAD src0_sel:WORD_1
	v_mul_f32_e32 v1, v215, v1
	v_mul_f32_e32 v6, v215, v6
	v_fma_mix_f32 v222, v216, v222, -v1 op_sel_hi:[1,0,0]
	v_cvt_f32_i32_e32 v1, v217
	v_mul_f32_e32 v1, v215, v1
	v_fma_mix_f32 v221, v216, v221, -v1 op_sel_hi:[1,0,0]
	v_add3_u32 v1, s1, v153, v154
	ds_read_b32 v217, v1
	v_cvt_f32_i32_e32 v1, v213
	s_waitcnt lgkmcnt(0)
	v_cvt_f32_f16_sdwa v213, v217 dst_sel:DWORD dst_unused:UNUSED_PAD src0_sel:WORD_1
	v_mul_f32_e32 v1, v213, v1
	v_mul_f32_e32 v5, v213, v5
	v_fma_mix_f32 v220, v217, v220, -v1 op_sel_hi:[1,0,0]
	v_cvt_f32_i32_e32 v1, v214
	v_mul_f32_e32 v1, v213, v1
	v_fma_mix_f32 v219, v217, v219, -v1 op_sel_hi:[1,0,0]
	v_add3_u32 v1, s1, v155, v156
	s_add_i32 s1, s0, 2
	s_cmp_lt_u32 s0, 30
	s_mov_b32 s0, s1
	ds_read_b32 v214, v1
	v_cvt_f32_i32_e32 v1, v7
	v_cvt_f32_i32_e32 v7, v15
	s_waitcnt lgkmcnt(0)
	v_cvt_f32_f16_sdwa v47, v214 dst_sel:DWORD dst_unused:UNUSED_PAD src0_sel:WORD_1
	v_mul_f32_e32 v1, v47, v1
	v_mul_f32_e32 v7, v47, v7
	;; [unrolled: 1-line block ×4, first 2 shown]
	v_fma_mix_f32 v1, v214, v212, -v1 op_sel_hi:[1,0,0]
	v_fma_mix_f32 v7, v214, v211, -v7 op_sel_hi:[1,0,0]
	ds_read2_b32 v[211:212], v3 offset1:32
	s_waitcnt lgkmcnt(0)
	v_fmac_f32_e32 v67, v212, v7
	v_mul_lo_u32 v7, v24, v205
	v_fmac_f32_e32 v120, v211, v224
	v_fmac_f32_e32 v92, v212, v218
	;; [unrolled: 1-line block ×7, first 2 shown]
	v_mad_u64_u32 v[211:212], null, v187, v204, v[7:8]
	v_mul_lo_u32 v7, v172, v205
	v_cvt_f32_i32_e32 v1, v211
	v_mad_u64_u32 v[218:219], null, v198, v204, v[7:8]
	v_mul_lo_u32 v7, v25, v207
	v_fma_mix_f32 v1, v225, v1, -v10 op_sel_hi:[1,0,0]
	v_cvt_f32_i32_e32 v10, v11
	v_mul_f32_e32 v10, v215, v10
	v_mad_u64_u32 v[24:25], null, v184, v206, v[7:8]
	v_mul_lo_u32 v7, v26, v209
	v_cvt_f32_i32_e32 v15, v24
	v_mad_u64_u32 v[25:26], null, v185, v208, v[7:8]
	v_mul_lo_u32 v7, v29, v210
	v_fma_mix_f32 v15, v216, v15, -v10 op_sel_hi:[1,0,0]
	v_cvt_f32_i32_e32 v10, v12
	v_cvt_f32_i32_e32 v24, v25
	v_mul_f32_e32 v10, v213, v10
	v_mad_u64_u32 v[184:185], null, v186, v199, v[7:8]
	v_mul_lo_u32 v7, v170, v207
	v_fma_mix_f32 v12, v217, v24, -v10 op_sel_hi:[1,0,0]
	v_cvt_f32_i32_e32 v10, v13
	v_cvt_f32_i32_e32 v25, v184
	v_mad_u64_u32 v[185:186], null, v195, v206, v[7:8]
	v_mul_lo_u32 v7, v173, v209
	v_mul_f32_e32 v10, v47, v10
	v_fma_mix_f32 v13, v214, v25, -v10 op_sel_hi:[1,0,0]
	v_cvt_f32_i32_e32 v10, v32
	v_mad_u64_u32 v[172:173], null, v196, v208, v[7:8]
	v_mul_lo_u32 v7, v174, v210
	v_cvt_f32_i32_e32 v26, v185
	v_mul_f32_e32 v10, v226, v10
	v_cvt_f32_i32_e32 v29, v172
	v_mad_u64_u32 v[173:174], null, v197, v199, v[7:8]
	v_cvt_f32_i32_e32 v7, v218
	v_fma_mix_f32 v7, v225, v7, -v10 op_sel_hi:[1,0,0]
	v_cvt_f32_i32_e32 v10, v34
	v_cvt_f32_i32_e32 v80, v173
	v_mul_f32_e32 v10, v215, v10
	v_fma_mix_f32 v24, v216, v26, -v10 op_sel_hi:[1,0,0]
	v_cvt_f32_i32_e32 v10, v35
	v_mul_f32_e32 v10, v213, v10
	v_fma_mix_f32 v25, v217, v29, -v10 op_sel_hi:[1,0,0]
	;; [unrolled: 3-line block ×3, first 2 shown]
	ds_read2_b32 v[10:11], v3 offset0:64 offset1:96
	s_waitcnt lgkmcnt(0)
	v_fmac_f32_e32 v59, v11, v7
	v_mul_lo_u32 v7, v160, v205
	v_fmac_f32_e32 v65, v10, v1
	v_fmac_f32_e32 v63, v10, v15
	;; [unrolled: 1-line block ×7, first 2 shown]
	v_mad_u64_u32 v[10:11], null, v194, v204, v[7:8]
	v_mul_lo_u32 v7, v176, v205
	v_cvt_f32_i32_e32 v1, v10
	v_mad_u64_u32 v[11:12], null, v203, v204, v[7:8]
	v_mul_lo_u32 v7, v162, v207
	v_mad_u64_u32 v[12:13], null, v190, v206, v[7:8]
	v_mul_lo_u32 v7, v163, v209
	v_cvt_f32_i32_e32 v10, v12
	v_mad_u64_u32 v[24:25], null, v191, v208, v[7:8]
	v_mul_lo_u32 v7, v164, v210
	v_mad_u64_u32 v[25:26], null, v192, v199, v[7:8]
	v_mul_lo_u32 v7, v175, v207
	v_cvt_f32_i32_e32 v12, v25
	v_cvt_f32_i32_e32 v25, v27
	v_mad_u64_u32 v[34:35], null, v200, v206, v[7:8]
	v_mul_lo_u32 v7, v177, v209
	v_mul_f32_e32 v25, v226, v25
	v_cvt_f32_i32_e32 v13, v34
	v_fma_mix_f32 v1, v225, v1, -v25 op_sel_hi:[1,0,0]
	v_cvt_f32_i32_e32 v25, v30
	v_mad_u64_u32 v[35:36], null, v201, v208, v[7:8]
	v_mul_lo_u32 v7, v178, v210
	v_mul_f32_e32 v25, v215, v25
	v_cvt_f32_i32_e32 v15, v35
	v_fma_mix_f32 v25, v216, v10, -v25 op_sel_hi:[1,0,0]
	v_cvt_f32_i32_e32 v10, v31
	v_mad_u64_u32 v[162:163], null, v202, v199, v[7:8]
	v_cvt_f32_i32_e32 v7, v11
	v_cvt_f32_i32_e32 v11, v24
	v_mul_f32_e32 v10, v213, v10
	v_cvt_f32_i32_e32 v24, v162
	v_fma_mix_f32 v26, v217, v11, -v10 op_sel_hi:[1,0,0]
	v_cvt_f32_i32_e32 v10, v33
	v_mul_f32_e32 v10, v47, v10
	v_fma_mix_f32 v12, v214, v12, -v10 op_sel_hi:[1,0,0]
	v_cvt_f32_i32_e32 v10, v166
	v_mul_f32_e32 v10, v226, v10
	;; [unrolled: 3-line block ×5, first 2 shown]
	v_fma_mix_f32 v24, v214, v24, -v10 op_sel_hi:[1,0,0]
	ds_read2_b32 v[10:11], v3 offset0:128 offset1:160
	s_waitcnt lgkmcnt(0)
	v_fmac_f32_e32 v49, v11, v7
	v_mul_lo_u32 v7, v23, v205
	v_fmac_f32_e32 v53, v10, v1
	v_fmac_f32_e32 v52, v10, v25
	;; [unrolled: 1-line block ×7, first 2 shown]
	v_mad_u64_u32 v[10:11], null, v182, v204, v[7:8]
	v_mul_lo_u32 v7, v169, v205
	v_cvt_f32_i32_e32 v1, v10
	v_cvt_f32_i32_e32 v10, v28
	v_mad_u64_u32 v[11:12], null, v193, v204, v[7:8]
	v_mul_lo_u32 v7, v21, v207
	v_mul_f32_e32 v10, v226, v10
	v_mad_u64_u32 v[12:13], null, v181, v206, v[7:8]
	v_mul_lo_u32 v7, v165, v207
	v_mad_u64_u32 v[23:24], null, v189, v206, v[7:8]
	v_mul_lo_u32 v7, v17, v209
	;; [unrolled: 2-line block ×5, first 2 shown]
	v_mad_u64_u32 v[16:17], null, v183, v199, v[7:8]
	v_cvt_f32_i32_e32 v8, v8
	v_cvt_f32_i32_e32 v7, v11
	;; [unrolled: 1-line block ×3, first 2 shown]
	v_mul_f32_e32 v8, v226, v8
	v_fma_mix_f32 v7, v225, v7, -v10 op_sel_hi:[1,0,0]
	v_cvt_f32_i32_e32 v10, v23
	v_mul_f32_e32 v11, v215, v11
	v_fma_mix_f32 v1, v225, v1, -v8 op_sel_hi:[1,0,0]
	v_cvt_f32_i32_e32 v8, v12
	v_cvt_f32_i32_e32 v12, v14
	v_fma_mix_f32 v6, v216, v8, -v6 op_sel_hi:[1,0,0]
	v_fma_mix_f32 v8, v216, v10, -v11 op_sel_hi:[1,0,0]
	v_cvt_f32_i32_e32 v10, v24
	v_cvt_f32_i32_e32 v11, v25
	v_mul_f32_e32 v12, v213, v12
	v_fma_mix_f32 v10, v217, v10, -v5 op_sel_hi:[1,0,0]
	v_cvt_f32_i32_e32 v5, v15
	v_fma_mix_f32 v11, v217, v11, -v12 op_sel_hi:[1,0,0]
	v_cvt_f32_i32_e32 v12, v16
	v_fma_mix_f32 v13, v214, v5, -v4 op_sel_hi:[1,0,0]
	ds_read2_b32 v[4:5], v3 offset0:192 offset1:224
	v_fma_mix_f32 v9, v214, v12, -v9 op_sel_hi:[1,0,0]
	v_add_nc_u32_e32 v3, 4, v3
	s_waitcnt lgkmcnt(0)
	v_fmac_f32_e32 v44, v4, v1
	v_fmac_f32_e32 v43, v4, v6
	;; [unrolled: 1-line block ×8, first 2 shown]
	s_cbranch_scc1 .LBB127_14
; %bb.15:                               ;   in Loop: Header=BB127_6 Depth=1
	s_barrier
	buffer_gl0_inv
	s_branch .LBB127_5
.LBB127_16:
	s_clause 0x1
	buffer_load_dword v2, off, s[16:19], 0 offset:4
	buffer_load_dword v1, off, s[16:19], 0
.LBB127_17:
	s_mov_b32 s0, exec_lo
	s_waitcnt vmcnt(1)
	v_cmpx_gt_u32_e64 s8, v2
	s_cbranch_execz .LBB127_68
; %bb.18:
	v_add_nc_u32_e32 v0, s6, v0
	v_mul_lo_u32 v5, v2, s10
	v_cmp_gt_u32_e32 vcc_lo, s10, v0
	s_and_saveexec_b32 s1, vcc_lo
	s_cbranch_execz .LBB127_20
; %bb.19:
	v_add_nc_u32_e32 v2, v0, v5
	v_mov_b32_e32 v3, 0
	v_lshlrev_b64 v[2:3], 2, v[2:3]
	s_waitcnt lgkmcnt(0)
	v_add_co_u32 v2, s0, s12, v2
	v_add_co_ci_u32_e64 v3, null, s13, v3, s0
	global_store_dword v[2:3], v120, off
.LBB127_20:
	s_or_b32 exec_lo, exec_lo, s1
	v_add_nc_u32_e32 v2, 32, v0
	v_cmp_gt_u32_e64 s0, s10, v2
	s_and_saveexec_b32 s2, s0
	s_cbranch_execz .LBB127_22
; %bb.21:
	v_add_nc_u32_e32 v3, v2, v5
	v_mov_b32_e32 v4, 0
	v_lshlrev_b64 v[3:4], 2, v[3:4]
	s_waitcnt lgkmcnt(0)
	v_add_co_u32 v3, s1, s12, v3
	v_add_co_ci_u32_e64 v4, null, s13, v4, s1
	global_store_dword v[3:4], v112, off
.LBB127_22:
	s_or_b32 exec_lo, exec_lo, s2
	v_add_nc_u32_e32 v3, 64, v0
	v_cmp_gt_u32_e64 s1, s10, v3
	s_and_saveexec_b32 s3, s1
	;; [unrolled: 14-line block ×3, first 2 shown]
	s_cbranch_execz .LBB127_26
; %bb.25:
	v_add_nc_u32_e32 v5, v4, v5
	v_mov_b32_e32 v6, 0
	v_lshlrev_b64 v[5:6], 2, v[5:6]
	s_waitcnt lgkmcnt(0)
	v_add_co_u32 v5, s3, s12, v5
	v_add_co_ci_u32_e64 v6, null, s13, v6, s3
	global_store_dword v[5:6], v104, off
.LBB127_26:
	s_or_b32 exec_lo, exec_lo, s4
	s_waitcnt vmcnt(0)
	v_add3_u32 v5, v1, s7, 8
	v_cmp_gt_u32_e64 s3, s8, v5
	s_and_b32 exec_lo, exec_lo, s3
	s_cbranch_execz .LBB127_68
; %bb.27:
	v_mul_lo_u32 v5, v5, s10
	s_and_saveexec_b32 s4, vcc_lo
	s_cbranch_execnz .LBB127_69
; %bb.28:
	s_or_b32 exec_lo, exec_lo, s4
	s_and_saveexec_b32 s4, s0
	s_cbranch_execnz .LBB127_70
.LBB127_29:
	s_or_b32 exec_lo, exec_lo, s4
	s_and_saveexec_b32 s4, s1
	s_cbranch_execnz .LBB127_71
.LBB127_30:
	s_or_b32 exec_lo, exec_lo, s4
	s_and_saveexec_b32 s4, s2
	s_cbranch_execz .LBB127_32
.LBB127_31:
	v_add_nc_u32_e32 v5, v5, v4
	v_mov_b32_e32 v6, 0
	v_lshlrev_b64 v[5:6], 2, v[5:6]
	s_waitcnt lgkmcnt(0)
	v_add_co_u32 v5, s3, s12, v5
	v_add_co_ci_u32_e64 v6, null, s13, v6, s3
	global_store_dword v[5:6], v67, off
.LBB127_32:
	s_or_b32 exec_lo, exec_lo, s4
	v_add3_u32 v5, v1, s7, 16
	v_cmp_gt_u32_e64 s3, s8, v5
	s_and_b32 exec_lo, exec_lo, s3
	s_cbranch_execz .LBB127_68
; %bb.33:
	v_mul_lo_u32 v5, v5, s10
	s_and_saveexec_b32 s4, vcc_lo
	s_cbranch_execnz .LBB127_72
; %bb.34:
	s_or_b32 exec_lo, exec_lo, s4
	s_and_saveexec_b32 s4, s0
	s_cbranch_execnz .LBB127_73
.LBB127_35:
	s_or_b32 exec_lo, exec_lo, s4
	s_and_saveexec_b32 s4, s1
	s_cbranch_execnz .LBB127_74
.LBB127_36:
	s_or_b32 exec_lo, exec_lo, s4
	s_and_saveexec_b32 s4, s2
	s_cbranch_execz .LBB127_38
.LBB127_37:
	v_add_nc_u32_e32 v5, v5, v4
	v_mov_b32_e32 v6, 0
	v_lshlrev_b64 v[5:6], 2, v[5:6]
	s_waitcnt lgkmcnt(0)
	v_add_co_u32 v5, s3, s12, v5
	v_add_co_ci_u32_e64 v6, null, s13, v6, s3
	global_store_dword v[5:6], v61, off
.LBB127_38:
	s_or_b32 exec_lo, exec_lo, s4
	v_add3_u32 v5, v1, s7, 24
	v_cmp_gt_u32_e64 s3, s8, v5
	s_and_b32 exec_lo, exec_lo, s3
	s_cbranch_execz .LBB127_68
; %bb.39:
	v_mul_lo_u32 v5, v5, s10
	s_and_saveexec_b32 s4, vcc_lo
	s_cbranch_execnz .LBB127_75
; %bb.40:
	s_or_b32 exec_lo, exec_lo, s4
	s_and_saveexec_b32 s4, s0
	s_cbranch_execnz .LBB127_76
.LBB127_41:
	s_or_b32 exec_lo, exec_lo, s4
	s_and_saveexec_b32 s4, s1
	s_cbranch_execnz .LBB127_77
.LBB127_42:
	s_or_b32 exec_lo, exec_lo, s4
	s_and_saveexec_b32 s4, s2
	s_cbranch_execz .LBB127_44
.LBB127_43:
	v_add_nc_u32_e32 v5, v5, v4
	v_mov_b32_e32 v6, 0
	v_lshlrev_b64 v[5:6], 2, v[5:6]
	s_waitcnt lgkmcnt(0)
	v_add_co_u32 v5, s3, s12, v5
	v_add_co_ci_u32_e64 v6, null, s13, v6, s3
	global_store_dword v[5:6], v55, off
.LBB127_44:
	s_or_b32 exec_lo, exec_lo, s4
	v_add3_u32 v5, v1, s7, 32
	v_cmp_gt_u32_e64 s3, s8, v5
	s_and_b32 exec_lo, exec_lo, s3
	s_cbranch_execz .LBB127_68
; %bb.45:
	v_mul_lo_u32 v5, v5, s10
	s_and_saveexec_b32 s4, vcc_lo
	s_cbranch_execnz .LBB127_78
; %bb.46:
	s_or_b32 exec_lo, exec_lo, s4
	s_and_saveexec_b32 s4, s0
	s_cbranch_execnz .LBB127_79
.LBB127_47:
	s_or_b32 exec_lo, exec_lo, s4
	s_and_saveexec_b32 s4, s1
	s_cbranch_execnz .LBB127_80
.LBB127_48:
	s_or_b32 exec_lo, exec_lo, s4
	s_and_saveexec_b32 s4, s2
	s_cbranch_execz .LBB127_50
.LBB127_49:
	v_add_nc_u32_e32 v5, v5, v4
	v_mov_b32_e32 v6, 0
	v_lshlrev_b64 v[5:6], 2, v[5:6]
	s_waitcnt lgkmcnt(0)
	v_add_co_u32 v5, s3, s12, v5
	v_add_co_ci_u32_e64 v6, null, s13, v6, s3
	global_store_dword v[5:6], v50, off
.LBB127_50:
	s_or_b32 exec_lo, exec_lo, s4
	v_add3_u32 v5, v1, s7, 40
	v_cmp_gt_u32_e64 s3, s8, v5
	s_and_b32 exec_lo, exec_lo, s3
	s_cbranch_execz .LBB127_68
; %bb.51:
	v_mul_lo_u32 v5, v5, s10
	s_and_saveexec_b32 s4, vcc_lo
	s_cbranch_execnz .LBB127_81
; %bb.52:
	s_or_b32 exec_lo, exec_lo, s4
	s_and_saveexec_b32 s4, s0
	s_cbranch_execnz .LBB127_82
.LBB127_53:
	s_or_b32 exec_lo, exec_lo, s4
	s_and_saveexec_b32 s4, s1
	s_cbranch_execnz .LBB127_83
.LBB127_54:
	s_or_b32 exec_lo, exec_lo, s4
	s_and_saveexec_b32 s4, s2
	s_cbranch_execz .LBB127_56
.LBB127_55:
	v_add_nc_u32_e32 v5, v5, v4
	v_mov_b32_e32 v6, 0
	v_lshlrev_b64 v[5:6], 2, v[5:6]
	s_waitcnt lgkmcnt(0)
	v_add_co_u32 v5, s3, s12, v5
	v_add_co_ci_u32_e64 v6, null, s13, v6, s3
	global_store_dword v[5:6], v45, off
.LBB127_56:
	s_or_b32 exec_lo, exec_lo, s4
	v_add3_u32 v5, v1, s7, 48
	v_cmp_gt_u32_e64 s3, s8, v5
	s_and_b32 exec_lo, exec_lo, s3
	s_cbranch_execz .LBB127_68
; %bb.57:
	v_mul_lo_u32 v5, v5, s10
	s_and_saveexec_b32 s4, vcc_lo
	s_cbranch_execnz .LBB127_84
; %bb.58:
	s_or_b32 exec_lo, exec_lo, s4
	s_and_saveexec_b32 s4, s0
	s_cbranch_execnz .LBB127_85
.LBB127_59:
	s_or_b32 exec_lo, exec_lo, s4
	s_and_saveexec_b32 s4, s1
	s_cbranch_execnz .LBB127_86
.LBB127_60:
	s_or_b32 exec_lo, exec_lo, s4
	s_and_saveexec_b32 s4, s2
	s_cbranch_execz .LBB127_62
.LBB127_61:
	v_add_nc_u32_e32 v5, v5, v4
	v_mov_b32_e32 v6, 0
	v_lshlrev_b64 v[5:6], 2, v[5:6]
	s_waitcnt lgkmcnt(0)
	v_add_co_u32 v5, s3, s12, v5
	v_add_co_ci_u32_e64 v6, null, s13, v6, s3
	global_store_dword v[5:6], v41, off
.LBB127_62:
	s_or_b32 exec_lo, exec_lo, s4
	v_add3_u32 v1, v1, s7, 56
	v_cmp_gt_u32_e64 s3, s8, v1
	s_and_b32 exec_lo, exec_lo, s3
	s_cbranch_execz .LBB127_68
; %bb.63:
	v_mul_lo_u32 v1, v1, s10
	s_and_saveexec_b32 s3, vcc_lo
	s_cbranch_execnz .LBB127_87
; %bb.64:
	s_or_b32 exec_lo, exec_lo, s3
	s_and_saveexec_b32 s3, s0
	s_cbranch_execnz .LBB127_88
.LBB127_65:
	s_or_b32 exec_lo, exec_lo, s3
	s_and_saveexec_b32 s0, s1
	s_cbranch_execnz .LBB127_89
.LBB127_66:
	s_or_b32 exec_lo, exec_lo, s0
	s_and_b32 exec_lo, exec_lo, s2
	s_cbranch_execz .LBB127_68
.LBB127_67:
	v_add_nc_u32_e32 v0, v1, v4
	v_mov_b32_e32 v1, 0
	v_lshlrev_b64 v[0:1], 2, v[0:1]
	s_waitcnt lgkmcnt(0)
	v_add_co_u32 v0, vcc_lo, s12, v0
	v_add_co_ci_u32_e64 v1, null, s13, v1, vcc_lo
	global_store_dword v[0:1], v37, off
.LBB127_68:
	s_endpgm
.LBB127_69:
	v_add_nc_u32_e32 v6, v5, v0
	v_mov_b32_e32 v7, 0
	v_lshlrev_b64 v[6:7], 2, v[6:7]
	s_waitcnt lgkmcnt(0)
	v_add_co_u32 v6, s3, s12, v6
	v_add_co_ci_u32_e64 v7, null, s13, v7, s3
	global_store_dword v[6:7], v92, off
	s_or_b32 exec_lo, exec_lo, s4
	s_and_saveexec_b32 s4, s0
	s_cbranch_execz .LBB127_29
.LBB127_70:
	v_add_nc_u32_e32 v6, v5, v2
	v_mov_b32_e32 v7, 0
	v_lshlrev_b64 v[6:7], 2, v[6:7]
	s_waitcnt lgkmcnt(0)
	v_add_co_u32 v6, s3, s12, v6
	v_add_co_ci_u32_e64 v7, null, s13, v7, s3
	global_store_dword v[6:7], v77, off
	s_or_b32 exec_lo, exec_lo, s4
	s_and_saveexec_b32 s4, s1
	s_cbranch_execz .LBB127_30
.LBB127_71:
	v_add_nc_u32_e32 v6, v5, v3
	v_mov_b32_e32 v7, 0
	v_lshlrev_b64 v[6:7], 2, v[6:7]
	s_waitcnt lgkmcnt(0)
	v_add_co_u32 v6, s3, s12, v6
	v_add_co_ci_u32_e64 v7, null, s13, v7, s3
	global_store_dword v[6:7], v71, off
	s_or_b32 exec_lo, exec_lo, s4
	s_and_saveexec_b32 s4, s2
	s_cbranch_execnz .LBB127_31
	s_branch .LBB127_32
.LBB127_72:
	v_add_nc_u32_e32 v6, v5, v0
	v_mov_b32_e32 v7, 0
	v_lshlrev_b64 v[6:7], 2, v[6:7]
	s_waitcnt lgkmcnt(0)
	v_add_co_u32 v6, s3, s12, v6
	v_add_co_ci_u32_e64 v7, null, s13, v7, s3
	global_store_dword v[6:7], v65, off
	s_or_b32 exec_lo, exec_lo, s4
	s_and_saveexec_b32 s4, s0
	s_cbranch_execz .LBB127_35
.LBB127_73:
	v_add_nc_u32_e32 v6, v5, v2
	v_mov_b32_e32 v7, 0
	v_lshlrev_b64 v[6:7], 2, v[6:7]
	s_waitcnt lgkmcnt(0)
	v_add_co_u32 v6, s3, s12, v6
	v_add_co_ci_u32_e64 v7, null, s13, v7, s3
	global_store_dword v[6:7], v63, off
	s_or_b32 exec_lo, exec_lo, s4
	s_and_saveexec_b32 s4, s1
	s_cbranch_execz .LBB127_36
.LBB127_74:
	v_add_nc_u32_e32 v6, v5, v3
	v_mov_b32_e32 v7, 0
	v_lshlrev_b64 v[6:7], 2, v[6:7]
	s_waitcnt lgkmcnt(0)
	v_add_co_u32 v6, s3, s12, v6
	v_add_co_ci_u32_e64 v7, null, s13, v7, s3
	global_store_dword v[6:7], v62, off
	s_or_b32 exec_lo, exec_lo, s4
	s_and_saveexec_b32 s4, s2
	s_cbranch_execnz .LBB127_37
	s_branch .LBB127_38
.LBB127_75:
	v_add_nc_u32_e32 v6, v5, v0
	v_mov_b32_e32 v7, 0
	v_lshlrev_b64 v[6:7], 2, v[6:7]
	s_waitcnt lgkmcnt(0)
	v_add_co_u32 v6, s3, s12, v6
	v_add_co_ci_u32_e64 v7, null, s13, v7, s3
	global_store_dword v[6:7], v59, off
	s_or_b32 exec_lo, exec_lo, s4
	s_and_saveexec_b32 s4, s0
	s_cbranch_execz .LBB127_41
.LBB127_76:
	v_add_nc_u32_e32 v6, v5, v2
	v_mov_b32_e32 v7, 0
	v_lshlrev_b64 v[6:7], 2, v[6:7]
	s_waitcnt lgkmcnt(0)
	v_add_co_u32 v6, s3, s12, v6
	v_add_co_ci_u32_e64 v7, null, s13, v7, s3
	global_store_dword v[6:7], v57, off
	s_or_b32 exec_lo, exec_lo, s4
	s_and_saveexec_b32 s4, s1
	s_cbranch_execz .LBB127_42
.LBB127_77:
	v_add_nc_u32_e32 v6, v5, v3
	v_mov_b32_e32 v7, 0
	v_lshlrev_b64 v[6:7], 2, v[6:7]
	s_waitcnt lgkmcnt(0)
	v_add_co_u32 v6, s3, s12, v6
	v_add_co_ci_u32_e64 v7, null, s13, v7, s3
	global_store_dword v[6:7], v56, off
	s_or_b32 exec_lo, exec_lo, s4
	s_and_saveexec_b32 s4, s2
	s_cbranch_execnz .LBB127_43
	s_branch .LBB127_44
.LBB127_78:
	v_add_nc_u32_e32 v6, v5, v0
	v_mov_b32_e32 v7, 0
	v_lshlrev_b64 v[6:7], 2, v[6:7]
	s_waitcnt lgkmcnt(0)
	v_add_co_u32 v6, s3, s12, v6
	v_add_co_ci_u32_e64 v7, null, s13, v7, s3
	global_store_dword v[6:7], v53, off
	s_or_b32 exec_lo, exec_lo, s4
	s_and_saveexec_b32 s4, s0
	s_cbranch_execz .LBB127_47
.LBB127_79:
	v_add_nc_u32_e32 v6, v5, v2
	v_mov_b32_e32 v7, 0
	v_lshlrev_b64 v[6:7], 2, v[6:7]
	s_waitcnt lgkmcnt(0)
	v_add_co_u32 v6, s3, s12, v6
	v_add_co_ci_u32_e64 v7, null, s13, v7, s3
	global_store_dword v[6:7], v52, off
	s_or_b32 exec_lo, exec_lo, s4
	s_and_saveexec_b32 s4, s1
	s_cbranch_execz .LBB127_48
.LBB127_80:
	v_add_nc_u32_e32 v6, v5, v3
	v_mov_b32_e32 v7, 0
	v_lshlrev_b64 v[6:7], 2, v[6:7]
	s_waitcnt lgkmcnt(0)
	v_add_co_u32 v6, s3, s12, v6
	v_add_co_ci_u32_e64 v7, null, s13, v7, s3
	global_store_dword v[6:7], v51, off
	s_or_b32 exec_lo, exec_lo, s4
	s_and_saveexec_b32 s4, s2
	s_cbranch_execnz .LBB127_49
	s_branch .LBB127_50
.LBB127_81:
	v_add_nc_u32_e32 v6, v5, v0
	v_mov_b32_e32 v7, 0
	v_lshlrev_b64 v[6:7], 2, v[6:7]
	s_waitcnt lgkmcnt(0)
	v_add_co_u32 v6, s3, s12, v6
	v_add_co_ci_u32_e64 v7, null, s13, v7, s3
	global_store_dword v[6:7], v49, off
	s_or_b32 exec_lo, exec_lo, s4
	s_and_saveexec_b32 s4, s0
	s_cbranch_execz .LBB127_53
.LBB127_82:
	v_add_nc_u32_e32 v6, v5, v2
	v_mov_b32_e32 v7, 0
	v_lshlrev_b64 v[6:7], 2, v[6:7]
	s_waitcnt lgkmcnt(0)
	v_add_co_u32 v6, s3, s12, v6
	v_add_co_ci_u32_e64 v7, null, s13, v7, s3
	global_store_dword v[6:7], v48, off
	s_or_b32 exec_lo, exec_lo, s4
	s_and_saveexec_b32 s4, s1
	s_cbranch_execz .LBB127_54
.LBB127_83:
	v_add_nc_u32_e32 v6, v5, v3
	v_mov_b32_e32 v7, 0
	v_lshlrev_b64 v[6:7], 2, v[6:7]
	s_waitcnt lgkmcnt(0)
	v_add_co_u32 v6, s3, s12, v6
	v_add_co_ci_u32_e64 v7, null, s13, v7, s3
	global_store_dword v[6:7], v46, off
	s_or_b32 exec_lo, exec_lo, s4
	s_and_saveexec_b32 s4, s2
	s_cbranch_execnz .LBB127_55
	s_branch .LBB127_56
.LBB127_84:
	v_add_nc_u32_e32 v6, v5, v0
	v_mov_b32_e32 v7, 0
	v_lshlrev_b64 v[6:7], 2, v[6:7]
	s_waitcnt lgkmcnt(0)
	v_add_co_u32 v6, s3, s12, v6
	v_add_co_ci_u32_e64 v7, null, s13, v7, s3
	global_store_dword v[6:7], v44, off
	s_or_b32 exec_lo, exec_lo, s4
	s_and_saveexec_b32 s4, s0
	s_cbranch_execz .LBB127_59
.LBB127_85:
	v_add_nc_u32_e32 v6, v5, v2
	v_mov_b32_e32 v7, 0
	v_lshlrev_b64 v[6:7], 2, v[6:7]
	s_waitcnt lgkmcnt(0)
	v_add_co_u32 v6, s3, s12, v6
	v_add_co_ci_u32_e64 v7, null, s13, v7, s3
	global_store_dword v[6:7], v43, off
	s_or_b32 exec_lo, exec_lo, s4
	s_and_saveexec_b32 s4, s1
	s_cbranch_execz .LBB127_60
.LBB127_86:
	v_add_nc_u32_e32 v6, v5, v3
	v_mov_b32_e32 v7, 0
	v_lshlrev_b64 v[6:7], 2, v[6:7]
	s_waitcnt lgkmcnt(0)
	v_add_co_u32 v6, s3, s12, v6
	v_add_co_ci_u32_e64 v7, null, s13, v7, s3
	global_store_dword v[6:7], v42, off
	s_or_b32 exec_lo, exec_lo, s4
	s_and_saveexec_b32 s4, s2
	s_cbranch_execnz .LBB127_61
	s_branch .LBB127_62
.LBB127_87:
	v_add_nc_u32_e32 v5, v1, v0
	v_mov_b32_e32 v6, 0
	v_lshlrev_b64 v[5:6], 2, v[5:6]
	s_waitcnt lgkmcnt(0)
	v_add_co_u32 v5, vcc_lo, s12, v5
	v_add_co_ci_u32_e64 v6, null, s13, v6, vcc_lo
	global_store_dword v[5:6], v40, off
	s_or_b32 exec_lo, exec_lo, s3
	s_and_saveexec_b32 s3, s0
	s_cbranch_execz .LBB127_65
.LBB127_88:
	v_add_nc_u32_e32 v5, v1, v2
	v_mov_b32_e32 v6, 0
	v_lshlrev_b64 v[5:6], 2, v[5:6]
	s_waitcnt lgkmcnt(0)
	v_add_co_u32 v5, vcc_lo, s12, v5
	v_add_co_ci_u32_e64 v6, null, s13, v6, vcc_lo
	global_store_dword v[5:6], v39, off
	s_or_b32 exec_lo, exec_lo, s3
	s_and_saveexec_b32 s0, s1
	s_cbranch_execz .LBB127_66
.LBB127_89:
	v_add_nc_u32_e32 v2, v1, v3
	v_mov_b32_e32 v3, 0
	v_lshlrev_b64 v[2:3], 2, v[2:3]
	s_waitcnt lgkmcnt(0)
	v_add_co_u32 v2, vcc_lo, s12, v2
	v_add_co_ci_u32_e64 v3, null, s13, v3, vcc_lo
	global_store_dword v[2:3], v38, off
	s_or_b32 exec_lo, exec_lo, s0
	s_and_b32 exec_lo, exec_lo, s2
	s_cbranch_execnz .LBB127_67
	s_branch .LBB127_68
	.section	.rodata,"a",@progbits
	.p2align	6, 0x0
	.amdhsa_kernel _ZL12mul_mat_q2_KIfLb0EEvPKvS1_PT_iiiii
		.amdhsa_group_segment_fixed_size 31392
		.amdhsa_private_segment_fixed_size 12
		.amdhsa_kernarg_size 44
		.amdhsa_user_sgpr_count 6
		.amdhsa_user_sgpr_private_segment_buffer 1
		.amdhsa_user_sgpr_dispatch_ptr 0
		.amdhsa_user_sgpr_queue_ptr 0
		.amdhsa_user_sgpr_kernarg_segment_ptr 1
		.amdhsa_user_sgpr_dispatch_id 0
		.amdhsa_user_sgpr_flat_scratch_init 0
		.amdhsa_user_sgpr_private_segment_size 0
		.amdhsa_wavefront_size32 1
		.amdhsa_uses_dynamic_stack 0
		.amdhsa_system_sgpr_private_segment_wavefront_offset 1
		.amdhsa_system_sgpr_workgroup_id_x 1
		.amdhsa_system_sgpr_workgroup_id_y 1
		.amdhsa_system_sgpr_workgroup_id_z 0
		.amdhsa_system_sgpr_workgroup_info 0
		.amdhsa_system_vgpr_workitem_id 1
		.amdhsa_next_free_vgpr 256
		.amdhsa_next_free_sgpr 20
		.amdhsa_reserve_vcc 1
		.amdhsa_reserve_flat_scratch 0
		.amdhsa_float_round_mode_32 0
		.amdhsa_float_round_mode_16_64 0
		.amdhsa_float_denorm_mode_32 3
		.amdhsa_float_denorm_mode_16_64 3
		.amdhsa_dx10_clamp 1
		.amdhsa_ieee_mode 1
		.amdhsa_fp16_overflow 0
		.amdhsa_workgroup_processor_mode 1
		.amdhsa_memory_ordered 1
		.amdhsa_forward_progress 1
		.amdhsa_shared_vgpr_count 0
		.amdhsa_exception_fp_ieee_invalid_op 0
		.amdhsa_exception_fp_denorm_src 0
		.amdhsa_exception_fp_ieee_div_zero 0
		.amdhsa_exception_fp_ieee_overflow 0
		.amdhsa_exception_fp_ieee_underflow 0
		.amdhsa_exception_fp_ieee_inexact 0
		.amdhsa_exception_int_div_zero 0
	.end_amdhsa_kernel
	.section	.text._ZL12mul_mat_q2_KIfLb0EEvPKvS1_PT_iiiii,"axG",@progbits,_ZL12mul_mat_q2_KIfLb0EEvPKvS1_PT_iiiii,comdat
.Lfunc_end127:
	.size	_ZL12mul_mat_q2_KIfLb0EEvPKvS1_PT_iiiii, .Lfunc_end127-_ZL12mul_mat_q2_KIfLb0EEvPKvS1_PT_iiiii
                                        ; -- End function
	.set _ZL12mul_mat_q2_KIfLb0EEvPKvS1_PT_iiiii.num_vgpr, 256
	.set _ZL12mul_mat_q2_KIfLb0EEvPKvS1_PT_iiiii.num_agpr, 0
	.set _ZL12mul_mat_q2_KIfLb0EEvPKvS1_PT_iiiii.numbered_sgpr, 20
	.set _ZL12mul_mat_q2_KIfLb0EEvPKvS1_PT_iiiii.num_named_barrier, 0
	.set _ZL12mul_mat_q2_KIfLb0EEvPKvS1_PT_iiiii.private_seg_size, 12
	.set _ZL12mul_mat_q2_KIfLb0EEvPKvS1_PT_iiiii.uses_vcc, 1
	.set _ZL12mul_mat_q2_KIfLb0EEvPKvS1_PT_iiiii.uses_flat_scratch, 0
	.set _ZL12mul_mat_q2_KIfLb0EEvPKvS1_PT_iiiii.has_dyn_sized_stack, 0
	.set _ZL12mul_mat_q2_KIfLb0EEvPKvS1_PT_iiiii.has_recursion, 0
	.set _ZL12mul_mat_q2_KIfLb0EEvPKvS1_PT_iiiii.has_indirect_call, 0
	.section	.AMDGPU.csdata,"",@progbits
; Kernel info:
; codeLenInByte = 26836
; TotalNumSgprs: 22
; NumVgprs: 256
; ScratchSize: 12
; MemoryBound: 0
; FloatMode: 240
; IeeeMode: 1
; LDSByteSize: 31392 bytes/workgroup (compile time only)
; SGPRBlocks: 0
; VGPRBlocks: 31
; NumSGPRsForWavesPerEU: 22
; NumVGPRsForWavesPerEU: 256
; Occupancy: 4
; WaveLimiterHint : 0
; COMPUTE_PGM_RSRC2:SCRATCH_EN: 1
; COMPUTE_PGM_RSRC2:USER_SGPR: 6
; COMPUTE_PGM_RSRC2:TRAP_HANDLER: 0
; COMPUTE_PGM_RSRC2:TGID_X_EN: 1
; COMPUTE_PGM_RSRC2:TGID_Y_EN: 1
; COMPUTE_PGM_RSRC2:TGID_Z_EN: 0
; COMPUTE_PGM_RSRC2:TIDIG_COMP_CNT: 1
	.section	.text._ZL12mul_mat_q2_KIfLb1EEvPKvS1_PT_iiiii,"axG",@progbits,_ZL12mul_mat_q2_KIfLb1EEvPKvS1_PT_iiiii,comdat
	.globl	_ZL12mul_mat_q2_KIfLb1EEvPKvS1_PT_iiiii ; -- Begin function _ZL12mul_mat_q2_KIfLb1EEvPKvS1_PT_iiiii
	.p2align	8
	.type	_ZL12mul_mat_q2_KIfLb1EEvPKvS1_PT_iiiii,@function
_ZL12mul_mat_q2_KIfLb1EEvPKvS1_PT_iiiii: ; @_ZL12mul_mat_q2_KIfLb1EEvPKvS1_PT_iiiii
; %bb.0:
	s_mov_b64 s[18:19], s[2:3]
	s_mov_b64 s[16:17], s[0:1]
	s_add_u32 s16, s16, s8
	s_clause 0x1
	s_load_dwordx4 s[8:11], s[4:5], 0x18
	s_load_dword s14, s[4:5], 0x28
	s_addc_u32 s17, s17, 0
	s_lshl_b32 s7, s7, 6
	v_add_nc_u32_e32 v16, s7, v1
	s_waitcnt lgkmcnt(0)
	s_cmpk_gt_i32 s8, 0xff
	s_cbranch_scc1 .LBB128_2
; %bb.1:
	v_add_nc_u32_e32 v2, s7, v1
	s_mov_b32 s0, 0
	s_branch .LBB128_3
.LBB128_2:
	s_mov_b32 s0, -1
                                        ; implicit-def: $vgpr2
.LBB128_3:
	s_load_dwordx2 s[12:13], s[4:5], 0x10
	v_mov_b32_e32 v53, 0
	v_mov_b32_e32 v57, 0
	;; [unrolled: 1-line block ×32, first 2 shown]
	s_andn2_b32 vcc_lo, exec_lo, s0
	s_lshl_b32 s6, s6, 7
	s_cbranch_vccnz .LBB128_17
; %bb.4:
	s_load_dwordx4 s[0:3], s[4:5], 0x0
	s_ashr_i32 s4, s8, 31
	s_ashr_i32 s5, s11, 31
	s_lshr_b32 s4, s4, 24
	s_lshr_b32 s5, s5, 27
	s_add_i32 s4, s8, s4
	s_add_i32 s5, s11, s5
	s_ashr_i32 s4, s4, 8
	s_ashr_i32 s11, s5, 5
	s_mul_i32 s8, s4, s6
	v_add_nc_u32_e32 v17, 8, v1
	s_mul_i32 s5, s8, 0x54
	s_mul_hi_i32 s8, s8, 0x54
	v_lshlrev_b32_e32 v2, 2, v0
	v_add_nc_u32_e32 v38, 16, v1
	v_add_nc_u32_e32 v39, 24, v1
	;; [unrolled: 1-line block ×6, first 2 shown]
	s_waitcnt lgkmcnt(0)
	s_add_u32 s5, s0, s5
	s_addc_u32 s8, s1, s8
	s_not_b32 s0, s6
	v_lshlrev_b32_e32 v44, 4, v1
	s_add_i32 s0, s9, s0
	v_lshrrev_b32_e32 v8, 3, v0
	v_min_i32_e32 v3, s0, v1
	v_min_i32_e32 v4, s0, v17
	;; [unrolled: 1-line block ×3, first 2 shown]
	v_add_nc_u32_e32 v9, 16, v16
	v_lshl_add_u32 v35, v1, 2, v8
	v_mul_lo_u32 v6, v3, s4
	v_mov_b32_e32 v19, v8
	v_and_b32_e32 v8, 7, v0
	v_add_nc_u32_e32 v11, 24, v16
	v_min_i32_e32 v45, s0, v35
	v_add_nc_u32_e32 v13, 32, v16
	v_add_nc_u32_e32 v15, 40, v16
	v_lshlrev_b32_e32 v49, 2, v8
	buffer_store_dword v6, off, s[16:19], 0 ; 4-byte Folded Spill
	v_mad_u64_u32 v[6:7], null, 0x84, v3, v[2:3]
	v_mul_lo_u32 v3, v4, s4
	s_add_i32 s1, s10, -1
	v_cvt_f64_u32_e32 v[9:10], v9
	v_cvt_f64_u32_e32 v[11:12], v11
	buffer_store_dword v6, off, s[16:19], 0 offset:4 ; 4-byte Folded Spill
	buffer_store_dword v7, off, s[16:19], 0 offset:8 ; 4-byte Folded Spill
	v_lshrrev_b32_e32 v6, 1, v0
	buffer_store_dword v3, off, s[16:19], 0 offset:12 ; 4-byte Folded Spill
	v_mad_u64_u32 v[3:4], null, 0x84, v4, v[2:3]
	v_add_nc_u32_e32 v7, 0x78, v1
	buffer_store_dword v3, off, s[16:19], 0 offset:16 ; 4-byte Folded Spill
	buffer_store_dword v4, off, s[16:19], 0 offset:20 ; 4-byte Folded Spill
	v_mul_lo_u32 v4, v5, s4
	v_min_i32_e32 v3, s0, v39
	v_add_nc_u32_e32 v6, v6, v44
	v_cvt_f64_u32_e32 v[13:14], v13
	buffer_store_dword v16, off, s[16:19], 0 offset:44 ; 4-byte Folded Spill
	v_add_nc_u32_e32 v37, 56, v16
	v_mad_u64_u32 v[20:21], null, 0x84, v5, v[2:3]
	buffer_store_dword v4, off, s[16:19], 0 offset:24 ; 4-byte Folded Spill
	v_mul_lo_u32 v76, v3, s4
	v_min_i32_e32 v4, s0, v40
	v_mad_u64_u32 v[21:22], null, 0x84, v3, v[2:3]
	v_min_i32_e32 v3, s0, v41
	v_add_nc_u32_e32 v5, 64, v1
	v_mul_lo_u32 v78, v4, s4
	v_add_nc_u32_e32 v52, 0x60, v35
	v_cmp_lt_u32_e32 vcc_lo, 3, v8
	v_mad_u64_u32 v[22:23], null, 0x84, v4, v[2:3]
	v_min_i32_e32 v4, s0, v42
	v_mul_lo_u32 v79, v3, s4
	v_mad_u64_u32 v[23:24], null, 0x84, v3, v[2:3]
	v_min_i32_e32 v3, s0, v43
	v_mul_lo_u32 v80, v4, s4
	v_min_i32_e32 v5, s0, v5
	v_min_i32_e32 v52, s0, v52
	v_and_b32_e32 v71, 60, v2
	v_mad_u64_u32 v[24:25], null, 0x84, v4, v[2:3]
	v_add_nc_u32_e32 v4, 0x48, v1
	v_mul_lo_u32 v82, v3, s4
	v_mad_u64_u32 v[25:26], null, 0x84, v3, v[2:3]
	v_mul_lo_u32 v83, v5, s4
	v_min_i32_e32 v3, s0, v4
	v_add_nc_u32_e32 v4, 0x50, v1
	v_ashrrev_i32_e32 v55, 31, v52
	v_and_b32_e32 v101, 12, v2
	buffer_store_dword v1, off, s[16:19], 0 offset:36 ; 4-byte Folded Spill
	v_mad_u64_u32 v[26:27], null, 0x84, v5, v[2:3]
	v_add_nc_u32_e32 v5, 0x58, v1
	v_mul_lo_u32 v85, v3, s4
	v_min_i32_e32 v4, s0, v4
	v_mad_u64_u32 v[27:28], null, 0x84, v3, v[2:3]
	v_min_i32_e32 v3, s0, v5
	v_add_nc_u32_e32 v5, 0x60, v1
	v_mul_lo_u32 v87, v4, s4
	v_lshrrev_b32_e32 v55, 30, v55
	v_lshrrev_b32_e32 v18, 4, v0
	v_mad_u64_u32 v[28:29], null, 0x84, v4, v[2:3]
	v_min_i32_e32 v4, s0, v5
	v_and_b32_e32 v5, 0x7f, v6
	v_mul_lo_u32 v88, v3, s4
	v_mad_u64_u32 v[29:30], null, 0x84, v3, v[2:3]
	v_add_nc_u32_e32 v6, 0x68, v1
	v_min_i32_e32 v3, s0, v5
	v_mul_lo_u32 v89, v4, s4
	v_add_nc_u32_e32 v55, v52, v55
	v_mul_lo_u32 v102, v45, s4
	v_min_i32_e32 v5, s0, v6
	v_mad_u64_u32 v[30:31], null, 0x84, v4, v[2:3]
	v_ashrrev_i32_e32 v4, 31, v3
	v_add_nc_u32_e32 v6, 0x70, v1
	v_mad_u64_u32 v[31:32], null, 0x84, v5, v[2:3]
	v_mul_lo_u32 v92, v5, s4
	v_lshrrev_b32_e32 v4, 28, v4
	v_min_i32_e32 v6, s0, v6
	v_min_i32_e32 v5, s0, v7
	v_and_b32_e32 v7, 1, v0
	v_mul_lo_u32 v98, v3, s4
	v_add_nc_u32_e32 v4, v3, v4
	v_mul_lo_u32 v94, v6, s4
	v_mad_u64_u32 v[32:33], null, 0x84, v6, v[2:3]
	v_ashrrev_i32_e32 v6, 31, v45
	v_ashrrev_i32_e32 v4, 4, v4
	v_mul_lo_u32 v95, v5, s4
	v_mad_u64_u32 v[33:34], null, 0x84, v5, v[2:3]
	v_mov_b32_e32 v75, v7
	v_lshlrev_b32_e32 v4, 2, v4
	v_lshlrev_b32_e32 v5, 2, v7
	v_lshrrev_b32_e32 v6, 30, v6
	v_add_nc_u32_e32 v7, 32, v35
	v_lshlrev_b32_e32 v47, 3, v3
	v_add_nc_u32_e32 v34, 48, v16
	v_add3_u32 v46, v4, v5, 0x7280
	v_add_nc_u32_e32 v4, v45, v6
	v_min_i32_e32 v48, s0, v7
	v_add_nc_u32_e32 v5, 64, v35
	v_add_nc_u32_e32 v7, 8, v16
	v_cvt_f64_u32_e32 v[34:35], v34
	v_and_b32_e32 v3, -4, v4
	v_ashrrev_i32_e32 v4, 31, v48
	v_min_i32_e32 v51, s0, v5
	v_cvt_f64_u32_e32 v[5:6], v16
	v_cvt_f64_u32_e32 v[15:16], v15
	v_add3_u32 v50, v3, v49, 0x6200
	v_lshrrev_b32_e32 v36, 30, v4
	v_cvt_f64_i32_e32 v[3:4], s1
	v_cvt_f64_u32_e32 v[7:8], v7
	v_ashrrev_i32_e32 v54, 31, v51
	v_and_b32_e32 v2, 28, v2
	v_add_nc_u32_e32 v53, v48, v36
	v_cvt_f64_u32_e32 v[36:37], v37
	v_lshlrev_b32_e32 v45, 5, v45
	v_lshrrev_b32_e32 v54, 30, v54
	v_mul_lo_u32 v107, v48, s4
	v_and_b32_e32 v53, -4, v53
	v_lshlrev_b32_e32 v48, 5, v48
	v_mul_lo_u32 v109, v51, s4
	v_add_nc_u32_e32 v54, v51, v54
	v_lshlrev_b32_e32 v51, 5, v51
	v_add3_u32 v53, v53, v49, 0x6200
	v_mul_lo_u32 v111, v52, s4
	v_cndmask_b32_e64 v99, 0, 1, vcc_lo
	v_and_b32_e32 v54, -4, v54
	v_add_nc_u32_e32 v126, 0x76a0, v44
	v_add_nc_u32_e32 v136, v46, v47
	;; [unrolled: 1-line block ×4, first 2 shown]
	v_min_f64 v[9:10], v[9:10], v[3:4]
	v_min_f64 v[11:12], v[11:12], v[3:4]
	;; [unrolled: 1-line block ×8, first 2 shown]
	v_lshrrev_b32_e32 v36, 2, v0
	v_and_b32_e32 v37, -4, v55
	v_add3_u32 v54, v54, v49, 0x6200
	v_mov_b32_e32 v74, v18
	v_lshlrev_b32_e32 v149, 2, v18
	v_lshl_add_u32 v36, v1, 3, v36
	v_add3_u32 v37, v37, v49, 0x6200
	v_lshlrev_b32_e32 v49, 5, v52
	v_add_nc_u32_e32 v139, v54, v51
	v_mov_b32_e32 v157, 0xffff
	v_mov_b32_e32 v158, 15
	;; [unrolled: 1-line block ×3, first 2 shown]
	v_add_nc_u32_e32 v140, v37, v49
	v_mov_b32_e32 v105, 0
	v_cvt_i32_f64_e32 v9, v[9:10]
	v_cvt_i32_f64_e32 v10, v[11:12]
	;; [unrolled: 1-line block ×7, first 2 shown]
	v_and_b32_e32 v8, 63, v36
	v_cvt_i32_f64_e32 v3, v[3:4]
	v_and_b32_e32 v5, 3, v0
	v_and_b32_e32 v11, 31, v0
	v_mov_b32_e32 v97, 0
	v_or_b32_e32 v13, s7, v8
	v_mov_b32_e32 v84, 0
	v_lshlrev_b32_e32 v15, 2, v5
	v_lshl_or_b32 v11, v11, 2, 0x4200
	v_mov_b32_e32 v70, 0
	v_min_i32_e32 v4, s1, v13
	v_mul_u32_u24_e32 v13, 33, v0
	v_lshl_or_b32 v8, v8, 4, v15
	v_lshlrev_b32_e32 v15, 1, v0
	v_mov_b32_e32 v65, 0
	v_mul_lo_u32 v116, s11, v9
	v_mul_lo_u32 v117, s11, v10
	;; [unrolled: 1-line block ×4, first 2 shown]
	v_add_nc_u32_e32 v14, 64, v0
	v_mad_u64_u32 v[34:35], null, v4, s11, v[5:6]
	v_lshlrev_b32_e32 v4, 7, v1
	v_mul_lo_u32 v120, s11, v16
	v_add_nc_u32_e32 v12, 32, v0
	v_add_nc_u32_e32 v16, 0x60, v0
	v_lshrrev_b32_e32 v1, 3, v14
	v_add_nc_u32_e32 v113, 0x76a0, v8
	v_mul_lo_u32 v114, s11, v6
	v_mul_lo_u32 v115, s11, v7
	v_lshlrev_b32_e32 v5, 7, v17
	v_lshlrev_b32_e32 v6, 7, v38
	;; [unrolled: 1-line block ×7, first 2 shown]
	v_lshrrev_b32_e32 v38, 4, v12
	v_lshlrev_b32_e32 v39, 1, v14
	v_lshrrev_b32_e32 v40, 4, v14
	v_lshlrev_b32_e32 v41, 1, v16
	v_lshrrev_b32_e32 v42, 4, v16
	v_lshrrev_b32_e32 v122, 3, v12
	buffer_store_dword v1, off, s[16:19], 0 offset:28 ; 4-byte Folded Spill
	v_lshrrev_b32_e32 v1, 3, v16
	v_add_co_u32 v35, s0, s2, v2
	v_lshlrev_b32_e32 v125, 2, v13
	v_lshlrev_b32_e32 v2, 5, v0
	v_and_b32_e32 v13, 0xfc, v0
	v_and_b32_e32 v12, 0x1fc, v12
	;; [unrolled: 1-line block ×4, first 2 shown]
	v_mul_lo_u32 v121, s11, v3
	v_lshlrev_b32_e32 v3, 7, v43
	v_add_nc_u32_e32 v127, v2, v13
	v_add_nc_u32_e32 v128, v2, v12
	;; [unrolled: 1-line block ×4, first 2 shown]
	v_add_co_ci_u32_e64 v36, null, s3, 0, s0
	v_add_nc_u32_e32 v131, 0x4200, v4
	v_add_nc_u32_e32 v132, 0x6200, v127
	;; [unrolled: 1-line block ×13, first 2 shown]
	v_lshlrev_b32_e32 v150, 2, v15
	v_lshlrev_b32_e32 v151, 2, v38
	;; [unrolled: 1-line block ×7, first 2 shown]
	v_mov_b32_e32 v60, 0
	v_mov_b32_e32 v56, 0
	;; [unrolled: 1-line block ×26, first 2 shown]
	s_mov_b32 s9, 0
	buffer_store_dword v1, off, s[16:19], 0 offset:32 ; 4-byte Folded Spill
	buffer_store_dword v0, off, s[16:19], 0 offset:40 ; 4-byte Folded Spill
	s_branch .LBB128_6
.LBB128_5:                              ;   in Loop: Header=BB128_6 Depth=1
	s_add_i32 s9, s9, 2
	s_cmp_ge_i32 s9, s4
	s_cbranch_scc1 .LBB128_16
.LBB128_6:                              ; =>This Loop Header: Depth=1
                                        ;     Child Loop BB128_7 Depth 2
                                        ;     Child Loop BB128_9 Depth 2
	;; [unrolled: 1-line block ×4, first 2 shown]
	buffer_load_dword v0, off, s[16:19], 0  ; 4-byte Folded Reload
	s_mul_i32 s0, s9, 0x54
	s_mul_hi_u32 s1, s9, 0x54
	s_add_u32 s0, s5, s0
	s_addc_u32 s1, s8, s1
	s_lshl_b32 s11, s9, 3
	v_mad_u64_u32 v[2:3], null, 0x54, v74, s[0:1]
	v_add_nc_u32_e32 v160, s11, v19
	v_add_nc_u32_e32 v159, s11, v34
	;; [unrolled: 1-line block ×3, first 2 shown]
	v_mad_i64_i32 v[10:11], null, 0x54, v76, v[2:3]
	v_mad_i64_i32 v[12:13], null, 0x54, v78, v[2:3]
	v_mad_i64_i32 v[14:15], null, 0x54, v79, v[2:3]
	v_mad_i64_i32 v[16:17], null, 0x54, v80, v[2:3]
	v_add_nc_u32_e32 v43, v160, v115
	v_mad_i64_i32 v[37:38], null, 0x54, v82, v[2:3]
	v_add_nc_u32_e32 v45, v160, v116
	v_add_nc_u32_e32 v47, v160, v117
	v_add_nc_u32_e32 v49, v160, v118
	v_mad_u64_u32 v[51:52], null, v159, 36, s[2:3]
	v_mad_i64_i32 v[41:42], null, v41, 36, v[35:36]
	v_add_nc_u32_e32 v161, v160, v119
	v_mad_i64_i32 v[43:44], null, v43, 36, v[35:36]
	v_add_nc_u32_e32 v162, v160, v120
	;; [unrolled: 2-line block ×3, first 2 shown]
	v_mad_i64_i32 v[47:48], null, v47, 36, v[35:36]
	v_mad_i64_i32 v[49:50], null, v49, 36, v[35:36]
	v_mad_i64_i32 v[160:161], null, v161, 36, v[35:36]
	v_mad_i64_i32 v[162:163], null, v162, 36, v[35:36]
	v_mad_i64_i32 v[164:165], null, v164, 36, v[35:36]
	v_mad_i64_i32 v[39:40], null, 0x54, v83, v[2:3]
	s_waitcnt vmcnt(0)
	v_mad_i64_i32 v[4:5], null, 0x54, v0, v[2:3]
	buffer_load_dword v0, off, s[16:19], 0 offset:12 ; 4-byte Folded Reload
	v_add_co_u32 v4, vcc_lo, v4, v71
	v_add_co_ci_u32_e64 v5, null, 0, v5, vcc_lo
	s_waitcnt vmcnt(0)
	v_mad_i64_i32 v[6:7], null, 0x54, v0, v[2:3]
	buffer_load_dword v0, off, s[16:19], 0 offset:24 ; 4-byte Folded Reload
	v_add_co_u32 v6, vcc_lo, v6, v71
	v_add_co_ci_u32_e64 v7, null, 0, v7, vcc_lo
	s_waitcnt vmcnt(0)
	v_mad_i64_i32 v[8:9], null, 0x54, v0, v[2:3]
	v_add_co_u32 v8, vcc_lo, v8, v71
	v_add_co_ci_u32_e64 v9, null, 0, v9, vcc_lo
	v_add_co_u32 v10, vcc_lo, v10, v71
	v_add_co_ci_u32_e64 v11, null, 0, v11, vcc_lo
	v_add_co_u32 v12, vcc_lo, v12, v71
	v_add_co_ci_u32_e64 v13, null, 0, v13, vcc_lo
	v_add_co_u32 v14, vcc_lo, v14, v71
	v_add_co_ci_u32_e64 v15, null, 0, v15, vcc_lo
	v_add_co_u32 v16, vcc_lo, v16, v71
	v_add_co_ci_u32_e64 v17, null, 0, v17, vcc_lo
	v_add_co_u32 v37, vcc_lo, v37, v71
	v_add_co_ci_u32_e64 v38, null, 0, v38, vcc_lo
	s_clause 0x7
	global_load_dword v166, v[4:5], off offset:16
	global_load_dword v167, v[6:7], off offset:16
	;; [unrolled: 1-line block ×8, first 2 shown]
	s_clause 0x8
	global_load_dword v51, v[51:52], off
	global_load_dword v52, v[41:42], off offset:4
	global_load_dword v174, v[43:44], off offset:4
	;; [unrolled: 1-line block ×8, first 2 shown]
	v_mad_i64_i32 v[4:5], null, 0x54, v85, v[2:3]
	v_mad_i64_i32 v[8:9], null, 0x54, v87, v[2:3]
	;; [unrolled: 1-line block ×3, first 2 shown]
	v_add_co_u32 v6, vcc_lo, v39, v71
	v_mad_i64_i32 v[12:13], null, 0x54, v89, v[2:3]
	v_add_co_ci_u32_e64 v7, null, 0, v40, vcc_lo
	v_add_co_u32 v4, vcc_lo, v4, v71
	v_mad_i64_i32 v[14:15], null, 0x54, v92, v[2:3]
	v_add_co_ci_u32_e64 v5, null, 0, v5, vcc_lo
	;; [unrolled: 3-line block ×4, first 2 shown]
	v_add_co_u32 v12, vcc_lo, v12, v71
	v_mad_u64_u32 v[37:38], null, 0x54, v99, s[0:1]
	v_add_co_ci_u32_e64 v13, null, 0, v13, vcc_lo
	v_add_co_u32 v14, vcc_lo, v14, v71
	v_add_co_ci_u32_e64 v15, null, 0, v15, vcc_lo
	v_add_co_u32 v16, vcc_lo, v16, v71
	;; [unrolled: 2-line block ×3, first 2 shown]
	v_mad_i64_i32 v[39:40], null, 0x54, v98, s[0:1]
	v_add_co_ci_u32_e64 v3, null, 0, v3, vcc_lo
	v_add_co_u32 v37, vcc_lo, v37, v101
	v_add_co_ci_u32_e64 v38, null, 0, v38, vcc_lo
	v_mad_u64_u32 v[39:40], null, 0x54, v75, v[39:40]
	v_mov_b32_e32 v160, v131
	v_mad_i64_i32 v[41:42], null, 0x54, v102, v[37:38]
	v_mad_i64_i32 v[43:44], null, 0x54, v107, v[37:38]
	;; [unrolled: 1-line block ×4, first 2 shown]
	s_clause 0xc
	global_load_dword v6, v[6:7], off offset:16
	global_load_dword v4, v[4:5], off offset:16
	;; [unrolled: 1-line block ×9, first 2 shown]
	global_load_dword v11, v[41:42], off
	global_load_dword v12, v[43:44], off
	;; [unrolled: 1-line block ×4, first 2 shown]
	v_mov_b32_e32 v161, v126
	s_mov_b32 s0, 0
	s_waitcnt vmcnt(21)
	v_cvt_f32_f16_e32 v15, v51
	s_waitcnt vmcnt(20)
	ds_write_b32 v141, v52
	s_waitcnt vmcnt(19)
	ds_write_b32 v142, v174
	;; [unrolled: 2-line block ×8, first 2 shown]
	ds_write_b32 v113, v15
	s_clause 0x1
	buffer_load_dword v0, off, s[16:19], 0 offset:4
	buffer_load_dword v1, off, s[16:19], 0 offset:8
	s_waitcnt vmcnt(1)
	ds_write_b32 v0, v166
	s_clause 0x1
	buffer_load_dword v0, off, s[16:19], 0 offset:16
	buffer_load_dword v1, off, s[16:19], 0 offset:20
	s_waitcnt vmcnt(1)
	ds_write_b32 v0, v167
	ds_write_b32 v20, v168
	ds_write_b32 v21, v169
	ds_write_b32 v22, v170
	ds_write_b32 v23, v171
	ds_write_b32 v24, v172
	ds_write_b32 v25, v173
	ds_write_b32 v26, v6
	ds_write_b32 v27, v4
	ds_write_b32 v28, v5
	ds_write_b32 v29, v7
	ds_write_b32 v30, v8
	ds_write_b32 v31, v9
	ds_write_b32 v32, v10
	ds_write_b32 v33, v2
	ds_write_b32 v136, v3
	ds_write_b32 v137, v11
	ds_write_b32 v138, v12
	ds_write_b32 v139, v13
	ds_write_b32 v140, v14
	s_waitcnt vmcnt(0) lgkmcnt(0)
	s_waitcnt_vscnt null, 0x0
	s_barrier
	buffer_gl0_inv
.LBB128_7:                              ;   Parent Loop BB128_6 Depth=1
                                        ; =>  This Inner Loop Header: Depth=2
	s_and_b32 s15, s0, 0x3ffffff8
	s_and_b32 s1, s0, -16
	v_lshl_add_u32 v230, s15, 2, v125
	ds_read_b128 v[2:5], v160
	ds_read_b128 v[206:209], v160 offset:16
	ds_read_b128 v[177:180], v160 offset:1024
	;; [unrolled: 1-line block ×7, first 2 shown]
	v_add_nc_u32_e32 v191, 0x1080, v230
	v_add_nc_u32_e32 v193, 0x1088, v230
	s_add_i32 s1, s0, s1
	ds_read2_b32 v[175:176], v230 offset1:1
	ds_read2_b32 v[189:190], v230 offset0:2 offset1:3
	ds_read2_b32 v[222:223], v230 offset0:4 offset1:5
	;; [unrolled: 1-line block ×3, first 2 shown]
	v_add_nc_u32_e32 v195, 0x2100, v230
	v_add_nc_u32_e32 v198, 0x2108, v230
	;; [unrolled: 1-line block ×10, first 2 shown]
	ds_read2_b32 v[191:192], v191 offset1:1
	ds_read2_b32 v[193:194], v193 offset1:1
	;; [unrolled: 1-line block ×6, first 2 shown]
	ds_read_u16 v198, v47
	ds_read_u16 v49, v49
	ds_read2_b32 v[201:202], v203 offset1:1
	ds_read2_b32 v[203:204], v204 offset1:1
	ds_read_u16 v47, v52
	ds_read_u16 v52, v197
	v_mov_b32_e32 v44, 0
	v_mov_b32_e32 v37, 0
	;; [unrolled: 1-line block ×5, first 2 shown]
	s_waitcnt lgkmcnt(15)
	v_ashrrev_i32_e32 v175, s0, v175
	v_ashrrev_i32_e32 v176, s0, v176
	s_waitcnt lgkmcnt(14)
	v_ashrrev_i32_e32 v189, s0, v189
	v_mov_b32_e32 v164, 0
	v_mov_b32_e32 v166, 0
	v_and_b32_e32 v231, 0x3030303, v175
	v_and_b32_e32 v232, 0x3030303, v176
	v_and_b32_e32 v233, 0x3030303, v189
	s_waitcnt lgkmcnt(11)
	v_ashrrev_i32_e32 v175, s0, v191
	v_ashrrev_i32_e32 v176, s0, v192
	s_waitcnt lgkmcnt(10)
	v_ashrrev_i32_e32 v189, s0, v193
	v_ashrrev_i32_e32 v191, s0, v194
	;; [unrolled: 3-line block ×6, first 2 shown]
	v_bfe_u32 v201, v198, 4, 4
	v_bfe_u32 v202, v49, 4, 4
	s_waitcnt lgkmcnt(1)
	v_bfe_u32 v203, v47, 4, 4
	s_waitcnt lgkmcnt(0)
	v_bfe_u32 v204, v52, 4, 4
	v_mov_b32_e32 v168, 0
	v_mul_lo_u32 v243, 0x1010101, v201
	v_mul_lo_u32 v244, 0x1010101, v202
	;; [unrolled: 1-line block ×4, first 2 shown]
	v_and_b32_e32 v234, 0x3030303, v175
	v_and_b32_e32 v192, 0x3030303, v192
	;; [unrolled: 1-line block ×3, first 2 shown]
	v_dot4c_i32_i8 v44, v231, v2
	v_and_b32_e32 v235, 0x3030303, v176
	v_and_b32_e32 v193, 0x3030303, v193
	;; [unrolled: 1-line block ×3, first 2 shown]
	v_dot4c_i32_i8 v37, v234, v2
	v_dot4c_i32_i8 v39, v192, v2
	;; [unrolled: 1-line block ×7, first 2 shown]
	v_ashrrev_i32_e32 v190, s0, v190
	v_and_b32_e32 v236, 0x3030303, v189
	v_and_b32_e32 v237, 0x3030303, v194
	;; [unrolled: 1-line block ×3, first 2 shown]
	v_dot4c_i32_i8 v44, v232, v3
	v_dot4c_i32_i8 v37, v235, v3
	;; [unrolled: 1-line block ×8, first 2 shown]
	v_mov_b32_e32 v45, 0
	v_mov_b32_e32 v163, 0
	;; [unrolled: 1-line block ×8, first 2 shown]
	v_and_b32_e32 v190, 0x3030303, v190
	v_and_b32_e32 v191, 0x3030303, v191
	;; [unrolled: 1-line block ×4, first 2 shown]
	v_dot4c_i32_i8 v44, v233, v4
	v_dot4c_i32_i8 v37, v236, v4
	;; [unrolled: 1-line block ×24, first 2 shown]
	ds_read_b128 v[2:5], v160 offset:4096
	ds_read_b128 v[210:213], v160 offset:4112
	v_dot4c_i32_i8 v45, v232, v178
	v_dot4c_i32_i8 v38, v235, v178
	;; [unrolled: 1-line block ×8, first 2 shown]
	v_mov_b32_e32 v46, 0
	v_mov_b32_e32 v170, 0
	;; [unrolled: 1-line block ×8, first 2 shown]
	v_dot4c_i32_i8 v45, v233, v179
	v_dot4c_i32_i8 v38, v236, v179
	;; [unrolled: 1-line block ×24, first 2 shown]
	v_mov_b32_e32 v204, 0
	v_mov_b32_e32 v247, 0
	;; [unrolled: 1-line block ×8, first 2 shown]
	s_waitcnt lgkmcnt(1)
	v_dot4c_i32_i8 v204, v231, v2
	v_dot4c_i32_i8 v247, v234, v2
	v_dot4c_i32_i8 v203, v192, v2
	v_dot4c_i32_i8 v202, v239, v2
	v_dot4c_i32_i8 v178, v243, v2
	v_dot4c_i32_i8 v179, v244, v2
	v_dot4c_i32_i8 v180, v245, v2
	v_dot4c_i32_i8 v181, v246, v2
	v_dot4c_i32_i8 v204, v232, v3
	v_dot4c_i32_i8 v247, v235, v3
	v_dot4c_i32_i8 v203, v193, v3
	v_dot4c_i32_i8 v202, v240, v3
	v_dot4c_i32_i8 v178, v243, v3
	v_dot4c_i32_i8 v179, v244, v3
	v_dot4c_i32_i8 v180, v245, v3
	v_dot4c_i32_i8 v181, v246, v3
	v_dot4c_i32_i8 v204, v233, v4
	v_dot4c_i32_i8 v247, v236, v4
	v_dot4c_i32_i8 v203, v237, v4
	v_dot4c_i32_i8 v202, v241, v4
	v_dot4c_i32_i8 v178, v243, v4
	v_dot4c_i32_i8 v179, v244, v4
	v_dot4c_i32_i8 v180, v245, v4
	v_dot4c_i32_i8 v181, v246, v4
	v_dot4c_i32_i8 v204, v190, v5
	v_dot4c_i32_i8 v247, v191, v5
	v_dot4c_i32_i8 v203, v238, v5
	v_dot4c_i32_i8 v202, v242, v5
	v_dot4c_i32_i8 v178, v243, v5
	v_dot4c_i32_i8 v179, v244, v5
	v_dot4c_i32_i8 v180, v245, v5
	v_dot4c_i32_i8 v181, v246, v5
	ds_read_b128 v[2:5], v160 offset:5120
	ds_read_b128 v[214:217], v160 offset:5136
	v_dot4c_i32_i8 v46, v232, v182
	v_dot4c_i32_i8 v43, v235, v182
	;; [unrolled: 1-line block ×8, first 2 shown]
	v_mov_b32_e32 v48, 0
	v_mov_b32_e32 v174, 0
	;; [unrolled: 1-line block ×8, first 2 shown]
	v_dot4c_i32_i8 v46, v233, v183
	v_dot4c_i32_i8 v43, v236, v183
	;; [unrolled: 1-line block ×24, first 2 shown]
	v_mov_b32_e32 v248, 0
	v_mov_b32_e32 v249, 0
	;; [unrolled: 1-line block ×8, first 2 shown]
	s_waitcnt lgkmcnt(1)
	v_dot4c_i32_i8 v248, v231, v2
	v_dot4c_i32_i8 v249, v234, v2
	v_dot4c_i32_i8 v250, v192, v2
	v_dot4c_i32_i8 v205, v239, v2
	v_dot4c_i32_i8 v182, v243, v2
	v_dot4c_i32_i8 v183, v244, v2
	v_dot4c_i32_i8 v184, v245, v2
	v_dot4c_i32_i8 v185, v246, v2
	v_dot4c_i32_i8 v248, v232, v3
	v_dot4c_i32_i8 v249, v235, v3
	v_dot4c_i32_i8 v250, v193, v3
	v_dot4c_i32_i8 v205, v240, v3
	v_dot4c_i32_i8 v182, v243, v3
	v_dot4c_i32_i8 v183, v244, v3
	v_dot4c_i32_i8 v184, v245, v3
	v_dot4c_i32_i8 v185, v246, v3
	v_dot4c_i32_i8 v248, v233, v4
	v_dot4c_i32_i8 v249, v236, v4
	v_dot4c_i32_i8 v250, v237, v4
	v_dot4c_i32_i8 v205, v241, v4
	v_dot4c_i32_i8 v182, v243, v4
	v_dot4c_i32_i8 v183, v244, v4
	v_dot4c_i32_i8 v184, v245, v4
	v_dot4c_i32_i8 v185, v246, v4
	v_dot4c_i32_i8 v248, v190, v5
	v_dot4c_i32_i8 v249, v191, v5
	v_dot4c_i32_i8 v250, v238, v5
	v_dot4c_i32_i8 v205, v242, v5
	v_dot4c_i32_i8 v182, v243, v5
	v_dot4c_i32_i8 v183, v244, v5
	v_dot4c_i32_i8 v184, v245, v5
	v_dot4c_i32_i8 v185, v246, v5
	ds_read_b128 v[2:5], v160 offset:6144
	ds_read_b128 v[218:221], v160 offset:6160
	v_dot4c_i32_i8 v48, v232, v186
	v_dot4c_i32_i8 v201, v235, v186
	;; [unrolled: 1-line block ×24, first 2 shown]
	v_mov_b32_e32 v251, 0
	v_mov_b32_e32 v252, 0
	;; [unrolled: 1-line block ×8, first 2 shown]
	s_waitcnt lgkmcnt(1)
	v_dot4c_i32_i8 v251, v231, v2
	v_dot4c_i32_i8 v252, v234, v2
	;; [unrolled: 1-line block ×32, first 2 shown]
	ds_read_b128 v[194:197], v160 offset:7168
	ds_read_b128 v[2:5], v160 offset:7184
	v_mov_b32_e32 v255, 0
	v_mov_b32_e32 v61, 0
	v_ashrrev_i32_e32 v222, s0, v222
	v_ashrrev_i32_e32 v226, s0, v226
	v_ashrrev_i32_e32 v223, s0, v223
	v_ashrrev_i32_e32 v227, s0, v227
	v_ashrrev_i32_e32 v224, s0, v224
	v_and_b32_e32 v222, 0x3030303, v222
	v_and_b32_e32 v226, 0x3030303, v226
	v_ashrrev_i32_e32 v228, s0, v228
	v_and_b32_e32 v223, 0x3030303, v223
	v_and_b32_e32 v227, 0x3030303, v227
	v_ashrrev_i32_e32 v225, s0, v225
	v_ashrrev_i32_e32 v229, s0, v229
	v_and_b32_e32 v224, 0x3030303, v224
	v_and_b32_e32 v228, 0x3030303, v228
	v_mov_b32_e32 v69, 0
	v_and_b32_e32 v225, 0x3030303, v225
	s_waitcnt lgkmcnt(1)
	v_dot4c_i32_i8 v255, v231, v194
	v_mov_b32_e32 v231, 0
	v_dot4c_i32_i8 v61, v239, v194
	v_and_b32_e32 v229, 0x3030303, v229
	v_mov_b32_e32 v91, 0
	v_dot4c_i32_i8 v255, v232, v195
	v_dot4c_i32_i8 v231, v234, v194
	v_mov_b32_e32 v234, 0
	v_dot4c_i32_i8 v61, v240, v195
	v_dot4c_i32_i8 v69, v226, v6
	;; [unrolled: 1-line block ×5, first 2 shown]
	v_mov_b32_e32 v192, 0
	v_dot4c_i32_i8 v61, v241, v196
	v_dot4c_i32_i8 v255, v190, v197
	;; [unrolled: 1-line block ×4, first 2 shown]
	v_mov_b32_e32 v190, 0
	v_mov_b32_e32 v193, 0
	v_dot4c_i32_i8 v192, v245, v194
	v_dot4c_i32_i8 v231, v191, v197
	v_mov_b32_e32 v191, 0
	v_dot4c_i32_i8 v190, v243, v194
	v_dot4c_i32_i8 v193, v246, v194
	;; [unrolled: 1-line block ×8, first 2 shown]
	v_add_nc_u32_e32 v194, 0x1090, v230
	v_dot4c_i32_i8 v191, v244, v195
	v_dot4c_i32_i8 v190, v243, v196
	;; [unrolled: 1-line block ×6, first 2 shown]
	v_add_nc_u32_e32 v196, 0x1098, v230
	v_dot4c_i32_i8 v190, v243, v197
	v_dot4c_i32_i8 v192, v245, v197
	;; [unrolled: 1-line block ×4, first 2 shown]
	ds_read2_b32 v[194:195], v194 offset1:1
	ds_read2_b32 v[196:197], v196 offset1:1
	v_mov_b32_e32 v243, 0
	v_mov_b32_e32 v244, 0
	;; [unrolled: 1-line block ×4, first 2 shown]
	v_dot4c_i32_i8 v69, v227, v7
	v_mov_b32_e32 v96, 0
	v_dot4c_i32_i8 v244, v226, v206
	v_mov_b32_e32 v123, 0
	v_mov_b32_e32 v124, 0
	v_dot4c_i32_i8 v69, v228, v8
	v_dot4c_i32_i8 v96, v226, v210
	;; [unrolled: 1-line block ×3, first 2 shown]
	v_mov_b32_e32 v73, 0
	v_mov_b32_e32 v0, 0
	v_dot4c_i32_i8 v69, v229, v9
	v_dot4c_i32_i8 v96, v227, v211
	v_dot4c_i32_i8 v244, v228, v208
	v_dot4c_i32_i8 v73, v226, v214
	s_waitcnt lgkmcnt(1)
	v_ashrrev_i32_e32 v232, s0, v194
	v_add_nc_u32_e32 v194, 0x3190, v230
	s_waitcnt lgkmcnt(0)
	v_ashrrev_i32_e32 v235, s0, v196
	v_add_nc_u32_e32 v196, 0x3198, v230
	v_ashrrev_i32_e32 v233, s0, v195
	v_ashrrev_i32_e32 v236, s0, v197
	ds_read2_b32 v[194:195], v194 offset1:1
	ds_read2_b32 v[196:197], v196 offset1:1
	v_mov_b32_e32 v230, 0
	v_and_b32_e32 v232, 0x3030303, v232
	v_and_b32_e32 v233, 0x3030303, v233
	;; [unrolled: 1-line block ×4, first 2 shown]
	v_dot4c_i32_i8 v230, v222, v206
	v_dot4c_i32_i8 v243, v232, v206
	;; [unrolled: 1-line block ×12, first 2 shown]
	v_mov_b32_e32 v1, 0
	s_waitcnt lgkmcnt(1)
	v_ashrrev_i32_e32 v194, s0, v194
	s_waitcnt lgkmcnt(0)
	v_ashrrev_i32_e32 v196, s0, v196
	v_ashrrev_i32_e32 v195, s0, v195
	;; [unrolled: 1-line block ×3, first 2 shown]
	v_dot4c_i32_i8 v230, v225, v209
	v_and_b32_e32 v237, 0x3030303, v194
	v_and_b32_e32 v239, 0x3030303, v196
	v_and_b32_sdwa v196, v157, v47 dst_sel:DWORD dst_unused:UNUSED_PAD src0_sel:DWORD src1_sel:BYTE_1
	v_and_b32_e32 v238, 0x3030303, v195
	v_and_b32_sdwa v194, v157, v198 dst_sel:DWORD dst_unused:UNUSED_PAD src0_sel:DWORD src1_sel:BYTE_1
	v_and_b32_sdwa v195, v157, v49 dst_sel:DWORD dst_unused:UNUSED_PAD src0_sel:DWORD src1_sel:BYTE_1
	v_and_b32_e32 v240, 0x3030303, v197
	v_lshrrev_b32_e32 v241, 4, v196
	v_and_b32_sdwa v196, v157, v52 dst_sel:DWORD dst_unused:UNUSED_PAD src0_sel:DWORD src1_sel:BYTE_1
	v_lshrrev_b32_e32 v194, 4, v194
	v_lshrrev_b32_e32 v195, 4, v195
	v_dot4c_i32_i8 v245, v237, v206
	v_dot4c_i32_i8 v246, v237, v14
	v_lshrrev_b32_e32 v242, 4, v196
	v_mul_lo_u32 v197, 0x1010101, v194
	v_mul_lo_u32 v196, 0x1010101, v195
	;; [unrolled: 1-line block ×3, first 2 shown]
	v_mov_b32_e32 v241, 0
	v_mul_lo_u32 v194, 0x1010101, v242
	v_mov_b32_e32 v242, 0
	v_dot4c_i32_i8 v246, v238, v15
	v_dot4c_i32_i8 v91, v237, v6
	v_dot4c_i32_i8 v162, v197, v206
	v_dot4c_i32_i8 v164, v196, v206
	v_dot4c_i32_i8 v166, v195, v206
	v_dot4c_i32_i8 v241, v232, v14
	v_dot4c_i32_i8 v168, v194, v206
	v_mov_b32_e32 v206, 0
	v_dot4c_i32_i8 v242, v226, v14
	v_dot4c_i32_i8 v163, v197, v14
	;; [unrolled: 1-line block ×29, first 2 shown]
	v_mov_b32_e32 v14, 0
	v_mov_b32_e32 v15, 0
	;; [unrolled: 1-line block ×4, first 2 shown]
	v_dot4c_i32_i8 v170, v197, v10
	v_dot4c_i32_i8 v14, v222, v10
	;; [unrolled: 1-line block ×16, first 2 shown]
	v_mov_b32_e32 v10, 0
	v_mov_b32_e32 v11, 0
	v_dot4c_i32_i8 v174, v197, v6
	v_dot4c_i32_i8 v175, v196, v6
	;; [unrolled: 1-line block ×35, first 2 shown]
	v_mov_b32_e32 v9, 0
	v_mov_b32_e32 v12, 0
	v_dot4c_i32_i8 v123, v237, v210
	v_dot4c_i32_i8 v178, v197, v210
	;; [unrolled: 1-line block ×7, first 2 shown]
	v_and_b32_e32 v6, 15, v198
	v_dot4c_i32_i8 v9, v223, v211
	v_dot4c_i32_i8 v12, v233, v211
	;; [unrolled: 1-line block ×7, first 2 shown]
	v_and_b32_sdwa v7, v198, v158 dst_sel:DWORD dst_unused:UNUSED_PAD src0_sel:BYTE_1 src1_sel:DWORD
	v_and_b32_e32 v198, 0xffff, v6
	v_dot4c_i32_i8 v9, v224, v212
	v_dot4c_i32_i8 v12, v235, v212
	;; [unrolled: 1-line block ×7, first 2 shown]
	v_mul_lo_u32 v6, v198, v44
	v_dot4c_i32_i8 v9, v225, v213
	v_dot4c_i32_i8 v12, v236, v213
	;; [unrolled: 1-line block ×7, first 2 shown]
	v_and_b32_e32 v213, 0xffff, v7
	v_dot4c_i32_i8 v14, v225, v13
	v_dot4c_i32_i8 v15, v236, v13
	;; [unrolled: 1-line block ×4, first 2 shown]
	v_mad_u64_u32 v[6:7], null, v213, v230, v[6:7]
	v_mul_lo_u32 v7, v45, v198
	v_dot4c_i32_i8 v170, v197, v13
	v_dot4c_i32_i8 v171, v196, v13
	;; [unrolled: 1-line block ×4, first 2 shown]
	v_mov_b32_e32 v13, 0
	v_dot4c_i32_i8 v245, v238, v207
	v_dot4c_i32_i8 v162, v197, v207
	v_mad_u64_u32 v[7:8], null, v206, v213, v[7:8]
	v_mul_lo_u32 v8, v46, v198
	v_dot4c_i32_i8 v164, v196, v207
	v_dot4c_i32_i8 v166, v195, v207
	;; [unrolled: 1-line block ×4, first 2 shown]
	v_mov_b32_e32 v211, 0
	v_dot4c_i32_i8 v245, v239, v208
	v_dot4c_i32_i8 v162, v197, v208
	v_mad_u64_u32 v[206:207], null, v14, v213, v[8:9]
	v_mul_lo_u32 v8, v48, v198
	v_dot4c_i32_i8 v164, v196, v208
	v_dot4c_i32_i8 v166, v195, v208
	;; [unrolled: 1-line block ×5, first 2 shown]
	v_mov_b32_e32 v212, 0
	v_dot4c_i32_i8 v243, v236, v209
	v_mad_u64_u32 v[207:208], null, v10, v213, v[8:9]
	v_mul_lo_u32 v8, v204, v198
	v_dot4c_i32_i8 v13, v224, v216
	v_dot4c_i32_i8 v245, v240, v209
	;; [unrolled: 1-line block ×7, first 2 shown]
	v_mad_u64_u32 v[208:209], null, v9, v213, v[8:9]
	v_mul_lo_u32 v8, v248, v198
	v_dot4c_i32_i8 v13, v225, v217
	v_dot4c_i32_i8 v212, v222, v2
	;; [unrolled: 1-line block ×3, first 2 shown]
	v_and_b32_sdwa v10, v49, v158 dst_sel:DWORD dst_unused:UNUSED_PAD src0_sel:BYTE_1 src1_sel:DWORD
	v_dot4c_i32_i8 v0, v237, v214
	v_dot4c_i32_i8 v182, v197, v214
	v_dot4c_i32_i8 v212, v223, v3
	v_mad_u64_u32 v[209:210], null, v13, v213, v[8:9]
	v_mul_lo_u32 v8, v251, v198
	v_dot4c_i32_i8 v211, v225, v221
	v_dot4c_i32_i8 v212, v224, v4
	v_and_b32_e32 v10, 0xffff, v10
	v_dot4c_i32_i8 v183, v196, v214
	v_dot4c_i32_i8 v184, v195, v214
	;; [unrolled: 1-line block ×4, first 2 shown]
	v_mad_u64_u32 v[210:211], null, v211, v213, v[8:9]
	v_mul_lo_u32 v8, v255, v198
	v_dot4c_i32_i8 v0, v238, v215
	v_dot4c_i32_i8 v182, v197, v215
	;; [unrolled: 1-line block ×7, first 2 shown]
	v_mad_u64_u32 v[211:212], null, v212, v213, v[8:9]
	v_mov_b32_e32 v9, 0
	v_and_b32_e32 v8, 15, v49
	v_dot4c_i32_i8 v0, v239, v216
	v_dot4c_i32_i8 v182, v197, v216
	;; [unrolled: 1-line block ×4, first 2 shown]
	v_and_b32_e32 v14, 0xffff, v8
	v_dot4c_i32_i8 v184, v195, v216
	v_dot4c_i32_i8 v185, v194, v216
	v_mov_b32_e32 v216, 0
	v_dot4c_i32_i8 v9, v233, v3
	v_mul_lo_u32 v8, v14, v37
	v_dot4c_i32_i8 v124, v236, v217
	v_dot4c_i32_i8 v73, v229, v217
	;; [unrolled: 1-line block ×13, first 2 shown]
	v_mad_u64_u32 v[212:213], null, v10, v243, v[8:9]
	v_mul_lo_u32 v8, v38, v14
	v_dot4c_i32_i8 v1, v227, v219
	v_dot4c_i32_i8 v216, v236, v221
	v_mov_b32_e32 v18, 0
	v_dot4c_i32_i8 v186, v197, v218
	v_dot4c_i32_i8 v187, v196, v218
	;; [unrolled: 1-line block ×4, first 2 shown]
	v_mad_u64_u32 v[213:214], null, v241, v10, v[8:9]
	v_mul_lo_u32 v8, v43, v14
	v_dot4c_i32_i8 v1, v229, v221
	v_dot4c_i32_i8 v18, v237, v218
	;; [unrolled: 1-line block ×3, first 2 shown]
	s_lshr_b32 s1, s0, 2
	v_dot4c_i32_i8 v190, v197, v2
	s_and_b32 s1, s1, 0x3ffffffc
	v_dot4c_i32_i8 v18, v238, v219
	v_mad_u64_u32 v[214:215], null, v15, v10, v[8:9]
	v_mul_lo_u32 v8, v201, v14
	s_addk_i32 s1, 0x7280
	v_dot4c_i32_i8 v18, v239, v220
	v_cvt_f32_i32_e32 v204, v213
	v_dot4c_i32_i8 v191, v196, v2
	v_dot4c_i32_i8 v192, v195, v2
	;; [unrolled: 1-line block ×4, first 2 shown]
	v_mad_u64_u32 v[45:46], null, v11, v10, v[8:9]
	v_mul_lo_u32 v8, v247, v14
	v_and_b32_sdwa v11, v47, v158 dst_sel:DWORD dst_unused:UNUSED_PAD src0_sel:BYTE_1 src1_sel:DWORD
	v_dot4c_i32_i8 v186, v197, v219
	v_dot4c_i32_i8 v187, v196, v219
	;; [unrolled: 1-line block ×4, first 2 shown]
	v_and_b32_e32 v11, 0xffff, v11
	v_dot4c_i32_i8 v190, v197, v3
	v_mad_u64_u32 v[43:44], null, v12, v10, v[8:9]
	v_mul_lo_u32 v8, v249, v14
	v_dot4c_i32_i8 v191, v196, v3
	v_dot4c_i32_i8 v192, v195, v3
	;; [unrolled: 1-line block ×7, first 2 shown]
	v_mad_u64_u32 v[37:38], null, v124, v10, v[8:9]
	v_mul_lo_u32 v8, v252, v14
	v_dot4c_i32_i8 v190, v197, v4
	v_dot4c_i32_i8 v191, v196, v4
	;; [unrolled: 1-line block ×7, first 2 shown]
	v_mad_u64_u32 v[12:13], null, v216, v10, v[8:9]
	v_mul_lo_u32 v8, v231, v14
	v_dot4c_i32_i8 v189, v194, v221
	v_dot4c_i32_i8 v190, v197, v5
	;; [unrolled: 1-line block ×5, first 2 shown]
	v_cvt_f32_i32_e32 v124, v175
	v_cvt_f32_i32_e32 v175, v189
	v_mad_u64_u32 v[8:9], null, v9, v10, v[8:9]
	v_mov_b32_e32 v10, 0
	v_and_b32_e32 v9, 15, v47
	v_cvt_f32_i32_e32 v37, v37
	v_cvt_f32_i32_e32 v12, v12
	v_add_nc_u32_e32 v160, 32, v160
	v_dot4c_i32_i8 v10, v226, v2
	v_and_b32_e32 v15, 0xffff, v9
	v_dot4c_i32_i8 v10, v227, v3
	v_mul_lo_u32 v9, v15, v39
	v_dot4c_i32_i8 v10, v228, v4
	v_dot4c_i32_i8 v10, v229, v5
	v_mad_u64_u32 v[215:216], null, v11, v244, v[9:10]
	v_mul_lo_u32 v9, v40, v15
	v_mad_u64_u32 v[216:217], null, v242, v11, v[9:10]
	v_mul_lo_u32 v9, v41, v15
	v_cvt_f32_i32_e32 v201, v216
	v_mad_u64_u32 v[48:49], null, v16, v11, v[9:10]
	v_mul_lo_u32 v9, v199, v15
	v_mad_u64_u32 v[46:47], null, v69, v11, v[9:10]
	v_mul_lo_u32 v9, v203, v15
	v_cvt_f32_i32_e32 v203, v7
	v_cvt_f32_i32_e32 v69, v170
	;; [unrolled: 1-line block ×4, first 2 shown]
	v_mad_u64_u32 v[40:41], null, v96, v11, v[9:10]
	v_mul_lo_u32 v9, v250, v15
	v_cvt_f32_i32_e32 v96, v173
	v_cvt_f32_i32_e32 v173, v187
	;; [unrolled: 1-line block ×3, first 2 shown]
	v_mad_u64_u32 v[38:39], null, v73, v11, v[9:10]
	v_mul_lo_u32 v9, v253, v15
	v_cvt_f32_i32_e32 v73, v171
	v_cvt_f32_i32_e32 v171, v185
	;; [unrolled: 1-line block ×3, first 2 shown]
	v_mad_u64_u32 v[13:14], null, v1, v11, v[9:10]
	v_mul_lo_u32 v9, v234, v15
	v_mov_b32_e32 v1, 0
	v_dot4c_i32_i8 v1, v237, v2
	v_cvt_f32_i32_e32 v13, v13
	v_mad_u64_u32 v[9:10], null, v10, v11, v[9:10]
	v_and_b32_e32 v10, 15, v52
	v_and_b32_sdwa v11, v52, v158 dst_sel:DWORD dst_unused:UNUSED_PAD src0_sel:BYTE_1 src1_sel:DWORD
	v_dot4c_i32_i8 v1, v238, v3
	v_cvt_f32_i32_e32 v3, v162
	v_cvt_f32_i32_e32 v162, v176
	v_and_b32_e32 v39, 0xffff, v10
	v_and_b32_e32 v11, 0xffff, v11
	v_dot4c_i32_i8 v1, v239, v4
	v_cvt_f32_i32_e32 v4, v163
	v_cvt_f32_i32_e32 v163, v177
	v_mul_lo_u32 v10, v39, v42
	v_cvt_f32_i32_e32 v176, v190
	v_dot4c_i32_i8 v1, v240, v5
	v_cvt_f32_i32_e32 v5, v164
	v_cvt_f32_i32_e32 v164, v178
	v_cvt_f32_i32_e32 v177, v191
	v_cvt_f32_i32_e32 v178, v192
	v_mad_u64_u32 v[198:199], null, v11, v245, v[10:11]
	v_mul_lo_u32 v10, v50, v39
	v_mad_u64_u32 v[217:218], null, v246, v11, v[10:11]
	v_mul_lo_u32 v10, v51, v39
	v_cvt_f32_i32_e32 v199, v217
	v_mad_u64_u32 v[51:52], null, v17, v11, v[10:11]
	v_mul_lo_u32 v10, v200, v39
	v_cvt_f32_i32_e32 v52, v206
	v_cvt_f32_i32_e32 v206, v212
	;; [unrolled: 1-line block ×5, first 2 shown]
	v_mad_u64_u32 v[49:50], null, v91, v11, v[10:11]
	v_mul_lo_u32 v10, v202, v39
	v_cvt_f32_i32_e32 v50, v207
	v_cvt_f32_i32_e32 v207, v48
	ds_read2_b32 v[47:48], v161 offset0:64 offset1:96
	v_cvt_f32_i32_e32 v202, v215
	v_cvt_f32_i32_e32 v91, v172
	;; [unrolled: 1-line block ×3, first 2 shown]
	v_mad_u64_u32 v[41:42], null, v123, v11, v[10:11]
	v_mul_lo_u32 v10, v205, v39
	v_cvt_f32_i32_e32 v205, v6
	ds_read2_b32 v[6:7], v161 offset1:32
	v_cvt_f32_i32_e32 v123, v174
	v_cvt_f32_i32_e32 v174, v188
	;; [unrolled: 1-line block ×3, first 2 shown]
	v_mad_u64_u32 v[16:17], null, v0, v11, v[10:11]
	v_mul_lo_u32 v10, v254, v39
	v_add3_u32 v0, s1, v149, v150
	v_cvt_f32_i32_e32 v17, v209
	v_cvt_f32_i32_e32 v209, v49
	;; [unrolled: 1-line block ×3, first 2 shown]
	ds_read2_b32 v[42:43], v161 offset0:192 offset1:224
	v_cvt_f32_i32_e32 v16, v16
	v_mad_u64_u32 v[14:15], null, v18, v11, v[10:11]
	v_mul_lo_u32 v10, v61, v39
	v_add3_u32 v18, s1, v153, v154
	v_add3_u32 v61, s1, v155, v156
	v_cvt_f32_i32_e32 v39, v208
	v_cvt_f32_i32_e32 v15, v210
	;; [unrolled: 1-line block ×3, first 2 shown]
	ds_read2_b32 v[44:45], v161 offset0:128 offset1:160
	v_cvt_f32_i32_e32 v14, v14
	v_mad_u64_u32 v[10:11], null, v1, v11, v[10:11]
	v_add3_u32 v1, s1, v151, v152
	v_cvt_f32_i32_e32 v11, v211
	ds_read_b32 v210, v0
	ds_read_b32 v211, v1
	;; [unrolled: 1-line block ×4, first 2 shown]
	v_cvt_f32_i32_e32 v0, v8
	v_cvt_f32_i32_e32 v1, v9
	;; [unrolled: 1-line block ×14, first 2 shown]
	v_add_nc_u32_e32 v161, 4, v161
	s_add_i32 s1, s0, 2
	s_waitcnt lgkmcnt(3)
	v_cvt_f32_f16_sdwa v214, v210 dst_sel:DWORD dst_unused:UNUSED_PAD src0_sel:WORD_1
	s_waitcnt lgkmcnt(2)
	v_cvt_f32_f16_sdwa v215, v211 dst_sel:DWORD dst_unused:UNUSED_PAD src0_sel:WORD_1
	;; [unrolled: 2-line block ×4, first 2 shown]
	s_cmp_lt_u32 s0, 6
	v_mul_f32_e32 v3, v214, v3
	v_mul_f32_e32 v4, v214, v4
	;; [unrolled: 1-line block ×32, first 2 shown]
	v_fma_mix_f32 v3, v210, v205, -v3 op_sel_hi:[1,0,0]
	v_fma_mix_f32 v4, v210, v203, -v4 op_sel_hi:[1,0,0]
	;; [unrolled: 1-line block ×32, first 2 shown]
	v_fmac_f32_e32 v112, v6, v3
	v_fmac_f32_e32 v105, v7, v4
	;; [unrolled: 1-line block ×32, first 2 shown]
	s_mov_b32 s0, s1
	s_cbranch_scc1 .LBB128_7
; %bb.8:                                ;   in Loop: Header=BB128_6 Depth=1
	v_add_nc_u32_e32 v0, s11, v122
	s_barrier
	buffer_gl0_inv
	s_mov_b32 s0, 8
	v_add_nc_u32_e32 v1, v0, v114
	v_add_nc_u32_e32 v4, v0, v115
	;; [unrolled: 1-line block ×5, first 2 shown]
	v_mad_i64_i32 v[2:3], null, v1, 36, v[35:36]
	v_add_nc_u32_e32 v1, v0, v117
	v_mad_i64_i32 v[4:5], null, v4, 36, v[35:36]
	v_add_nc_u32_e32 v16, v0, v120
	v_mad_i64_i32 v[6:7], null, v6, 36, v[35:36]
	v_mad_i64_i32 v[8:9], null, v1, 36, v[35:36]
	v_add_nc_u32_e32 v1, 4, v159
	v_add_nc_u32_e32 v0, v0, v121
	v_mad_i64_i32 v[10:11], null, v10, 36, v[35:36]
	v_mad_i64_i32 v[14:15], null, v14, 36, v[35:36]
	v_mad_u64_u32 v[12:13], null, v1, 36, s[2:3]
	v_mad_i64_i32 v[16:17], null, v16, 36, v[35:36]
	v_mad_i64_i32 v[37:38], null, v0, 36, v[35:36]
	s_clause 0x8
	global_load_dword v0, v[12:13], off
	global_load_dword v1, v[2:3], off offset:4
	global_load_dword v4, v[4:5], off offset:4
	global_load_dword v5, v[6:7], off offset:4
	global_load_dword v6, v[8:9], off offset:4
	global_load_dword v7, v[10:11], off offset:4
	global_load_dword v8, v[14:15], off offset:4
	global_load_dword v9, v[16:17], off offset:4
	global_load_dword v10, v[37:38], off offset:4
	v_mov_b32_e32 v2, v131
	v_mov_b32_e32 v3, v126
	s_waitcnt vmcnt(8)
	v_cvt_f32_f16_e32 v0, v0
	s_waitcnt vmcnt(7)
	ds_write_b32 v141, v1
	s_waitcnt vmcnt(6)
	ds_write_b32 v142, v4
	;; [unrolled: 2-line block ×8, first 2 shown]
	ds_write_b32 v113, v0
	s_waitcnt lgkmcnt(0)
	s_barrier
	buffer_gl0_inv
.LBB128_9:                              ;   Parent Loop BB128_6 Depth=1
                                        ; =>  This Inner Loop Header: Depth=2
	s_and_b32 s15, s0, 0x3ffffff8
	s_add_i32 s1, s0, -8
	v_lshl_add_u32 v0, s15, 2, v125
	s_and_b32 s15, s0, -16
	v_mov_b32_e32 v208, 0
	s_add_i32 s15, s0, s15
	v_mov_b32_e32 v210, 0
	ds_read2_b32 v[4:5], v0 offset1:1
	v_add_nc_u32_e32 v9, s15, v127
	v_mov_b32_e32 v211, 0
	v_mov_b32_e32 v212, 0
	;; [unrolled: 1-line block ×18, first 2 shown]
	s_waitcnt lgkmcnt(0)
	v_ashrrev_i32_e32 v1, s1, v4
	v_ashrrev_i32_e32 v6, s1, v5
	ds_read2_b32 v[4:5], v0 offset0:2 offset1:3
	v_mov_b32_e32 v50, 0
	v_mov_b32_e32 v174, 0
	v_and_b32_e32 v1, 0x3030303, v1
	v_and_b32_e32 v44, 0x3030303, v6
	v_mov_b32_e32 v51, 0
	v_mov_b32_e32 v175, 0
	;; [unrolled: 1-line block ×3, first 2 shown]
	ds_read_b128 v[166:169], v2 offset:4096
	ds_read_b128 v[180:183], v2 offset:5120
	v_mov_b32_e32 v43, 0
	v_mov_b32_e32 v164, 0
	;; [unrolled: 1-line block ×10, first 2 shown]
	s_waitcnt lgkmcnt(2)
	v_ashrrev_i32_e32 v7, s1, v4
	v_add_nc_u32_e32 v4, 0x1080, v0
	v_ashrrev_i32_e32 v8, s1, v5
	ds_read_u16 v205, v9 offset:25088
	v_add_nc_u32_e32 v9, s15, v128
	v_and_b32_e32 v61, 0x3030303, v7
	ds_read2_b32 v[4:5], v4 offset1:1
	v_and_b32_e32 v69, 0x3030303, v8
	v_mov_b32_e32 v7, 0
	s_waitcnt lgkmcnt(2)
	v_dot4c_i32_i8 v177, v1, v180
	v_mov_b32_e32 v237, 0
	v_mov_b32_e32 v238, 0
	;; [unrolled: 1-line block ×4, first 2 shown]
	v_dot4c_i32_i8 v177, v44, v181
	v_mov_b32_e32 v241, 0
	v_mov_b32_e32 v242, 0
	;; [unrolled: 1-line block ×4, first 2 shown]
	v_dot4c_i32_i8 v177, v61, v182
	v_mov_b32_e32 v196, 0
	v_mov_b32_e32 v197, 0
	;; [unrolled: 1-line block ×3, first 2 shown]
	s_waitcnt lgkmcnt(1)
	v_bfe_u32 v6, v205, 4, 4
	v_dot4c_i32_i8 v177, v69, v183
	v_mov_b32_e32 v195, 0
	s_waitcnt lgkmcnt(0)
	v_ashrrev_i32_e32 v12, s1, v4
	v_add_nc_u32_e32 v4, 0x1088, v0
	v_ashrrev_i32_e32 v13, s1, v5
	ds_read_u16 v207, v9 offset:26112
	v_add_nc_u32_e32 v9, s15, v129
	v_mul_lo_u32 v73, 0x1010101, v6
	ds_read2_b32 v[4:5], v4 offset1:1
	v_and_b32_e32 v124, 0x3030303, v12
	v_and_b32_e32 v184, 0x3030303, v13
	v_mov_b32_e32 v12, 0
	v_mov_b32_e32 v13, 0
	;; [unrolled: 1-line block ×3, first 2 shown]
	v_dot4c_i32_i8 v176, v124, v180
	v_dot4c_i32_i8 v43, v73, v166
	v_mov_b32_e32 v201, 0
	v_mov_b32_e32 v202, 0
	;; [unrolled: 1-line block ×3, first 2 shown]
	v_dot4c_i32_i8 v176, v184, v181
	v_dot4c_i32_i8 v43, v73, v167
	v_mov_b32_e32 v194, 0
	ds_read_u16 v209, v9 offset:27136
	v_add_nc_u32_e32 v9, s15, v130
	ds_read_b128 v[46:49], v2 offset:2048
	s_waitcnt lgkmcnt(3)
	v_bfe_u32 v6, v207, 4, 4
	v_dot4c_i32_i8 v43, v73, v168
	ds_read_b128 v[160:163], v2 offset:3072
	s_waitcnt lgkmcnt(3)
	v_ashrrev_i32_e32 v14, s1, v4
	v_add_nc_u32_e32 v4, 0x2100, v0
	v_ashrrev_i32_e32 v15, s1, v5
	ds_read_u16 v200, v9 offset:28160
	ds_read_b128 v[8:11], v2
	v_mul_lo_u32 v91, 0x1010101, v6
	ds_read2_b32 v[4:5], v4 offset1:1
	v_and_b32_e32 v14, 0x3030303, v14
	v_and_b32_e32 v185, 0x3030303, v15
	v_mov_b32_e32 v15, 0
	v_dot4c_i32_i8 v43, v73, v169
	ds_read_b128 v[223:226], v2 offset:6160
	v_dot4c_i32_i8 v176, v14, v182
	s_waitcnt lgkmcnt(6)
	v_bfe_u32 v6, v209, 4, 4
	s_waitcnt lgkmcnt(5)
	v_dot4c_i32_i8 v40, v1, v46
	v_dot4c_i32_i8 v41, v124, v46
	;; [unrolled: 1-line block ×3, first 2 shown]
	v_mul_lo_u32 v96, 0x1010101, v6
	s_waitcnt lgkmcnt(4)
	v_dot4c_i32_i8 v173, v1, v160
	v_dot4c_i32_i8 v40, v44, v47
	;; [unrolled: 1-line block ×3, first 2 shown]
	s_waitcnt lgkmcnt(3)
	v_bfe_u32 v6, v200, 4, 4
	s_waitcnt lgkmcnt(2)
	v_dot4c_i32_i8 v208, v1, v8
	v_dot4c_i32_i8 v210, v124, v8
	s_waitcnt lgkmcnt(1)
	v_ashrrev_i32_e32 v16, s1, v4
	v_add_nc_u32_e32 v4, 0x2108, v0
	v_ashrrev_i32_e32 v17, s1, v5
	v_mul_lo_u32 v123, 0x1010101, v6
	v_dot4c_i32_i8 v217, v73, v8
	v_and_b32_e32 v186, 0x3030303, v16
	ds_read2_b32 v[4:5], v4 offset1:1
	v_and_b32_e32 v187, 0x3030303, v17
	v_dot4c_i32_i8 v216, v91, v8
	v_dot4c_i32_i8 v214, v96, v8
	;; [unrolled: 1-line block ×18, first 2 shown]
	s_waitcnt lgkmcnt(0)
	v_ashrrev_i32_e32 v18, s1, v4
	v_add_nc_u32_e32 v4, 0x3180, v0
	v_ashrrev_i32_e32 v37, s1, v5
	v_dot4c_i32_i8 v210, v185, v11
	v_dot4c_i32_i8 v217, v73, v11
	v_and_b32_e32 v18, 0x3030303, v18
	ds_read2_b32 v[4:5], v4 offset1:1
	v_and_b32_e32 v188, 0x3030303, v37
	v_dot4c_i32_i8 v216, v91, v11
	v_dot4c_i32_i8 v214, v96, v11
	;; [unrolled: 1-line block ×18, first 2 shown]
	s_waitcnt lgkmcnt(0)
	v_ashrrev_i32_e32 v38, s1, v4
	v_add_nc_u32_e32 v4, 0x3188, v0
	v_ashrrev_i32_e32 v39, s1, v5
	v_dot4c_i32_i8 v174, v186, v160
	v_dot4c_i32_i8 v51, v96, v160
	v_and_b32_e32 v38, 0x3030303, v38
	ds_read2_b32 v[4:5], v4 offset1:1
	v_and_b32_e32 v189, 0x3030303, v39
	v_dot4c_i32_i8 v52, v123, v160
	v_dot4c_i32_i8 v173, v44, v161
	;; [unrolled: 1-line block ×18, first 2 shown]
	s_waitcnt lgkmcnt(0)
	v_ashrrev_i32_e32 v4, s1, v4
	v_ashrrev_i32_e32 v5, s1, v5
	v_dot4c_i32_i8 v52, v123, v162
	v_dot4c_i32_i8 v40, v69, v49
	;; [unrolled: 1-line block ×3, first 2 shown]
	v_and_b32_e32 v190, 0x3030303, v4
	v_and_b32_e32 v191, 0x3030303, v5
	v_dot4c_i32_i8 v42, v188, v49
	v_dot4c_i32_i8 v12, v96, v49
	;; [unrolled: 1-line block ×9, first 2 shown]
	ds_read_b128 v[8:11], v2 offset:1024
	v_dot4c_i32_i8 v45, v191, v49
	v_dot4c_i32_i8 v50, v91, v163
	;; [unrolled: 1-line block ×19, first 2 shown]
	s_waitcnt lgkmcnt(0)
	v_dot4c_i32_i8 v222, v1, v8
	v_dot4c_i32_i8 v219, v73, v8
	;; [unrolled: 1-line block ×32, first 2 shown]
	v_mov_b32_e32 v10, 0
	v_mov_b32_e32 v11, 0
	v_dot4c_i32_i8 v164, v188, v169
	v_dot4c_i32_i8 v165, v191, v169
	v_dot4c_i32_i8 v179, v190, v182
	v_dot4c_i32_i8 v10, v73, v46
	v_dot4c_i32_i8 v11, v91, v46
	v_mov_b32_e32 v46, 0
	v_dot4c_i32_i8 v172, v123, v182
	v_dot4c_i32_i8 v178, v188, v183
	v_dot4c_i32_i8 v10, v73, v47
	v_dot4c_i32_i8 v11, v91, v47
	v_mov_b32_e32 v47, 0
	v_dot4c_i32_i8 v46, v91, v166
	v_dot4c_i32_i8 v179, v191, v183
	v_dot4c_i32_i8 v10, v73, v48
	v_dot4c_i32_i8 v11, v91, v48
	;; [unrolled: 5-line block ×3, first 2 shown]
	v_dot4c_i32_i8 v48, v73, v160
	v_mov_b32_e32 v49, 0
	v_dot4c_i32_i8 v47, v96, v167
	v_dot4c_i32_i8 v46, v91, v168
	;; [unrolled: 1-line block ×4, first 2 shown]
	v_mov_b32_e32 v161, 0
	v_dot4c_i32_i8 v49, v123, v166
	v_dot4c_i32_i8 v47, v96, v168
	v_dot4c_i32_i8 v46, v91, v169
	v_dot4c_i32_i8 v48, v73, v162
	v_dot4c_i32_i8 v161, v1, v166
	v_dot4c_i32_i8 v49, v123, v167
	v_dot4c_i32_i8 v47, v96, v169
	v_mov_b32_e32 v39, 0
	v_dot4c_i32_i8 v48, v73, v163
	v_mov_b32_e32 v163, 0
	v_dot4c_i32_i8 v161, v44, v167
	v_dot4c_i32_i8 v49, v123, v168
	v_mov_b32_e32 v8, 0
	v_mov_b32_e32 v37, 0
	v_dot4c_i32_i8 v163, v124, v166
	v_dot4c_i32_i8 v161, v61, v168
	v_dot4c_i32_i8 v49, v123, v169
	v_mov_b32_e32 v6, 0
	v_mov_b32_e32 v17, 0
	v_dot4c_i32_i8 v163, v184, v167
	v_dot4c_i32_i8 v161, v69, v169
	v_mov_b32_e32 v167, 0
	v_mov_b32_e32 v5, 0
	;; [unrolled: 1-line block ×3, first 2 shown]
	v_dot4c_i32_i8 v163, v14, v168
	v_mov_b32_e32 v168, 0
	v_dot4c_i32_i8 v167, v73, v180
	v_mov_b32_e32 v4, 0
	v_mov_b32_e32 v166, 0
	v_dot4c_i32_i8 v163, v185, v169
	v_mov_b32_e32 v169, 0
	v_dot4c_i32_i8 v168, v91, v180
	v_dot4c_i32_i8 v167, v73, v181
	v_mov_b32_e32 v160, 0
	v_mov_b32_e32 v162, 0
	v_dot4c_i32_i8 v169, v96, v180
	v_dot4c_i32_i8 v168, v91, v181
	;; [unrolled: 1-line block ×3, first 2 shown]
	v_mov_b32_e32 v9, 0
	v_dot4c_i32_i8 v169, v96, v181
	v_dot4c_i32_i8 v168, v91, v182
	;; [unrolled: 1-line block ×6, first 2 shown]
	ds_read_b128 v[180:183], v2 offset:6144
	s_waitcnt lgkmcnt(0)
	v_dot4c_i32_i8 v39, v1, v180
	v_dot4c_i32_i8 v8, v73, v180
	;; [unrolled: 1-line block ×32, first 2 shown]
	ds_read_b128 v[180:183], v2 offset:7168
	s_waitcnt lgkmcnt(0)
	v_dot4c_i32_i8 v166, v124, v180
	v_dot4c_i32_i8 v170, v1, v180
	v_dot4c_i32_i8 v160, v38, v180
	v_mov_b32_e32 v38, 0
	v_dot4c_i32_i8 v162, v186, v180
	v_dot4c_i32_i8 v166, v184, v181
	v_dot4c_i32_i8 v170, v44, v181
	v_mov_b32_e32 v44, 0
	v_dot4c_i32_i8 v38, v91, v180
	v_dot4c_i32_i8 v9, v123, v180
	v_dot4c_i32_i8 v166, v14, v182
	v_mov_b32_e32 v14, 0
	v_dot4c_i32_i8 v44, v73, v180
	v_dot4c_i32_i8 v162, v187, v181
	;; [unrolled: 1-line block ×10, first 2 shown]
	ds_read2_b32 v[180:181], v0 offset0:4 offset1:5
	v_dot4c_i32_i8 v44, v73, v182
	v_dot4c_i32_i8 v38, v91, v182
	;; [unrolled: 1-line block ×6, first 2 shown]
	v_add_nc_u32_e32 v73, 0x1090, v0
	v_dot4c_i32_i8 v38, v91, v183
	v_dot4c_i32_i8 v14, v96, v183
	v_add_nc_u32_e32 v96, 0x1098, v0
	v_add_nc_u32_e32 v124, 0x2110, v0
	v_dot4c_i32_i8 v9, v123, v183
	v_dot4c_i32_i8 v166, v185, v183
	;; [unrolled: 1-line block ×4, first 2 shown]
	s_waitcnt lgkmcnt(0)
	v_ashrrev_i32_e32 v1, s1, v180
	v_ashrrev_i32_e32 v18, s1, v181
	ds_read2_b32 v[180:181], v0 offset0:6 offset1:7
	v_dot4c_i32_i8 v160, v191, v183
	v_and_b32_e32 v1, 0x3030303, v1
	v_and_b32_e32 v18, 0x3030303, v18
	s_waitcnt lgkmcnt(0)
	v_ashrrev_i32_e32 v61, s1, v180
	v_ashrrev_i32_e32 v69, s1, v181
	ds_read2_b32 v[180:181], v73 offset1:1
	v_and_b32_e32 v61, 0x3030303, v61
	v_and_b32_e32 v69, 0x3030303, v69
	s_waitcnt lgkmcnt(0)
	v_ashrrev_i32_e32 v73, s1, v180
	v_ashrrev_i32_e32 v91, s1, v181
	ds_read2_b32 v[180:181], v96 offset1:1
	;; [unrolled: 6-line block ×3, first 2 shown]
	v_and_b32_e32 v96, 0x3030303, v96
	v_and_b32_e32 v123, 0x3030303, v123
	s_waitcnt lgkmcnt(0)
	v_ashrrev_i32_e32 v124, s1, v180
	v_add_nc_u32_e32 v180, 0x2118, v0
	v_ashrrev_i32_e32 v184, s1, v181
	v_and_b32_e32 v124, 0x3030303, v124
	ds_read2_b32 v[180:181], v180 offset1:1
	v_and_b32_e32 v206, 0x3030303, v184
	v_mov_b32_e32 v184, 0
	s_waitcnt lgkmcnt(0)
	v_ashrrev_i32_e32 v185, s1, v180
	v_add_nc_u32_e32 v180, 0x3190, v0
	v_ashrrev_i32_e32 v186, s1, v181
	v_add_nc_u32_e32 v0, 0x3198, v0
	v_and_b32_e32 v228, 0x3030303, v185
	ds_read2_b32 v[180:181], v180 offset1:1
	v_and_b32_e32 v229, 0x3030303, v186
	v_mov_b32_e32 v185, 0
	v_mov_b32_e32 v186, 0
	s_waitcnt lgkmcnt(0)
	v_ashrrev_i32_e32 v187, s1, v180
	v_ashrrev_i32_e32 v188, s1, v181
	ds_read2_b32 v[180:181], v0 offset1:1
	v_and_b32_e32 v230, 0x3030303, v187
	v_and_b32_e32 v231, 0x3030303, v188
	v_mov_b32_e32 v188, 0
	v_mov_b32_e32 v187, 0
	s_waitcnt lgkmcnt(0)
	v_ashrrev_i32_e32 v0, s1, v180
	v_and_b32_sdwa v180, v157, v205 dst_sel:DWORD dst_unused:UNUSED_PAD src0_sel:DWORD src1_sel:BYTE_1
	v_ashrrev_i32_e32 v189, s1, v181
	s_lshr_b32 s1, s0, 2
	v_and_b32_e32 v0, 0x3030303, v0
	v_lshrrev_b32_e32 v190, 4, v180
	v_and_b32_sdwa v180, v157, v207 dst_sel:DWORD dst_unused:UNUSED_PAD src0_sel:DWORD src1_sel:BYTE_1
	v_and_b32_e32 v232, 0x3030303, v189
	v_mov_b32_e32 v189, 0
	s_and_b32 s1, s1, 0x3ffffffc
	v_mul_lo_u32 v233, 0x1010101, v190
	v_lshrrev_b32_e32 v191, 4, v180
	v_and_b32_sdwa v180, v157, v209 dst_sel:DWORD dst_unused:UNUSED_PAD src0_sel:DWORD src1_sel:BYTE_1
	v_mov_b32_e32 v190, 0
	s_addk_i32 s1, 0x7280
	v_mul_lo_u32 v234, 0x1010101, v191
	v_lshrrev_b32_e32 v192, 4, v180
	v_and_b32_sdwa v180, v157, v200 dst_sel:DWORD dst_unused:UNUSED_PAD src0_sel:DWORD src1_sel:BYTE_1
	v_mov_b32_e32 v191, 0
	v_dot4c_i32_i8 v8, v233, v223
	v_mul_lo_u32 v235, 0x1010101, v192
	v_lshrrev_b32_e32 v193, 4, v180
	ds_read_b128 v[180:183], v2 offset:16
	v_mov_b32_e32 v192, 0
	v_dot4c_i32_i8 v6, v234, v223
	v_dot4c_i32_i8 v8, v233, v224
	v_mul_lo_u32 v236, 0x1010101, v193
	v_mov_b32_e32 v193, 0
	v_dot4c_i32_i8 v5, v235, v223
	v_dot4c_i32_i8 v6, v234, v224
	;; [unrolled: 1-line block ×10, first 2 shown]
	s_waitcnt lgkmcnt(0)
	v_dot4c_i32_i8 v227, v1, v180
	v_dot4c_i32_i8 v237, v73, v180
	;; [unrolled: 1-line block ×32, first 2 shown]
	ds_read_b128 v[180:183], v2 offset:1040
	v_dot4c_i32_i8 v4, v236, v225
	v_dot4c_i32_i8 v5, v235, v226
	v_cvt_f32_i32_e32 v6, v6
	v_dot4c_i32_i8 v4, v236, v226
	v_cvt_f32_i32_e32 v5, v5
	v_cvt_f32_i32_e32 v4, v4
	s_waitcnt lgkmcnt(0)
	v_dot4c_i32_i8 v240, v1, v180
	v_dot4c_i32_i8 v241, v73, v180
	;; [unrolled: 1-line block ×32, first 2 shown]
	ds_read_b128 v[180:183], v2 offset:2064
	s_waitcnt lgkmcnt(0)
	v_dot4c_i32_i8 v188, v1, v180
	v_dot4c_i32_i8 v185, v73, v180
	;; [unrolled: 1-line block ×32, first 2 shown]
	ds_read_b128 v[180:183], v2 offset:3088
	v_cvt_f32_i32_e32 v10, v10
	s_waitcnt lgkmcnt(0)
	v_dot4c_i32_i8 v199, v1, v180
	v_dot4c_i32_i8 v196, v73, v180
	;; [unrolled: 1-line block ×32, first 2 shown]
	ds_read_b128 v[180:183], v2 offset:4112
	s_waitcnt lgkmcnt(0)
	v_dot4c_i32_i8 v195, v1, v180
	v_dot4c_i32_i8 v191, v73, v180
	;; [unrolled: 1-line block ×32, first 2 shown]
	ds_read_b128 v[180:183], v2 offset:5136
	s_waitcnt lgkmcnt(0)
	v_dot4c_i32_i8 v204, v1, v180
	v_dot4c_i32_i8 v201, v73, v180
	;; [unrolled: 1-line block ×32, first 2 shown]
	v_mov_b32_e32 v183, 0
	v_mov_b32_e32 v182, 0
	v_mov_b32_e32 v181, 0
	v_mov_b32_e32 v180, 0
	v_dot4c_i32_i8 v183, v1, v223
	v_dot4c_i32_i8 v182, v73, v223
	;; [unrolled: 1-line block ×16, first 2 shown]
	ds_read_b128 v[223:226], v2 offset:7184
	v_add_nc_u32_e32 v2, 32, v2
	s_waitcnt lgkmcnt(0)
	v_dot4c_i32_i8 v184, v230, v223
	v_dot4c_i32_i8 v189, v124, v223
	;; [unrolled: 1-line block ×3, first 2 shown]
	v_and_b32_sdwa v1, v205, v158 dst_sel:DWORD dst_unused:UNUSED_PAD src0_sel:BYTE_1 src1_sel:DWORD
	v_dot4c_i32_i8 v190, v73, v223
	v_dot4c_i32_i8 v184, v231, v224
	;; [unrolled: 1-line block ×7, first 2 shown]
	v_and_b32_e32 v0, 15, v205
	v_dot4c_i32_i8 v9, v236, v223
	v_and_b32_e32 v205, 0xffff, v1
	v_dot4c_i32_i8 v194, v18, v224
	v_dot4c_i32_i8 v190, v91, v224
	v_and_b32_e32 v206, 0xffff, v0
	v_dot4c_i32_i8 v44, v233, v224
	v_dot4c_i32_i8 v38, v234, v224
	;; [unrolled: 1-line block ×4, first 2 shown]
	v_mul_lo_u32 v208, v206, v208
	v_and_b32_e32 v0, 15, v207
	v_dot4c_i32_i8 v194, v61, v225
	v_dot4c_i32_i8 v190, v96, v225
	;; [unrolled: 1-line block ×6, first 2 shown]
	v_mad_u64_u32 v[223:224], null, v205, v227, v[208:209]
	v_mul_lo_u32 v208, v222, v206
	v_dot4c_i32_i8 v9, v236, v225
	v_and_b32_sdwa v1, v207, v158 dst_sel:DWORD dst_unused:UNUSED_PAD src0_sel:BYTE_1 src1_sel:DWORD
	v_dot4c_i32_i8 v194, v69, v226
	v_dot4c_i32_i8 v190, v123, v226
	;; [unrolled: 1-line block ×4, first 2 shown]
	v_and_b32_e32 v207, 0xffff, v1
	v_mad_u64_u32 v[224:225], null, v240, v205, v[208:209]
	v_and_b32_e32 v208, 0xffff, v0
	v_dot4c_i32_i8 v44, v233, v226
	v_dot4c_i32_i8 v38, v234, v226
	;; [unrolled: 1-line block ×4, first 2 shown]
	v_mul_lo_u32 v210, v208, v210
	v_and_b32_e32 v0, 15, v209
	v_and_b32_sdwa v1, v209, v158 dst_sel:DWORD dst_unused:UNUSED_PAD src0_sel:BYTE_1 src1_sel:DWORD
	v_cvt_f32_i32_e32 v225, v223
	v_cvt_f32_i32_e32 v224, v224
	;; [unrolled: 1-line block ×3, first 2 shown]
	v_and_b32_e32 v209, 0xffff, v1
	v_mad_u64_u32 v[226:227], null, v207, v237, v[210:211]
	v_mul_lo_u32 v210, v221, v208
	v_and_b32_sdwa v1, v200, v158 dst_sel:DWORD dst_unused:UNUSED_PAD src0_sel:BYTE_1 src1_sel:DWORD
	v_cvt_f32_i32_e32 v223, v226
	v_mad_u64_u32 v[221:222], null, v241, v207, v[210:211]
	v_and_b32_e32 v210, 0xffff, v0
	v_and_b32_e32 v0, 15, v200
	;; [unrolled: 1-line block ×3, first 2 shown]
	v_mul_lo_u32 v211, v210, v211
	v_cvt_f32_i32_e32 v222, v221
	v_mad_u64_u32 v[227:228], null, v209, v238, v[211:212]
	v_mul_lo_u32 v211, v220, v210
	v_cvt_f32_i32_e32 v221, v227
	v_mad_u64_u32 v[228:229], null, v242, v209, v[211:212]
	v_and_b32_e32 v211, 0xffff, v0
	v_add3_u32 v0, s1, v149, v150
	v_mul_lo_u32 v212, v211, v212
	ds_read_b32 v226, v0
	v_cvt_f32_i32_e32 v0, v217
	v_cvt_f32_i32_e32 v220, v228
	v_mad_u64_u32 v[229:230], null, v200, v239, v[212:213]
	v_mul_lo_u32 v212, v213, v211
	v_mad_u64_u32 v[212:213], null, v243, v200, v[212:213]
	v_cvt_f32_i32_e32 v213, v229
	s_waitcnt lgkmcnt(0)
	v_cvt_f32_f16_sdwa v227, v226 dst_sel:DWORD dst_unused:UNUSED_PAD src0_sel:WORD_1
	v_mul_f32_e32 v0, v227, v0
	v_cvt_f32_i32_e32 v212, v212
	v_mul_f32_e32 v10, v227, v10
	v_fma_mix_f32 v225, v226, v225, -v0 op_sel_hi:[1,0,0]
	v_cvt_f32_i32_e32 v0, v219
	v_mul_f32_e32 v0, v227, v0
	v_fma_mix_f32 v219, v226, v224, -v0 op_sel_hi:[1,0,0]
	v_add3_u32 v0, s1, v151, v152
	ds_read_b32 v217, v0
	v_cvt_f32_i32_e32 v0, v216
	s_waitcnt lgkmcnt(0)
	v_cvt_f32_f16_sdwa v216, v217 dst_sel:DWORD dst_unused:UNUSED_PAD src0_sel:WORD_1
	v_mul_f32_e32 v0, v216, v0
	v_mul_f32_e32 v6, v216, v6
	v_fma_mix_f32 v223, v217, v223, -v0 op_sel_hi:[1,0,0]
	v_cvt_f32_i32_e32 v0, v218
	v_mul_f32_e32 v0, v216, v0
	v_fma_mix_f32 v222, v217, v222, -v0 op_sel_hi:[1,0,0]
	v_add3_u32 v0, s1, v153, v154
	ds_read_b32 v218, v0
	v_cvt_f32_i32_e32 v0, v214
	s_waitcnt lgkmcnt(0)
	v_cvt_f32_f16_sdwa v214, v218 dst_sel:DWORD dst_unused:UNUSED_PAD src0_sel:WORD_1
	v_mul_f32_e32 v0, v214, v0
	v_mul_f32_e32 v5, v214, v5
	v_fma_mix_f32 v221, v218, v221, -v0 op_sel_hi:[1,0,0]
	v_cvt_f32_i32_e32 v0, v215
	v_mul_f32_e32 v0, v214, v0
	v_fma_mix_f32 v220, v218, v220, -v0 op_sel_hi:[1,0,0]
	v_add3_u32 v0, s1, v155, v156
	s_add_i32 s1, s0, 2
	s_cmp_lt_u32 s0, 14
	s_mov_b32 s0, s1
	ds_read_b32 v215, v0
	v_cvt_f32_i32_e32 v0, v7
	v_cvt_f32_i32_e32 v7, v15
	s_waitcnt lgkmcnt(0)
	v_cvt_f32_f16_sdwa v1, v215 dst_sel:DWORD dst_unused:UNUSED_PAD src0_sel:WORD_1
	v_mul_f32_e32 v0, v1, v0
	v_mul_f32_e32 v7, v1, v7
	;; [unrolled: 1-line block ×3, first 2 shown]
	v_fma_mix_f32 v0, v215, v213, -v0 op_sel_hi:[1,0,0]
	v_fma_mix_f32 v7, v215, v212, -v7 op_sel_hi:[1,0,0]
	ds_read2_b32 v[212:213], v3 offset1:32
	s_waitcnt lgkmcnt(0)
	v_fmac_f32_e32 v100, v213, v7
	v_mul_lo_u32 v7, v40, v206
	v_fmac_f32_e32 v112, v212, v225
	v_fmac_f32_e32 v105, v213, v219
	;; [unrolled: 1-line block ×7, first 2 shown]
	v_mad_u64_u32 v[212:213], null, v188, v205, v[7:8]
	v_mul_lo_u32 v7, v173, v206
	v_cvt_f32_i32_e32 v0, v212
	v_mad_u64_u32 v[219:220], null, v199, v205, v[7:8]
	v_mul_lo_u32 v7, v41, v208
	v_fma_mix_f32 v0, v226, v0, -v10 op_sel_hi:[1,0,0]
	v_cvt_f32_i32_e32 v10, v11
	v_mul_f32_e32 v10, v216, v10
	v_mad_u64_u32 v[40:41], null, v185, v207, v[7:8]
	v_mul_lo_u32 v7, v42, v210
	v_cvt_f32_i32_e32 v15, v40
	v_mad_u64_u32 v[41:42], null, v186, v209, v[7:8]
	v_mul_lo_u32 v7, v45, v211
	v_fma_mix_f32 v15, v217, v15, -v10 op_sel_hi:[1,0,0]
	v_cvt_f32_i32_e32 v10, v12
	v_cvt_f32_i32_e32 v18, v41
	v_mul_f32_e32 v10, v214, v10
	v_mad_u64_u32 v[185:186], null, v187, v200, v[7:8]
	v_mul_lo_u32 v7, v171, v208
	v_fma_mix_f32 v12, v218, v18, -v10 op_sel_hi:[1,0,0]
	v_cvt_f32_i32_e32 v10, v13
	v_cvt_f32_i32_e32 v40, v185
	v_mad_u64_u32 v[186:187], null, v196, v207, v[7:8]
	v_mul_lo_u32 v7, v174, v210
	v_mul_f32_e32 v10, v1, v10
	v_fma_mix_f32 v13, v215, v40, -v10 op_sel_hi:[1,0,0]
	v_cvt_f32_i32_e32 v10, v48
	v_mad_u64_u32 v[173:174], null, v197, v209, v[7:8]
	v_mul_lo_u32 v7, v175, v211
	v_cvt_f32_i32_e32 v41, v186
	v_mul_f32_e32 v10, v227, v10
	v_cvt_f32_i32_e32 v42, v173
	v_mad_u64_u32 v[174:175], null, v198, v200, v[7:8]
	v_cvt_f32_i32_e32 v7, v219
	v_fma_mix_f32 v7, v226, v7, -v10 op_sel_hi:[1,0,0]
	v_cvt_f32_i32_e32 v10, v50
	v_cvt_f32_i32_e32 v45, v174
	v_mul_f32_e32 v10, v216, v10
	v_fma_mix_f32 v18, v217, v41, -v10 op_sel_hi:[1,0,0]
	v_cvt_f32_i32_e32 v10, v51
	v_mul_f32_e32 v10, v214, v10
	v_fma_mix_f32 v40, v218, v42, -v10 op_sel_hi:[1,0,0]
	;; [unrolled: 3-line block ×3, first 2 shown]
	ds_read2_b32 v[10:11], v3 offset0:64 offset1:96
	s_waitcnt lgkmcnt(0)
	v_fmac_f32_e32 v84, v11, v7
	v_mul_lo_u32 v7, v161, v206
	v_fmac_f32_e32 v97, v10, v0
	v_fmac_f32_e32 v93, v10, v15
	;; [unrolled: 1-line block ×7, first 2 shown]
	v_mad_u64_u32 v[10:11], null, v195, v205, v[7:8]
	v_mul_lo_u32 v7, v177, v206
	v_cvt_f32_i32_e32 v0, v10
	v_mad_u64_u32 v[11:12], null, v204, v205, v[7:8]
	v_mul_lo_u32 v7, v163, v208
	v_mad_u64_u32 v[12:13], null, v191, v207, v[7:8]
	v_mul_lo_u32 v7, v164, v210
	v_cvt_f32_i32_e32 v10, v12
	v_mad_u64_u32 v[40:41], null, v192, v209, v[7:8]
	v_mul_lo_u32 v7, v165, v211
	;; [unrolled: 5-line block ×3, first 2 shown]
	v_cvt_f32_i32_e32 v13, v50
	v_mad_u64_u32 v[51:52], null, v202, v209, v[7:8]
	v_mul_lo_u32 v7, v179, v211
	v_cvt_f32_i32_e32 v15, v51
	v_mad_u64_u32 v[163:164], null, v203, v200, v[7:8]
	v_cvt_f32_i32_e32 v7, v11
	v_cvt_f32_i32_e32 v11, v40
	;; [unrolled: 1-line block ×4, first 2 shown]
	v_mul_f32_e32 v40, v227, v40
	v_fma_mix_f32 v0, v226, v0, -v40 op_sel_hi:[1,0,0]
	v_cvt_f32_i32_e32 v40, v46
	v_mul_f32_e32 v40, v216, v40
	v_fma_mix_f32 v40, v217, v10, -v40 op_sel_hi:[1,0,0]
	v_cvt_f32_i32_e32 v10, v47
	;; [unrolled: 3-line block ×7, first 2 shown]
	v_mul_f32_e32 v10, v1, v10
	v_mul_f32_e32 v1, v1, v9
	v_fma_mix_f32 v18, v215, v18, -v10 op_sel_hi:[1,0,0]
	ds_read2_b32 v[10:11], v3 offset0:128 offset1:160
	s_waitcnt lgkmcnt(0)
	v_fmac_f32_e32 v65, v11, v7
	v_mul_lo_u32 v7, v39, v206
	v_fmac_f32_e32 v70, v10, v0
	v_fmac_f32_e32 v68, v10, v40
	;; [unrolled: 1-line block ×7, first 2 shown]
	v_mad_u64_u32 v[10:11], null, v183, v205, v[7:8]
	v_mul_lo_u32 v7, v170, v206
	v_cvt_f32_i32_e32 v0, v10
	v_cvt_f32_i32_e32 v10, v44
	v_mad_u64_u32 v[11:12], null, v194, v205, v[7:8]
	v_mul_lo_u32 v7, v37, v208
	v_mul_f32_e32 v10, v227, v10
	v_mad_u64_u32 v[12:13], null, v182, v207, v[7:8]
	v_mul_lo_u32 v7, v166, v208
	v_mad_u64_u32 v[39:40], null, v190, v207, v[7:8]
	v_mul_lo_u32 v7, v17, v210
	;; [unrolled: 2-line block ×5, first 2 shown]
	v_mad_u64_u32 v[16:17], null, v184, v200, v[7:8]
	v_cvt_f32_i32_e32 v8, v8
	v_cvt_f32_i32_e32 v7, v11
	;; [unrolled: 1-line block ×3, first 2 shown]
	v_mul_f32_e32 v8, v227, v8
	v_fma_mix_f32 v7, v226, v7, -v10 op_sel_hi:[1,0,0]
	v_cvt_f32_i32_e32 v10, v39
	v_mul_f32_e32 v11, v216, v11
	v_fma_mix_f32 v0, v226, v0, -v8 op_sel_hi:[1,0,0]
	v_cvt_f32_i32_e32 v8, v12
	v_cvt_f32_i32_e32 v12, v14
	v_fma_mix_f32 v6, v217, v8, -v6 op_sel_hi:[1,0,0]
	v_fma_mix_f32 v8, v217, v10, -v11 op_sel_hi:[1,0,0]
	v_cvt_f32_i32_e32 v10, v40
	v_cvt_f32_i32_e32 v11, v41
	v_mul_f32_e32 v12, v214, v12
	v_fma_mix_f32 v10, v218, v10, -v5 op_sel_hi:[1,0,0]
	v_cvt_f32_i32_e32 v5, v15
	v_fma_mix_f32 v11, v218, v11, -v12 op_sel_hi:[1,0,0]
	v_cvt_f32_i32_e32 v12, v16
	v_fma_mix_f32 v9, v215, v5, -v4 op_sel_hi:[1,0,0]
	ds_read2_b32 v[4:5], v3 offset0:192 offset1:224
	v_fma_mix_f32 v1, v215, v12, -v1 op_sel_hi:[1,0,0]
	v_add_nc_u32_e32 v3, 4, v3
	s_waitcnt lgkmcnt(0)
	v_fmac_f32_e32 v60, v4, v0
	v_fmac_f32_e32 v59, v4, v6
	;; [unrolled: 1-line block ×8, first 2 shown]
	s_cbranch_scc1 .LBB128_9
; %bb.10:                               ;   in Loop: Header=BB128_6 Depth=1
	s_or_b32 s0, s9, 1
	s_cmp_ge_i32 s0, s4
	s_barrier
	buffer_gl0_inv
	s_cbranch_scc1 .LBB128_5
; %bb.11:                               ;   in Loop: Header=BB128_6 Depth=1
	buffer_load_dword v0, off, s[16:19], 0 offset:28 ; 4-byte Folded Reload
	v_add_nc_u32_e32 v12, 8, v159
	s_mov_b32 s0, 16
	v_mad_u64_u32 v[12:13], null, v12, 36, s[2:3]
	s_waitcnt vmcnt(0)
	v_add_nc_u32_e32 v0, s11, v0
	v_add_nc_u32_e32 v1, v0, v114
	;; [unrolled: 1-line block ×6, first 2 shown]
	v_mad_i64_i32 v[2:3], null, v1, 36, v[35:36]
	v_add_nc_u32_e32 v1, v0, v118
	v_mad_i64_i32 v[4:5], null, v4, 36, v[35:36]
	v_mad_i64_i32 v[6:7], null, v6, 36, v[35:36]
	;; [unrolled: 1-line block ×3, first 2 shown]
	v_add_nc_u32_e32 v1, v0, v119
	v_add_nc_u32_e32 v0, v0, v121
	v_mad_i64_i32 v[8:9], null, v8, 36, v[35:36]
	v_mad_i64_i32 v[16:17], null, v16, 36, v[35:36]
	v_mad_i64_i32 v[14:15], null, v1, 36, v[35:36]
	v_mad_i64_i32 v[37:38], null, v0, 36, v[35:36]
	s_clause 0x8
	global_load_dword v0, v[12:13], off
	global_load_dword v1, v[2:3], off offset:4
	global_load_dword v4, v[4:5], off offset:4
	;; [unrolled: 1-line block ×8, first 2 shown]
	v_mov_b32_e32 v2, v131
	v_mov_b32_e32 v3, v126
	s_waitcnt vmcnt(8)
	v_cvt_f32_f16_e32 v0, v0
	s_waitcnt vmcnt(7)
	ds_write_b32 v141, v1
	s_waitcnt vmcnt(6)
	ds_write_b32 v142, v4
	;; [unrolled: 2-line block ×8, first 2 shown]
	ds_write_b32 v113, v0
	s_waitcnt lgkmcnt(0)
	s_barrier
	buffer_gl0_inv
.LBB128_12:                             ;   Parent Loop BB128_6 Depth=1
                                        ; =>  This Inner Loop Header: Depth=2
	s_and_b32 s15, s0, 0x3ffffff8
	s_add_i32 s1, s0, -16
	v_lshl_add_u32 v0, s15, 2, v125
	s_and_b32 s15, s0, -16
	v_mov_b32_e32 v208, 0
	s_add_i32 s15, s0, s15
	v_mov_b32_e32 v210, 0
	ds_read2_b32 v[4:5], v0 offset1:1
	v_add_nc_u32_e32 v9, s15, v127
	v_mov_b32_e32 v211, 0
	v_mov_b32_e32 v212, 0
	;; [unrolled: 1-line block ×18, first 2 shown]
	s_waitcnt lgkmcnt(0)
	v_ashrrev_i32_e32 v1, s1, v4
	v_ashrrev_i32_e32 v6, s1, v5
	ds_read2_b32 v[4:5], v0 offset0:2 offset1:3
	v_mov_b32_e32 v50, 0
	v_mov_b32_e32 v174, 0
	v_and_b32_e32 v1, 0x3030303, v1
	v_and_b32_e32 v44, 0x3030303, v6
	v_mov_b32_e32 v51, 0
	v_mov_b32_e32 v175, 0
	;; [unrolled: 1-line block ×3, first 2 shown]
	ds_read_b128 v[166:169], v2 offset:4096
	ds_read_b128 v[180:183], v2 offset:5120
	v_mov_b32_e32 v43, 0
	v_mov_b32_e32 v164, 0
	;; [unrolled: 1-line block ×10, first 2 shown]
	s_waitcnt lgkmcnt(2)
	v_ashrrev_i32_e32 v7, s1, v4
	v_add_nc_u32_e32 v4, 0x1080, v0
	v_ashrrev_i32_e32 v8, s1, v5
	ds_read_u16 v205, v9 offset:25072
	v_add_nc_u32_e32 v9, s15, v128
	v_and_b32_e32 v61, 0x3030303, v7
	ds_read2_b32 v[4:5], v4 offset1:1
	v_and_b32_e32 v69, 0x3030303, v8
	v_mov_b32_e32 v7, 0
	s_waitcnt lgkmcnt(2)
	v_dot4c_i32_i8 v177, v1, v180
	v_mov_b32_e32 v237, 0
	v_mov_b32_e32 v238, 0
	;; [unrolled: 1-line block ×4, first 2 shown]
	v_dot4c_i32_i8 v177, v44, v181
	v_mov_b32_e32 v241, 0
	v_mov_b32_e32 v242, 0
	;; [unrolled: 1-line block ×4, first 2 shown]
	v_dot4c_i32_i8 v177, v61, v182
	v_mov_b32_e32 v196, 0
	v_mov_b32_e32 v197, 0
	;; [unrolled: 1-line block ×3, first 2 shown]
	s_waitcnt lgkmcnt(1)
	v_bfe_u32 v6, v205, 4, 4
	v_dot4c_i32_i8 v177, v69, v183
	v_mov_b32_e32 v195, 0
	s_waitcnt lgkmcnt(0)
	v_ashrrev_i32_e32 v12, s1, v4
	v_add_nc_u32_e32 v4, 0x1088, v0
	v_ashrrev_i32_e32 v13, s1, v5
	ds_read_u16 v207, v9 offset:26096
	v_add_nc_u32_e32 v9, s15, v129
	v_mul_lo_u32 v73, 0x1010101, v6
	ds_read2_b32 v[4:5], v4 offset1:1
	v_and_b32_e32 v124, 0x3030303, v12
	v_and_b32_e32 v184, 0x3030303, v13
	v_mov_b32_e32 v12, 0
	v_mov_b32_e32 v13, 0
	;; [unrolled: 1-line block ×3, first 2 shown]
	v_dot4c_i32_i8 v176, v124, v180
	v_dot4c_i32_i8 v43, v73, v166
	v_mov_b32_e32 v201, 0
	v_mov_b32_e32 v202, 0
	;; [unrolled: 1-line block ×3, first 2 shown]
	v_dot4c_i32_i8 v176, v184, v181
	v_dot4c_i32_i8 v43, v73, v167
	v_mov_b32_e32 v194, 0
	ds_read_u16 v209, v9 offset:27120
	v_add_nc_u32_e32 v9, s15, v130
	ds_read_b128 v[46:49], v2 offset:2048
	s_waitcnt lgkmcnt(3)
	v_bfe_u32 v6, v207, 4, 4
	v_dot4c_i32_i8 v43, v73, v168
	ds_read_b128 v[160:163], v2 offset:3072
	s_waitcnt lgkmcnt(3)
	v_ashrrev_i32_e32 v14, s1, v4
	v_add_nc_u32_e32 v4, 0x2100, v0
	v_ashrrev_i32_e32 v15, s1, v5
	ds_read_u16 v200, v9 offset:28144
	ds_read_b128 v[8:11], v2
	v_mul_lo_u32 v91, 0x1010101, v6
	ds_read2_b32 v[4:5], v4 offset1:1
	v_and_b32_e32 v14, 0x3030303, v14
	v_and_b32_e32 v185, 0x3030303, v15
	v_mov_b32_e32 v15, 0
	v_dot4c_i32_i8 v43, v73, v169
	ds_read_b128 v[223:226], v2 offset:6160
	v_dot4c_i32_i8 v176, v14, v182
	s_waitcnt lgkmcnt(6)
	v_bfe_u32 v6, v209, 4, 4
	s_waitcnt lgkmcnt(5)
	v_dot4c_i32_i8 v40, v1, v46
	v_dot4c_i32_i8 v41, v124, v46
	;; [unrolled: 1-line block ×3, first 2 shown]
	v_mul_lo_u32 v96, 0x1010101, v6
	s_waitcnt lgkmcnt(4)
	v_dot4c_i32_i8 v173, v1, v160
	v_dot4c_i32_i8 v40, v44, v47
	;; [unrolled: 1-line block ×3, first 2 shown]
	s_waitcnt lgkmcnt(3)
	v_bfe_u32 v6, v200, 4, 4
	s_waitcnt lgkmcnt(2)
	v_dot4c_i32_i8 v208, v1, v8
	v_dot4c_i32_i8 v210, v124, v8
	s_waitcnt lgkmcnt(1)
	v_ashrrev_i32_e32 v16, s1, v4
	v_add_nc_u32_e32 v4, 0x2108, v0
	v_ashrrev_i32_e32 v17, s1, v5
	v_mul_lo_u32 v123, 0x1010101, v6
	v_dot4c_i32_i8 v217, v73, v8
	v_and_b32_e32 v186, 0x3030303, v16
	ds_read2_b32 v[4:5], v4 offset1:1
	v_and_b32_e32 v187, 0x3030303, v17
	v_dot4c_i32_i8 v216, v91, v8
	v_dot4c_i32_i8 v214, v96, v8
	;; [unrolled: 1-line block ×18, first 2 shown]
	s_waitcnt lgkmcnt(0)
	v_ashrrev_i32_e32 v18, s1, v4
	v_add_nc_u32_e32 v4, 0x3180, v0
	v_ashrrev_i32_e32 v37, s1, v5
	v_dot4c_i32_i8 v210, v185, v11
	v_dot4c_i32_i8 v217, v73, v11
	v_and_b32_e32 v18, 0x3030303, v18
	ds_read2_b32 v[4:5], v4 offset1:1
	v_and_b32_e32 v188, 0x3030303, v37
	v_dot4c_i32_i8 v216, v91, v11
	v_dot4c_i32_i8 v214, v96, v11
	;; [unrolled: 1-line block ×18, first 2 shown]
	s_waitcnt lgkmcnt(0)
	v_ashrrev_i32_e32 v38, s1, v4
	v_add_nc_u32_e32 v4, 0x3188, v0
	v_ashrrev_i32_e32 v39, s1, v5
	v_dot4c_i32_i8 v174, v186, v160
	v_dot4c_i32_i8 v51, v96, v160
	v_and_b32_e32 v38, 0x3030303, v38
	ds_read2_b32 v[4:5], v4 offset1:1
	v_and_b32_e32 v189, 0x3030303, v39
	v_dot4c_i32_i8 v52, v123, v160
	v_dot4c_i32_i8 v173, v44, v161
	;; [unrolled: 1-line block ×18, first 2 shown]
	s_waitcnt lgkmcnt(0)
	v_ashrrev_i32_e32 v4, s1, v4
	v_ashrrev_i32_e32 v5, s1, v5
	v_dot4c_i32_i8 v52, v123, v162
	v_dot4c_i32_i8 v40, v69, v49
	;; [unrolled: 1-line block ×3, first 2 shown]
	v_and_b32_e32 v190, 0x3030303, v4
	v_and_b32_e32 v191, 0x3030303, v5
	v_dot4c_i32_i8 v42, v188, v49
	v_dot4c_i32_i8 v12, v96, v49
	;; [unrolled: 1-line block ×9, first 2 shown]
	ds_read_b128 v[8:11], v2 offset:1024
	v_dot4c_i32_i8 v45, v191, v49
	v_dot4c_i32_i8 v50, v91, v163
	v_dot4c_i32_i8 v174, v188, v163
	v_dot4c_i32_i8 v51, v96, v163
	v_dot4c_i32_i8 v175, v191, v163
	v_dot4c_i32_i8 v52, v123, v163
	v_dot4c_i32_i8 v164, v186, v166
	v_dot4c_i32_i8 v165, v38, v166
	v_dot4c_i32_i8 v178, v186, v180
	v_dot4c_i32_i8 v179, v38, v180
	v_dot4c_i32_i8 v172, v123, v180
	v_dot4c_i32_i8 v164, v187, v167
	v_dot4c_i32_i8 v165, v189, v167
	v_dot4c_i32_i8 v178, v187, v181
	v_dot4c_i32_i8 v179, v189, v181
	v_dot4c_i32_i8 v172, v123, v181
	v_dot4c_i32_i8 v164, v18, v168
	v_dot4c_i32_i8 v165, v190, v168
	v_dot4c_i32_i8 v178, v18, v182
	s_waitcnt lgkmcnt(0)
	v_dot4c_i32_i8 v222, v1, v8
	v_dot4c_i32_i8 v219, v73, v8
	;; [unrolled: 1-line block ×32, first 2 shown]
	v_mov_b32_e32 v10, 0
	v_mov_b32_e32 v11, 0
	v_dot4c_i32_i8 v164, v188, v169
	v_dot4c_i32_i8 v165, v191, v169
	;; [unrolled: 1-line block ×5, first 2 shown]
	v_mov_b32_e32 v46, 0
	v_dot4c_i32_i8 v172, v123, v182
	v_dot4c_i32_i8 v178, v188, v183
	v_dot4c_i32_i8 v10, v73, v47
	v_dot4c_i32_i8 v11, v91, v47
	v_mov_b32_e32 v47, 0
	v_dot4c_i32_i8 v46, v91, v166
	v_dot4c_i32_i8 v179, v191, v183
	v_dot4c_i32_i8 v10, v73, v48
	v_dot4c_i32_i8 v11, v91, v48
	;; [unrolled: 5-line block ×3, first 2 shown]
	v_dot4c_i32_i8 v48, v73, v160
	v_mov_b32_e32 v49, 0
	v_dot4c_i32_i8 v47, v96, v167
	v_dot4c_i32_i8 v46, v91, v168
	;; [unrolled: 1-line block ×4, first 2 shown]
	v_mov_b32_e32 v161, 0
	v_dot4c_i32_i8 v49, v123, v166
	v_dot4c_i32_i8 v47, v96, v168
	;; [unrolled: 1-line block ×7, first 2 shown]
	v_mov_b32_e32 v39, 0
	v_dot4c_i32_i8 v48, v73, v163
	v_mov_b32_e32 v163, 0
	v_dot4c_i32_i8 v161, v44, v167
	v_dot4c_i32_i8 v49, v123, v168
	v_mov_b32_e32 v8, 0
	v_mov_b32_e32 v37, 0
	v_dot4c_i32_i8 v163, v124, v166
	v_dot4c_i32_i8 v161, v61, v168
	;; [unrolled: 1-line block ×3, first 2 shown]
	v_mov_b32_e32 v6, 0
	v_mov_b32_e32 v17, 0
	v_dot4c_i32_i8 v163, v184, v167
	v_dot4c_i32_i8 v161, v69, v169
	v_mov_b32_e32 v167, 0
	v_mov_b32_e32 v5, 0
	v_mov_b32_e32 v16, 0
	v_dot4c_i32_i8 v163, v14, v168
	v_mov_b32_e32 v168, 0
	v_dot4c_i32_i8 v167, v73, v180
	v_mov_b32_e32 v4, 0
	v_mov_b32_e32 v166, 0
	v_dot4c_i32_i8 v163, v185, v169
	v_mov_b32_e32 v169, 0
	v_dot4c_i32_i8 v168, v91, v180
	v_dot4c_i32_i8 v167, v73, v181
	v_mov_b32_e32 v160, 0
	v_mov_b32_e32 v162, 0
	v_dot4c_i32_i8 v169, v96, v180
	v_dot4c_i32_i8 v168, v91, v181
	;; [unrolled: 1-line block ×3, first 2 shown]
	v_mov_b32_e32 v9, 0
	v_dot4c_i32_i8 v169, v96, v181
	v_dot4c_i32_i8 v168, v91, v182
	;; [unrolled: 1-line block ×6, first 2 shown]
	ds_read_b128 v[180:183], v2 offset:6144
	s_waitcnt lgkmcnt(0)
	v_dot4c_i32_i8 v39, v1, v180
	v_dot4c_i32_i8 v8, v73, v180
	;; [unrolled: 1-line block ×32, first 2 shown]
	ds_read_b128 v[180:183], v2 offset:7168
	s_waitcnt lgkmcnt(0)
	v_dot4c_i32_i8 v166, v124, v180
	v_dot4c_i32_i8 v170, v1, v180
	v_dot4c_i32_i8 v160, v38, v180
	v_mov_b32_e32 v38, 0
	v_dot4c_i32_i8 v162, v186, v180
	v_dot4c_i32_i8 v166, v184, v181
	v_dot4c_i32_i8 v170, v44, v181
	v_mov_b32_e32 v44, 0
	v_dot4c_i32_i8 v38, v91, v180
	v_dot4c_i32_i8 v9, v123, v180
	v_dot4c_i32_i8 v166, v14, v182
	v_mov_b32_e32 v14, 0
	v_dot4c_i32_i8 v44, v73, v180
	v_dot4c_i32_i8 v162, v187, v181
	;; [unrolled: 1-line block ×10, first 2 shown]
	ds_read2_b32 v[180:181], v0 offset0:4 offset1:5
	v_dot4c_i32_i8 v44, v73, v182
	v_dot4c_i32_i8 v38, v91, v182
	;; [unrolled: 1-line block ×6, first 2 shown]
	v_add_nc_u32_e32 v73, 0x1090, v0
	v_dot4c_i32_i8 v38, v91, v183
	v_dot4c_i32_i8 v14, v96, v183
	v_add_nc_u32_e32 v96, 0x1098, v0
	v_add_nc_u32_e32 v124, 0x2110, v0
	v_dot4c_i32_i8 v9, v123, v183
	v_dot4c_i32_i8 v166, v185, v183
	;; [unrolled: 1-line block ×4, first 2 shown]
	s_waitcnt lgkmcnt(0)
	v_ashrrev_i32_e32 v1, s1, v180
	v_ashrrev_i32_e32 v18, s1, v181
	ds_read2_b32 v[180:181], v0 offset0:6 offset1:7
	v_dot4c_i32_i8 v160, v191, v183
	v_and_b32_e32 v1, 0x3030303, v1
	v_and_b32_e32 v18, 0x3030303, v18
	s_waitcnt lgkmcnt(0)
	v_ashrrev_i32_e32 v61, s1, v180
	v_ashrrev_i32_e32 v69, s1, v181
	ds_read2_b32 v[180:181], v73 offset1:1
	v_and_b32_e32 v61, 0x3030303, v61
	v_and_b32_e32 v69, 0x3030303, v69
	s_waitcnt lgkmcnt(0)
	v_ashrrev_i32_e32 v73, s1, v180
	v_ashrrev_i32_e32 v91, s1, v181
	ds_read2_b32 v[180:181], v96 offset1:1
	;; [unrolled: 6-line block ×3, first 2 shown]
	v_and_b32_e32 v96, 0x3030303, v96
	v_and_b32_e32 v123, 0x3030303, v123
	s_waitcnt lgkmcnt(0)
	v_ashrrev_i32_e32 v124, s1, v180
	v_add_nc_u32_e32 v180, 0x2118, v0
	v_ashrrev_i32_e32 v184, s1, v181
	v_and_b32_e32 v124, 0x3030303, v124
	ds_read2_b32 v[180:181], v180 offset1:1
	v_and_b32_e32 v206, 0x3030303, v184
	v_mov_b32_e32 v184, 0
	s_waitcnt lgkmcnt(0)
	v_ashrrev_i32_e32 v185, s1, v180
	v_add_nc_u32_e32 v180, 0x3190, v0
	v_ashrrev_i32_e32 v186, s1, v181
	v_add_nc_u32_e32 v0, 0x3198, v0
	v_and_b32_e32 v228, 0x3030303, v185
	ds_read2_b32 v[180:181], v180 offset1:1
	v_and_b32_e32 v229, 0x3030303, v186
	v_mov_b32_e32 v185, 0
	v_mov_b32_e32 v186, 0
	s_waitcnt lgkmcnt(0)
	v_ashrrev_i32_e32 v187, s1, v180
	v_ashrrev_i32_e32 v188, s1, v181
	ds_read2_b32 v[180:181], v0 offset1:1
	v_and_b32_e32 v230, 0x3030303, v187
	v_and_b32_e32 v231, 0x3030303, v188
	v_mov_b32_e32 v188, 0
	v_mov_b32_e32 v187, 0
	s_waitcnt lgkmcnt(0)
	v_ashrrev_i32_e32 v0, s1, v180
	v_and_b32_sdwa v180, v157, v205 dst_sel:DWORD dst_unused:UNUSED_PAD src0_sel:DWORD src1_sel:BYTE_1
	v_ashrrev_i32_e32 v189, s1, v181
	s_lshr_b32 s1, s0, 2
	v_and_b32_e32 v0, 0x3030303, v0
	v_lshrrev_b32_e32 v190, 4, v180
	v_and_b32_sdwa v180, v157, v207 dst_sel:DWORD dst_unused:UNUSED_PAD src0_sel:DWORD src1_sel:BYTE_1
	v_and_b32_e32 v232, 0x3030303, v189
	v_mov_b32_e32 v189, 0
	s_and_b32 s1, s1, 0x3ffffffc
	v_mul_lo_u32 v233, 0x1010101, v190
	v_lshrrev_b32_e32 v191, 4, v180
	v_and_b32_sdwa v180, v157, v209 dst_sel:DWORD dst_unused:UNUSED_PAD src0_sel:DWORD src1_sel:BYTE_1
	v_mov_b32_e32 v190, 0
	s_addk_i32 s1, 0x7280
	v_mul_lo_u32 v234, 0x1010101, v191
	v_lshrrev_b32_e32 v192, 4, v180
	v_and_b32_sdwa v180, v157, v200 dst_sel:DWORD dst_unused:UNUSED_PAD src0_sel:DWORD src1_sel:BYTE_1
	v_mov_b32_e32 v191, 0
	v_dot4c_i32_i8 v8, v233, v223
	v_mul_lo_u32 v235, 0x1010101, v192
	v_lshrrev_b32_e32 v193, 4, v180
	ds_read_b128 v[180:183], v2 offset:16
	v_mov_b32_e32 v192, 0
	v_dot4c_i32_i8 v6, v234, v223
	v_dot4c_i32_i8 v8, v233, v224
	v_mul_lo_u32 v236, 0x1010101, v193
	v_mov_b32_e32 v193, 0
	v_dot4c_i32_i8 v5, v235, v223
	v_dot4c_i32_i8 v6, v234, v224
	;; [unrolled: 1-line block ×10, first 2 shown]
	s_waitcnt lgkmcnt(0)
	v_dot4c_i32_i8 v227, v1, v180
	v_dot4c_i32_i8 v237, v73, v180
	;; [unrolled: 1-line block ×32, first 2 shown]
	ds_read_b128 v[180:183], v2 offset:1040
	v_dot4c_i32_i8 v4, v236, v225
	v_dot4c_i32_i8 v5, v235, v226
	v_cvt_f32_i32_e32 v6, v6
	v_dot4c_i32_i8 v4, v236, v226
	v_cvt_f32_i32_e32 v5, v5
	v_cvt_f32_i32_e32 v4, v4
	s_waitcnt lgkmcnt(0)
	v_dot4c_i32_i8 v240, v1, v180
	v_dot4c_i32_i8 v241, v73, v180
	;; [unrolled: 1-line block ×32, first 2 shown]
	ds_read_b128 v[180:183], v2 offset:2064
	s_waitcnt lgkmcnt(0)
	v_dot4c_i32_i8 v188, v1, v180
	v_dot4c_i32_i8 v185, v73, v180
	;; [unrolled: 1-line block ×32, first 2 shown]
	ds_read_b128 v[180:183], v2 offset:3088
	v_cvt_f32_i32_e32 v10, v10
	s_waitcnt lgkmcnt(0)
	v_dot4c_i32_i8 v199, v1, v180
	v_dot4c_i32_i8 v196, v73, v180
	v_dot4c_i32_i8 v197, v124, v180
	v_dot4c_i32_i8 v198, v230, v180
	v_dot4c_i32_i8 v48, v233, v180
	v_dot4c_i32_i8 v50, v234, v180
	v_dot4c_i32_i8 v51, v235, v180
	v_dot4c_i32_i8 v52, v236, v180
	v_dot4c_i32_i8 v199, v18, v181
	v_dot4c_i32_i8 v196, v91, v181
	v_dot4c_i32_i8 v197, v206, v181
	v_dot4c_i32_i8 v198, v231, v181
	v_dot4c_i32_i8 v48, v233, v181
	v_dot4c_i32_i8 v50, v234, v181
	v_dot4c_i32_i8 v51, v235, v181
	v_dot4c_i32_i8 v52, v236, v181
	v_dot4c_i32_i8 v199, v61, v182
	v_dot4c_i32_i8 v196, v96, v182
	v_dot4c_i32_i8 v197, v228, v182
	v_dot4c_i32_i8 v198, v0, v182
	v_dot4c_i32_i8 v48, v233, v182
	v_dot4c_i32_i8 v50, v234, v182
	v_dot4c_i32_i8 v51, v235, v182
	v_dot4c_i32_i8 v52, v236, v182
	v_dot4c_i32_i8 v199, v69, v183
	v_dot4c_i32_i8 v196, v123, v183
	v_dot4c_i32_i8 v197, v229, v183
	v_dot4c_i32_i8 v198, v232, v183
	v_dot4c_i32_i8 v48, v233, v183
	v_dot4c_i32_i8 v50, v234, v183
	v_dot4c_i32_i8 v51, v235, v183
	v_dot4c_i32_i8 v52, v236, v183
	ds_read_b128 v[180:183], v2 offset:4112
	s_waitcnt lgkmcnt(0)
	v_dot4c_i32_i8 v195, v1, v180
	v_dot4c_i32_i8 v191, v73, v180
	;; [unrolled: 1-line block ×32, first 2 shown]
	ds_read_b128 v[180:183], v2 offset:5136
	s_waitcnt lgkmcnt(0)
	v_dot4c_i32_i8 v204, v1, v180
	v_dot4c_i32_i8 v201, v73, v180
	;; [unrolled: 1-line block ×32, first 2 shown]
	v_mov_b32_e32 v183, 0
	v_mov_b32_e32 v182, 0
	v_mov_b32_e32 v181, 0
	v_mov_b32_e32 v180, 0
	v_dot4c_i32_i8 v183, v1, v223
	v_dot4c_i32_i8 v182, v73, v223
	;; [unrolled: 1-line block ×16, first 2 shown]
	ds_read_b128 v[223:226], v2 offset:7184
	v_add_nc_u32_e32 v2, 32, v2
	s_waitcnt lgkmcnt(0)
	v_dot4c_i32_i8 v184, v230, v223
	v_dot4c_i32_i8 v189, v124, v223
	;; [unrolled: 1-line block ×3, first 2 shown]
	v_and_b32_sdwa v1, v205, v158 dst_sel:DWORD dst_unused:UNUSED_PAD src0_sel:BYTE_1 src1_sel:DWORD
	v_dot4c_i32_i8 v190, v73, v223
	v_dot4c_i32_i8 v184, v231, v224
	;; [unrolled: 1-line block ×7, first 2 shown]
	v_and_b32_e32 v0, 15, v205
	v_dot4c_i32_i8 v9, v236, v223
	v_and_b32_e32 v205, 0xffff, v1
	v_dot4c_i32_i8 v194, v18, v224
	v_dot4c_i32_i8 v190, v91, v224
	v_and_b32_e32 v206, 0xffff, v0
	v_dot4c_i32_i8 v44, v233, v224
	v_dot4c_i32_i8 v38, v234, v224
	;; [unrolled: 1-line block ×4, first 2 shown]
	v_mul_lo_u32 v208, v206, v208
	v_and_b32_e32 v0, 15, v207
	v_dot4c_i32_i8 v194, v61, v225
	v_dot4c_i32_i8 v190, v96, v225
	;; [unrolled: 1-line block ×6, first 2 shown]
	v_mad_u64_u32 v[223:224], null, v205, v227, v[208:209]
	v_mul_lo_u32 v208, v222, v206
	v_dot4c_i32_i8 v9, v236, v225
	v_and_b32_sdwa v1, v207, v158 dst_sel:DWORD dst_unused:UNUSED_PAD src0_sel:BYTE_1 src1_sel:DWORD
	v_dot4c_i32_i8 v194, v69, v226
	v_dot4c_i32_i8 v190, v123, v226
	;; [unrolled: 1-line block ×4, first 2 shown]
	v_and_b32_e32 v207, 0xffff, v1
	v_mad_u64_u32 v[224:225], null, v240, v205, v[208:209]
	v_and_b32_e32 v208, 0xffff, v0
	v_dot4c_i32_i8 v44, v233, v226
	v_dot4c_i32_i8 v38, v234, v226
	v_dot4c_i32_i8 v14, v235, v226
	v_dot4c_i32_i8 v9, v236, v226
	v_mul_lo_u32 v210, v208, v210
	v_and_b32_e32 v0, 15, v209
	v_and_b32_sdwa v1, v209, v158 dst_sel:DWORD dst_unused:UNUSED_PAD src0_sel:BYTE_1 src1_sel:DWORD
	v_cvt_f32_i32_e32 v225, v223
	v_cvt_f32_i32_e32 v224, v224
	;; [unrolled: 1-line block ×3, first 2 shown]
	v_and_b32_e32 v209, 0xffff, v1
	v_mad_u64_u32 v[226:227], null, v207, v237, v[210:211]
	v_mul_lo_u32 v210, v221, v208
	v_and_b32_sdwa v1, v200, v158 dst_sel:DWORD dst_unused:UNUSED_PAD src0_sel:BYTE_1 src1_sel:DWORD
	v_cvt_f32_i32_e32 v223, v226
	v_mad_u64_u32 v[221:222], null, v241, v207, v[210:211]
	v_and_b32_e32 v210, 0xffff, v0
	v_and_b32_e32 v0, 15, v200
	;; [unrolled: 1-line block ×3, first 2 shown]
	v_mul_lo_u32 v211, v210, v211
	v_cvt_f32_i32_e32 v222, v221
	v_mad_u64_u32 v[227:228], null, v209, v238, v[211:212]
	v_mul_lo_u32 v211, v220, v210
	v_cvt_f32_i32_e32 v221, v227
	v_mad_u64_u32 v[228:229], null, v242, v209, v[211:212]
	v_and_b32_e32 v211, 0xffff, v0
	v_add3_u32 v0, s1, v149, v150
	v_mul_lo_u32 v212, v211, v212
	ds_read_b32 v226, v0
	v_cvt_f32_i32_e32 v0, v217
	v_cvt_f32_i32_e32 v220, v228
	v_mad_u64_u32 v[229:230], null, v200, v239, v[212:213]
	v_mul_lo_u32 v212, v213, v211
	v_mad_u64_u32 v[212:213], null, v243, v200, v[212:213]
	v_cvt_f32_i32_e32 v213, v229
	s_waitcnt lgkmcnt(0)
	v_cvt_f32_f16_sdwa v227, v226 dst_sel:DWORD dst_unused:UNUSED_PAD src0_sel:WORD_1
	v_mul_f32_e32 v0, v227, v0
	v_cvt_f32_i32_e32 v212, v212
	v_mul_f32_e32 v10, v227, v10
	v_fma_mix_f32 v225, v226, v225, -v0 op_sel_hi:[1,0,0]
	v_cvt_f32_i32_e32 v0, v219
	v_mul_f32_e32 v0, v227, v0
	v_fma_mix_f32 v219, v226, v224, -v0 op_sel_hi:[1,0,0]
	v_add3_u32 v0, s1, v151, v152
	ds_read_b32 v217, v0
	v_cvt_f32_i32_e32 v0, v216
	s_waitcnt lgkmcnt(0)
	v_cvt_f32_f16_sdwa v216, v217 dst_sel:DWORD dst_unused:UNUSED_PAD src0_sel:WORD_1
	v_mul_f32_e32 v0, v216, v0
	v_mul_f32_e32 v6, v216, v6
	v_fma_mix_f32 v223, v217, v223, -v0 op_sel_hi:[1,0,0]
	v_cvt_f32_i32_e32 v0, v218
	v_mul_f32_e32 v0, v216, v0
	v_fma_mix_f32 v222, v217, v222, -v0 op_sel_hi:[1,0,0]
	v_add3_u32 v0, s1, v153, v154
	ds_read_b32 v218, v0
	v_cvt_f32_i32_e32 v0, v214
	s_waitcnt lgkmcnt(0)
	v_cvt_f32_f16_sdwa v214, v218 dst_sel:DWORD dst_unused:UNUSED_PAD src0_sel:WORD_1
	v_mul_f32_e32 v0, v214, v0
	v_mul_f32_e32 v5, v214, v5
	v_fma_mix_f32 v221, v218, v221, -v0 op_sel_hi:[1,0,0]
	v_cvt_f32_i32_e32 v0, v215
	v_mul_f32_e32 v0, v214, v0
	v_fma_mix_f32 v220, v218, v220, -v0 op_sel_hi:[1,0,0]
	v_add3_u32 v0, s1, v155, v156
	s_add_i32 s1, s0, 2
	s_cmp_lt_u32 s0, 22
	s_mov_b32 s0, s1
	ds_read_b32 v215, v0
	v_cvt_f32_i32_e32 v0, v7
	v_cvt_f32_i32_e32 v7, v15
	s_waitcnt lgkmcnt(0)
	v_cvt_f32_f16_sdwa v1, v215 dst_sel:DWORD dst_unused:UNUSED_PAD src0_sel:WORD_1
	v_mul_f32_e32 v0, v1, v0
	v_mul_f32_e32 v7, v1, v7
	;; [unrolled: 1-line block ×3, first 2 shown]
	v_fma_mix_f32 v0, v215, v213, -v0 op_sel_hi:[1,0,0]
	v_fma_mix_f32 v7, v215, v212, -v7 op_sel_hi:[1,0,0]
	ds_read2_b32 v[212:213], v3 offset1:32
	s_waitcnt lgkmcnt(0)
	v_fmac_f32_e32 v100, v213, v7
	v_mul_lo_u32 v7, v40, v206
	v_fmac_f32_e32 v112, v212, v225
	v_fmac_f32_e32 v105, v213, v219
	;; [unrolled: 1-line block ×7, first 2 shown]
	v_mad_u64_u32 v[212:213], null, v188, v205, v[7:8]
	v_mul_lo_u32 v7, v173, v206
	v_cvt_f32_i32_e32 v0, v212
	v_mad_u64_u32 v[219:220], null, v199, v205, v[7:8]
	v_mul_lo_u32 v7, v41, v208
	v_fma_mix_f32 v0, v226, v0, -v10 op_sel_hi:[1,0,0]
	v_cvt_f32_i32_e32 v10, v11
	v_mul_f32_e32 v10, v216, v10
	v_mad_u64_u32 v[40:41], null, v185, v207, v[7:8]
	v_mul_lo_u32 v7, v42, v210
	v_cvt_f32_i32_e32 v15, v40
	v_mad_u64_u32 v[41:42], null, v186, v209, v[7:8]
	v_mul_lo_u32 v7, v45, v211
	v_fma_mix_f32 v15, v217, v15, -v10 op_sel_hi:[1,0,0]
	v_cvt_f32_i32_e32 v10, v12
	v_cvt_f32_i32_e32 v18, v41
	v_mul_f32_e32 v10, v214, v10
	v_mad_u64_u32 v[185:186], null, v187, v200, v[7:8]
	v_mul_lo_u32 v7, v171, v208
	v_fma_mix_f32 v12, v218, v18, -v10 op_sel_hi:[1,0,0]
	v_cvt_f32_i32_e32 v10, v13
	v_cvt_f32_i32_e32 v40, v185
	v_mad_u64_u32 v[186:187], null, v196, v207, v[7:8]
	v_mul_lo_u32 v7, v174, v210
	v_mul_f32_e32 v10, v1, v10
	v_fma_mix_f32 v13, v215, v40, -v10 op_sel_hi:[1,0,0]
	v_cvt_f32_i32_e32 v10, v48
	v_mad_u64_u32 v[173:174], null, v197, v209, v[7:8]
	v_mul_lo_u32 v7, v175, v211
	v_cvt_f32_i32_e32 v41, v186
	v_mul_f32_e32 v10, v227, v10
	v_cvt_f32_i32_e32 v42, v173
	v_mad_u64_u32 v[174:175], null, v198, v200, v[7:8]
	v_cvt_f32_i32_e32 v7, v219
	v_fma_mix_f32 v7, v226, v7, -v10 op_sel_hi:[1,0,0]
	v_cvt_f32_i32_e32 v10, v50
	v_cvt_f32_i32_e32 v45, v174
	v_mul_f32_e32 v10, v216, v10
	v_fma_mix_f32 v18, v217, v41, -v10 op_sel_hi:[1,0,0]
	v_cvt_f32_i32_e32 v10, v51
	v_mul_f32_e32 v10, v214, v10
	v_fma_mix_f32 v40, v218, v42, -v10 op_sel_hi:[1,0,0]
	;; [unrolled: 3-line block ×3, first 2 shown]
	ds_read2_b32 v[10:11], v3 offset0:64 offset1:96
	s_waitcnt lgkmcnt(0)
	v_fmac_f32_e32 v84, v11, v7
	v_mul_lo_u32 v7, v161, v206
	v_fmac_f32_e32 v97, v10, v0
	v_fmac_f32_e32 v93, v10, v15
	;; [unrolled: 1-line block ×7, first 2 shown]
	v_mad_u64_u32 v[10:11], null, v195, v205, v[7:8]
	v_mul_lo_u32 v7, v177, v206
	v_cvt_f32_i32_e32 v0, v10
	v_mad_u64_u32 v[11:12], null, v204, v205, v[7:8]
	v_mul_lo_u32 v7, v163, v208
	v_mad_u64_u32 v[12:13], null, v191, v207, v[7:8]
	v_mul_lo_u32 v7, v164, v210
	v_cvt_f32_i32_e32 v10, v12
	v_mad_u64_u32 v[40:41], null, v192, v209, v[7:8]
	v_mul_lo_u32 v7, v165, v211
	;; [unrolled: 5-line block ×3, first 2 shown]
	v_cvt_f32_i32_e32 v13, v50
	v_mad_u64_u32 v[51:52], null, v202, v209, v[7:8]
	v_mul_lo_u32 v7, v179, v211
	v_cvt_f32_i32_e32 v15, v51
	v_mad_u64_u32 v[163:164], null, v203, v200, v[7:8]
	v_cvt_f32_i32_e32 v7, v11
	v_cvt_f32_i32_e32 v11, v40
	;; [unrolled: 1-line block ×4, first 2 shown]
	v_mul_f32_e32 v40, v227, v40
	v_fma_mix_f32 v0, v226, v0, -v40 op_sel_hi:[1,0,0]
	v_cvt_f32_i32_e32 v40, v46
	v_mul_f32_e32 v40, v216, v40
	v_fma_mix_f32 v40, v217, v10, -v40 op_sel_hi:[1,0,0]
	v_cvt_f32_i32_e32 v10, v47
	;; [unrolled: 3-line block ×7, first 2 shown]
	v_mul_f32_e32 v10, v1, v10
	v_mul_f32_e32 v1, v1, v9
	v_fma_mix_f32 v18, v215, v18, -v10 op_sel_hi:[1,0,0]
	ds_read2_b32 v[10:11], v3 offset0:128 offset1:160
	s_waitcnt lgkmcnt(0)
	v_fmac_f32_e32 v65, v11, v7
	v_mul_lo_u32 v7, v39, v206
	v_fmac_f32_e32 v70, v10, v0
	v_fmac_f32_e32 v68, v10, v40
	;; [unrolled: 1-line block ×7, first 2 shown]
	v_mad_u64_u32 v[10:11], null, v183, v205, v[7:8]
	v_mul_lo_u32 v7, v170, v206
	v_cvt_f32_i32_e32 v0, v10
	v_cvt_f32_i32_e32 v10, v44
	v_mad_u64_u32 v[11:12], null, v194, v205, v[7:8]
	v_mul_lo_u32 v7, v37, v208
	v_mul_f32_e32 v10, v227, v10
	v_mad_u64_u32 v[12:13], null, v182, v207, v[7:8]
	v_mul_lo_u32 v7, v166, v208
	v_mad_u64_u32 v[39:40], null, v190, v207, v[7:8]
	v_mul_lo_u32 v7, v17, v210
	;; [unrolled: 2-line block ×5, first 2 shown]
	v_mad_u64_u32 v[16:17], null, v184, v200, v[7:8]
	v_cvt_f32_i32_e32 v8, v8
	v_cvt_f32_i32_e32 v7, v11
	;; [unrolled: 1-line block ×3, first 2 shown]
	v_mul_f32_e32 v8, v227, v8
	v_fma_mix_f32 v7, v226, v7, -v10 op_sel_hi:[1,0,0]
	v_cvt_f32_i32_e32 v10, v39
	v_mul_f32_e32 v11, v216, v11
	v_fma_mix_f32 v0, v226, v0, -v8 op_sel_hi:[1,0,0]
	v_cvt_f32_i32_e32 v8, v12
	v_cvt_f32_i32_e32 v12, v14
	v_fma_mix_f32 v6, v217, v8, -v6 op_sel_hi:[1,0,0]
	v_fma_mix_f32 v8, v217, v10, -v11 op_sel_hi:[1,0,0]
	v_cvt_f32_i32_e32 v10, v40
	v_cvt_f32_i32_e32 v11, v41
	v_mul_f32_e32 v12, v214, v12
	v_fma_mix_f32 v10, v218, v10, -v5 op_sel_hi:[1,0,0]
	v_cvt_f32_i32_e32 v5, v15
	v_fma_mix_f32 v11, v218, v11, -v12 op_sel_hi:[1,0,0]
	v_cvt_f32_i32_e32 v12, v16
	v_fma_mix_f32 v9, v215, v5, -v4 op_sel_hi:[1,0,0]
	ds_read2_b32 v[4:5], v3 offset0:192 offset1:224
	v_fma_mix_f32 v1, v215, v12, -v1 op_sel_hi:[1,0,0]
	v_add_nc_u32_e32 v3, 4, v3
	s_waitcnt lgkmcnt(0)
	v_fmac_f32_e32 v60, v4, v0
	v_fmac_f32_e32 v59, v4, v6
	;; [unrolled: 1-line block ×8, first 2 shown]
	s_cbranch_scc1 .LBB128_12
; %bb.13:                               ;   in Loop: Header=BB128_6 Depth=1
	buffer_load_dword v0, off, s[16:19], 0 offset:32 ; 4-byte Folded Reload
	s_waitcnt vmcnt(0)
	s_barrier
	buffer_gl0_inv
	s_mov_b32 s0, 24
	v_add_nc_u32_e32 v0, s11, v0
	v_add_nc_u32_e32 v1, v0, v114
	;; [unrolled: 1-line block ×6, first 2 shown]
	v_mad_i64_i32 v[2:3], null, v1, 36, v[35:36]
	v_add_nc_u32_e32 v1, v0, v117
	v_mad_i64_i32 v[4:5], null, v4, 36, v[35:36]
	v_add_nc_u32_e32 v16, v0, v120
	v_mad_i64_i32 v[6:7], null, v6, 36, v[35:36]
	v_mad_i64_i32 v[8:9], null, v1, 36, v[35:36]
	v_add_nc_u32_e32 v1, 12, v159
	v_add_nc_u32_e32 v0, v0, v121
	v_mad_i64_i32 v[10:11], null, v10, 36, v[35:36]
	v_mad_i64_i32 v[14:15], null, v14, 36, v[35:36]
	v_mad_u64_u32 v[12:13], null, v1, 36, s[2:3]
	v_mad_i64_i32 v[16:17], null, v16, 36, v[35:36]
	v_mad_i64_i32 v[37:38], null, v0, 36, v[35:36]
	s_clause 0x8
	global_load_dword v0, v[12:13], off
	global_load_dword v1, v[2:3], off offset:4
	global_load_dword v4, v[4:5], off offset:4
	;; [unrolled: 1-line block ×8, first 2 shown]
	v_mov_b32_e32 v2, v131
	v_mov_b32_e32 v3, v126
	s_waitcnt vmcnt(8)
	v_cvt_f32_f16_e32 v0, v0
	s_waitcnt vmcnt(7)
	ds_write_b32 v141, v1
	s_waitcnt vmcnt(6)
	ds_write_b32 v142, v4
	;; [unrolled: 2-line block ×8, first 2 shown]
	ds_write_b32 v113, v0
	s_waitcnt lgkmcnt(0)
	s_barrier
	buffer_gl0_inv
.LBB128_14:                             ;   Parent Loop BB128_6 Depth=1
                                        ; =>  This Inner Loop Header: Depth=2
	s_and_b32 s11, s0, 0x3ffffff8
	s_sub_i32 s1, s0, 24
	v_lshl_add_u32 v0, s11, 2, v125
	s_and_b32 s11, s0, -16
	v_mov_b32_e32 v207, 0
	s_add_i32 s11, s0, s11
	v_mov_b32_e32 v209, 0
	ds_read2_b32 v[4:5], v0 offset1:1
	v_add_nc_u32_e32 v9, s11, v127
	v_mov_b32_e32 v210, 0
	v_mov_b32_e32 v211, 0
	;; [unrolled: 1-line block ×18, first 2 shown]
	s_waitcnt lgkmcnt(0)
	v_ashrrev_i32_e32 v1, s1, v4
	v_ashrrev_i32_e32 v6, s1, v5
	ds_read2_b32 v[4:5], v0 offset0:2 offset1:3
	v_mov_b32_e32 v50, 0
	v_mov_b32_e32 v173, 0
	v_and_b32_e32 v1, 0x3030303, v1
	v_and_b32_e32 v44, 0x3030303, v6
	v_mov_b32_e32 v51, 0
	v_mov_b32_e32 v174, 0
	;; [unrolled: 1-line block ×3, first 2 shown]
	ds_read_b128 v[165:168], v2 offset:4096
	ds_read_b128 v[179:182], v2 offset:5120
	v_mov_b32_e32 v43, 0
	v_mov_b32_e32 v163, 0
	v_mov_b32_e32 v164, 0
	v_mov_b32_e32 v176, 0
	v_mov_b32_e32 v175, 0
	v_mov_b32_e32 v177, 0
	v_mov_b32_e32 v178, 0
	v_mov_b32_e32 v171, 0
	v_mov_b32_e32 v169, 0
	v_mov_b32_e32 v226, 0
	s_waitcnt lgkmcnt(2)
	v_ashrrev_i32_e32 v7, s1, v4
	v_add_nc_u32_e32 v4, 0x1080, v0
	v_ashrrev_i32_e32 v8, s1, v5
	ds_read_u16 v204, v9 offset:25072
	v_add_nc_u32_e32 v9, s11, v128
	v_and_b32_e32 v61, 0x3030303, v7
	ds_read2_b32 v[4:5], v4 offset1:1
	v_and_b32_e32 v69, 0x3030303, v8
	v_mov_b32_e32 v7, 0
	s_waitcnt lgkmcnt(2)
	v_dot4c_i32_i8 v176, v1, v179
	v_mov_b32_e32 v236, 0
	v_mov_b32_e32 v237, 0
	;; [unrolled: 1-line block ×4, first 2 shown]
	v_dot4c_i32_i8 v176, v44, v180
	v_mov_b32_e32 v240, 0
	v_mov_b32_e32 v241, 0
	;; [unrolled: 1-line block ×4, first 2 shown]
	v_dot4c_i32_i8 v176, v61, v181
	v_mov_b32_e32 v195, 0
	v_mov_b32_e32 v196, 0
	;; [unrolled: 1-line block ×3, first 2 shown]
	s_waitcnt lgkmcnt(1)
	v_bfe_u32 v6, v204, 4, 4
	v_dot4c_i32_i8 v176, v69, v182
	v_mov_b32_e32 v194, 0
	s_waitcnt lgkmcnt(0)
	v_ashrrev_i32_e32 v12, s1, v4
	v_add_nc_u32_e32 v4, 0x1088, v0
	v_ashrrev_i32_e32 v13, s1, v5
	ds_read_u16 v206, v9 offset:26096
	v_add_nc_u32_e32 v9, s11, v129
	v_mul_lo_u32 v73, 0x1010101, v6
	ds_read2_b32 v[4:5], v4 offset1:1
	v_and_b32_e32 v124, 0x3030303, v12
	v_and_b32_e32 v183, 0x3030303, v13
	v_mov_b32_e32 v12, 0
	v_mov_b32_e32 v13, 0
	;; [unrolled: 1-line block ×3, first 2 shown]
	v_dot4c_i32_i8 v175, v124, v179
	v_dot4c_i32_i8 v43, v73, v165
	v_mov_b32_e32 v200, 0
	v_mov_b32_e32 v201, 0
	;; [unrolled: 1-line block ×3, first 2 shown]
	v_dot4c_i32_i8 v175, v183, v180
	v_dot4c_i32_i8 v43, v73, v166
	v_mov_b32_e32 v193, 0
	ds_read_u16 v208, v9 offset:27120
	v_add_nc_u32_e32 v9, s11, v130
	ds_read_b128 v[46:49], v2 offset:2048
	s_waitcnt lgkmcnt(3)
	v_bfe_u32 v6, v206, 4, 4
	v_dot4c_i32_i8 v43, v73, v167
	ds_read_b128 v[159:162], v2 offset:3072
	s_waitcnt lgkmcnt(3)
	v_ashrrev_i32_e32 v14, s1, v4
	v_add_nc_u32_e32 v4, 0x2100, v0
	v_ashrrev_i32_e32 v15, s1, v5
	ds_read_u16 v199, v9 offset:28144
	ds_read_b128 v[8:11], v2
	v_mul_lo_u32 v91, 0x1010101, v6
	ds_read2_b32 v[4:5], v4 offset1:1
	v_and_b32_e32 v14, 0x3030303, v14
	v_and_b32_e32 v184, 0x3030303, v15
	v_mov_b32_e32 v15, 0
	v_dot4c_i32_i8 v43, v73, v168
	ds_read_b128 v[222:225], v2 offset:6160
	v_dot4c_i32_i8 v175, v14, v181
	s_waitcnt lgkmcnt(6)
	v_bfe_u32 v6, v208, 4, 4
	s_waitcnt lgkmcnt(5)
	v_dot4c_i32_i8 v40, v1, v46
	v_dot4c_i32_i8 v41, v124, v46
	;; [unrolled: 1-line block ×3, first 2 shown]
	v_mul_lo_u32 v96, 0x1010101, v6
	s_waitcnt lgkmcnt(4)
	v_dot4c_i32_i8 v172, v1, v159
	v_dot4c_i32_i8 v40, v44, v47
	;; [unrolled: 1-line block ×3, first 2 shown]
	s_waitcnt lgkmcnt(3)
	v_bfe_u32 v6, v199, 4, 4
	s_waitcnt lgkmcnt(2)
	v_dot4c_i32_i8 v207, v1, v8
	v_dot4c_i32_i8 v209, v124, v8
	s_waitcnt lgkmcnt(1)
	v_ashrrev_i32_e32 v16, s1, v4
	v_add_nc_u32_e32 v4, 0x2108, v0
	v_ashrrev_i32_e32 v17, s1, v5
	v_mul_lo_u32 v123, 0x1010101, v6
	v_dot4c_i32_i8 v216, v73, v8
	v_and_b32_e32 v185, 0x3030303, v16
	ds_read2_b32 v[4:5], v4 offset1:1
	v_and_b32_e32 v186, 0x3030303, v17
	v_dot4c_i32_i8 v215, v91, v8
	v_dot4c_i32_i8 v213, v96, v8
	;; [unrolled: 1-line block ×18, first 2 shown]
	s_waitcnt lgkmcnt(0)
	v_ashrrev_i32_e32 v18, s1, v4
	v_add_nc_u32_e32 v4, 0x3180, v0
	v_ashrrev_i32_e32 v37, s1, v5
	v_dot4c_i32_i8 v209, v184, v11
	v_dot4c_i32_i8 v216, v73, v11
	v_and_b32_e32 v18, 0x3030303, v18
	ds_read2_b32 v[4:5], v4 offset1:1
	v_and_b32_e32 v187, 0x3030303, v37
	v_dot4c_i32_i8 v215, v91, v11
	v_dot4c_i32_i8 v213, v96, v11
	;; [unrolled: 1-line block ×18, first 2 shown]
	s_waitcnt lgkmcnt(0)
	v_ashrrev_i32_e32 v38, s1, v4
	v_add_nc_u32_e32 v4, 0x3188, v0
	v_ashrrev_i32_e32 v39, s1, v5
	v_dot4c_i32_i8 v173, v185, v159
	v_dot4c_i32_i8 v51, v96, v159
	v_and_b32_e32 v38, 0x3030303, v38
	ds_read2_b32 v[4:5], v4 offset1:1
	v_and_b32_e32 v188, 0x3030303, v39
	v_dot4c_i32_i8 v52, v123, v159
	v_dot4c_i32_i8 v172, v44, v160
	;; [unrolled: 1-line block ×18, first 2 shown]
	s_waitcnt lgkmcnt(0)
	v_ashrrev_i32_e32 v4, s1, v4
	v_ashrrev_i32_e32 v5, s1, v5
	v_dot4c_i32_i8 v52, v123, v161
	v_dot4c_i32_i8 v40, v69, v49
	;; [unrolled: 1-line block ×3, first 2 shown]
	v_and_b32_e32 v189, 0x3030303, v4
	v_and_b32_e32 v190, 0x3030303, v5
	v_dot4c_i32_i8 v42, v187, v49
	v_dot4c_i32_i8 v12, v96, v49
	;; [unrolled: 1-line block ×9, first 2 shown]
	ds_read_b128 v[8:11], v2 offset:1024
	v_dot4c_i32_i8 v45, v190, v49
	v_dot4c_i32_i8 v50, v91, v162
	;; [unrolled: 1-line block ×19, first 2 shown]
	s_waitcnt lgkmcnt(0)
	v_dot4c_i32_i8 v221, v1, v8
	v_dot4c_i32_i8 v218, v73, v8
	;; [unrolled: 1-line block ×32, first 2 shown]
	v_mov_b32_e32 v10, 0
	v_mov_b32_e32 v11, 0
	v_dot4c_i32_i8 v163, v187, v168
	v_dot4c_i32_i8 v164, v190, v168
	;; [unrolled: 1-line block ×5, first 2 shown]
	v_mov_b32_e32 v46, 0
	v_dot4c_i32_i8 v171, v123, v181
	v_dot4c_i32_i8 v177, v187, v182
	v_dot4c_i32_i8 v10, v73, v47
	v_dot4c_i32_i8 v11, v91, v47
	v_mov_b32_e32 v47, 0
	v_dot4c_i32_i8 v46, v91, v165
	v_dot4c_i32_i8 v178, v190, v182
	v_dot4c_i32_i8 v10, v73, v48
	v_dot4c_i32_i8 v11, v91, v48
	;; [unrolled: 5-line block ×3, first 2 shown]
	v_dot4c_i32_i8 v48, v73, v159
	v_mov_b32_e32 v49, 0
	v_dot4c_i32_i8 v47, v96, v166
	v_dot4c_i32_i8 v46, v91, v167
	;; [unrolled: 1-line block ×4, first 2 shown]
	v_mov_b32_e32 v160, 0
	v_dot4c_i32_i8 v49, v123, v165
	v_dot4c_i32_i8 v47, v96, v167
	;; [unrolled: 1-line block ×7, first 2 shown]
	v_mov_b32_e32 v39, 0
	v_dot4c_i32_i8 v48, v73, v162
	v_mov_b32_e32 v162, 0
	v_dot4c_i32_i8 v160, v44, v166
	v_dot4c_i32_i8 v49, v123, v167
	v_mov_b32_e32 v8, 0
	v_mov_b32_e32 v37, 0
	v_dot4c_i32_i8 v162, v124, v165
	v_dot4c_i32_i8 v160, v61, v167
	;; [unrolled: 1-line block ×3, first 2 shown]
	v_mov_b32_e32 v6, 0
	v_mov_b32_e32 v17, 0
	v_dot4c_i32_i8 v162, v183, v166
	v_dot4c_i32_i8 v160, v69, v168
	v_mov_b32_e32 v166, 0
	v_mov_b32_e32 v5, 0
	;; [unrolled: 1-line block ×3, first 2 shown]
	v_dot4c_i32_i8 v162, v14, v167
	v_mov_b32_e32 v167, 0
	v_dot4c_i32_i8 v166, v73, v179
	v_mov_b32_e32 v4, 0
	v_mov_b32_e32 v165, 0
	v_dot4c_i32_i8 v162, v184, v168
	v_mov_b32_e32 v168, 0
	v_dot4c_i32_i8 v167, v91, v179
	v_dot4c_i32_i8 v166, v73, v180
	v_mov_b32_e32 v159, 0
	v_mov_b32_e32 v161, 0
	v_dot4c_i32_i8 v168, v96, v179
	v_dot4c_i32_i8 v167, v91, v180
	;; [unrolled: 1-line block ×3, first 2 shown]
	v_mov_b32_e32 v9, 0
	v_dot4c_i32_i8 v168, v96, v180
	v_dot4c_i32_i8 v167, v91, v181
	v_dot4c_i32_i8 v166, v73, v182
	v_dot4c_i32_i8 v168, v96, v181
	v_dot4c_i32_i8 v167, v91, v182
	v_dot4c_i32_i8 v168, v96, v182
	ds_read_b128 v[179:182], v2 offset:6144
	s_waitcnt lgkmcnt(0)
	v_dot4c_i32_i8 v39, v1, v179
	v_dot4c_i32_i8 v8, v73, v179
	;; [unrolled: 1-line block ×32, first 2 shown]
	ds_read_b128 v[179:182], v2 offset:7168
	s_waitcnt lgkmcnt(0)
	v_dot4c_i32_i8 v165, v124, v179
	v_dot4c_i32_i8 v169, v1, v179
	v_dot4c_i32_i8 v159, v38, v179
	v_mov_b32_e32 v38, 0
	v_dot4c_i32_i8 v161, v185, v179
	v_dot4c_i32_i8 v165, v183, v180
	v_dot4c_i32_i8 v169, v44, v180
	v_mov_b32_e32 v44, 0
	;; [unrolled: 4-line block ×3, first 2 shown]
	v_dot4c_i32_i8 v44, v73, v179
	v_dot4c_i32_i8 v161, v186, v180
	v_dot4c_i32_i8 v159, v188, v180
	v_dot4c_i32_i8 v38, v91, v180
	v_dot4c_i32_i8 v14, v96, v179
	v_dot4c_i32_i8 v44, v73, v180
	v_dot4c_i32_i8 v9, v123, v180
	v_dot4c_i32_i8 v161, v18, v181
	v_dot4c_i32_i8 v169, v61, v181
	v_dot4c_i32_i8 v14, v96, v180
	ds_read2_b32 v[179:180], v0 offset0:4 offset1:5
	v_dot4c_i32_i8 v44, v73, v181
	v_dot4c_i32_i8 v38, v91, v181
	v_dot4c_i32_i8 v169, v69, v182
	v_dot4c_i32_i8 v14, v96, v181
	v_dot4c_i32_i8 v9, v123, v181
	v_dot4c_i32_i8 v44, v73, v182
	v_add_nc_u32_e32 v73, 0x1090, v0
	v_dot4c_i32_i8 v38, v91, v182
	v_dot4c_i32_i8 v14, v96, v182
	v_add_nc_u32_e32 v96, 0x1098, v0
	v_add_nc_u32_e32 v124, 0x2110, v0
	v_dot4c_i32_i8 v9, v123, v182
	v_dot4c_i32_i8 v165, v184, v182
	v_dot4c_i32_i8 v161, v187, v182
	v_dot4c_i32_i8 v159, v189, v181
	s_waitcnt lgkmcnt(0)
	v_ashrrev_i32_e32 v1, s1, v179
	v_ashrrev_i32_e32 v18, s1, v180
	ds_read2_b32 v[179:180], v0 offset0:6 offset1:7
	v_dot4c_i32_i8 v159, v190, v182
	v_and_b32_e32 v1, 0x3030303, v1
	v_and_b32_e32 v18, 0x3030303, v18
	s_waitcnt lgkmcnt(0)
	v_ashrrev_i32_e32 v61, s1, v179
	v_ashrrev_i32_e32 v69, s1, v180
	ds_read2_b32 v[179:180], v73 offset1:1
	v_and_b32_e32 v61, 0x3030303, v61
	v_and_b32_e32 v69, 0x3030303, v69
	s_waitcnt lgkmcnt(0)
	v_ashrrev_i32_e32 v73, s1, v179
	v_ashrrev_i32_e32 v91, s1, v180
	ds_read2_b32 v[179:180], v96 offset1:1
	;; [unrolled: 6-line block ×3, first 2 shown]
	v_and_b32_e32 v96, 0x3030303, v96
	v_and_b32_e32 v123, 0x3030303, v123
	s_waitcnt lgkmcnt(0)
	v_ashrrev_i32_e32 v124, s1, v179
	v_add_nc_u32_e32 v179, 0x2118, v0
	v_ashrrev_i32_e32 v183, s1, v180
	v_and_b32_e32 v124, 0x3030303, v124
	ds_read2_b32 v[179:180], v179 offset1:1
	v_and_b32_e32 v205, 0x3030303, v183
	v_mov_b32_e32 v183, 0
	s_waitcnt lgkmcnt(0)
	v_ashrrev_i32_e32 v184, s1, v179
	v_add_nc_u32_e32 v179, 0x3190, v0
	v_ashrrev_i32_e32 v185, s1, v180
	v_add_nc_u32_e32 v0, 0x3198, v0
	v_and_b32_e32 v227, 0x3030303, v184
	ds_read2_b32 v[179:180], v179 offset1:1
	v_and_b32_e32 v228, 0x3030303, v185
	v_mov_b32_e32 v184, 0
	v_mov_b32_e32 v185, 0
	s_waitcnt lgkmcnt(0)
	v_ashrrev_i32_e32 v186, s1, v179
	v_ashrrev_i32_e32 v187, s1, v180
	ds_read2_b32 v[179:180], v0 offset1:1
	v_and_b32_e32 v229, 0x3030303, v186
	v_and_b32_e32 v230, 0x3030303, v187
	v_mov_b32_e32 v187, 0
	v_mov_b32_e32 v186, 0
	s_waitcnt lgkmcnt(0)
	v_ashrrev_i32_e32 v0, s1, v179
	v_and_b32_sdwa v179, v157, v204 dst_sel:DWORD dst_unused:UNUSED_PAD src0_sel:DWORD src1_sel:BYTE_1
	v_ashrrev_i32_e32 v188, s1, v180
	s_lshr_b32 s1, s0, 2
	v_and_b32_e32 v0, 0x3030303, v0
	v_lshrrev_b32_e32 v189, 4, v179
	v_and_b32_sdwa v179, v157, v206 dst_sel:DWORD dst_unused:UNUSED_PAD src0_sel:DWORD src1_sel:BYTE_1
	v_and_b32_e32 v231, 0x3030303, v188
	v_mov_b32_e32 v188, 0
	s_and_b32 s1, s1, 0x3ffffffc
	v_mul_lo_u32 v232, 0x1010101, v189
	v_lshrrev_b32_e32 v190, 4, v179
	v_and_b32_sdwa v179, v157, v208 dst_sel:DWORD dst_unused:UNUSED_PAD src0_sel:DWORD src1_sel:BYTE_1
	v_mov_b32_e32 v189, 0
	s_addk_i32 s1, 0x7280
	v_mul_lo_u32 v233, 0x1010101, v190
	v_lshrrev_b32_e32 v191, 4, v179
	v_and_b32_sdwa v179, v157, v199 dst_sel:DWORD dst_unused:UNUSED_PAD src0_sel:DWORD src1_sel:BYTE_1
	v_mov_b32_e32 v190, 0
	v_dot4c_i32_i8 v8, v232, v222
	v_mul_lo_u32 v234, 0x1010101, v191
	v_lshrrev_b32_e32 v192, 4, v179
	ds_read_b128 v[179:182], v2 offset:16
	v_mov_b32_e32 v191, 0
	v_dot4c_i32_i8 v6, v233, v222
	v_dot4c_i32_i8 v8, v232, v223
	v_mul_lo_u32 v235, 0x1010101, v192
	v_mov_b32_e32 v192, 0
	v_dot4c_i32_i8 v5, v234, v222
	v_dot4c_i32_i8 v6, v233, v223
	;; [unrolled: 1-line block ×10, first 2 shown]
	s_waitcnt lgkmcnt(0)
	v_dot4c_i32_i8 v226, v1, v179
	v_dot4c_i32_i8 v236, v73, v179
	;; [unrolled: 1-line block ×32, first 2 shown]
	ds_read_b128 v[179:182], v2 offset:1040
	v_dot4c_i32_i8 v4, v235, v224
	v_dot4c_i32_i8 v5, v234, v225
	v_cvt_f32_i32_e32 v6, v6
	v_dot4c_i32_i8 v4, v235, v225
	v_cvt_f32_i32_e32 v5, v5
	v_cvt_f32_i32_e32 v4, v4
	s_waitcnt lgkmcnt(0)
	v_dot4c_i32_i8 v239, v1, v179
	v_dot4c_i32_i8 v240, v73, v179
	;; [unrolled: 1-line block ×32, first 2 shown]
	ds_read_b128 v[179:182], v2 offset:2064
	s_waitcnt lgkmcnt(0)
	v_dot4c_i32_i8 v187, v1, v179
	v_dot4c_i32_i8 v184, v73, v179
	;; [unrolled: 1-line block ×32, first 2 shown]
	ds_read_b128 v[179:182], v2 offset:3088
	v_cvt_f32_i32_e32 v10, v10
	s_waitcnt lgkmcnt(0)
	v_dot4c_i32_i8 v198, v1, v179
	v_dot4c_i32_i8 v195, v73, v179
	;; [unrolled: 1-line block ×32, first 2 shown]
	ds_read_b128 v[179:182], v2 offset:4112
	s_waitcnt lgkmcnt(0)
	v_dot4c_i32_i8 v194, v1, v179
	v_dot4c_i32_i8 v190, v73, v179
	;; [unrolled: 1-line block ×32, first 2 shown]
	ds_read_b128 v[179:182], v2 offset:5136
	s_waitcnt lgkmcnt(0)
	v_dot4c_i32_i8 v203, v1, v179
	v_dot4c_i32_i8 v200, v73, v179
	;; [unrolled: 1-line block ×32, first 2 shown]
	v_mov_b32_e32 v182, 0
	v_mov_b32_e32 v181, 0
	;; [unrolled: 1-line block ×4, first 2 shown]
	v_dot4c_i32_i8 v182, v1, v222
	v_dot4c_i32_i8 v181, v73, v222
	;; [unrolled: 1-line block ×16, first 2 shown]
	ds_read_b128 v[222:225], v2 offset:7184
	v_add_nc_u32_e32 v2, 32, v2
	s_waitcnt lgkmcnt(0)
	v_dot4c_i32_i8 v183, v229, v222
	v_dot4c_i32_i8 v188, v124, v222
	;; [unrolled: 1-line block ×3, first 2 shown]
	v_and_b32_sdwa v1, v204, v158 dst_sel:DWORD dst_unused:UNUSED_PAD src0_sel:BYTE_1 src1_sel:DWORD
	v_dot4c_i32_i8 v189, v73, v222
	v_dot4c_i32_i8 v183, v230, v223
	;; [unrolled: 1-line block ×7, first 2 shown]
	v_and_b32_e32 v0, 15, v204
	v_dot4c_i32_i8 v9, v235, v222
	v_and_b32_e32 v204, 0xffff, v1
	v_dot4c_i32_i8 v193, v18, v223
	v_dot4c_i32_i8 v189, v91, v223
	v_and_b32_e32 v205, 0xffff, v0
	v_dot4c_i32_i8 v44, v232, v223
	v_dot4c_i32_i8 v38, v233, v223
	;; [unrolled: 1-line block ×4, first 2 shown]
	v_mul_lo_u32 v207, v205, v207
	v_and_b32_e32 v0, 15, v206
	v_dot4c_i32_i8 v193, v61, v224
	v_dot4c_i32_i8 v189, v96, v224
	;; [unrolled: 1-line block ×6, first 2 shown]
	v_mad_u64_u32 v[222:223], null, v204, v226, v[207:208]
	v_mul_lo_u32 v207, v221, v205
	v_dot4c_i32_i8 v9, v235, v224
	v_and_b32_sdwa v1, v206, v158 dst_sel:DWORD dst_unused:UNUSED_PAD src0_sel:BYTE_1 src1_sel:DWORD
	v_dot4c_i32_i8 v193, v69, v225
	v_dot4c_i32_i8 v189, v123, v225
	;; [unrolled: 1-line block ×4, first 2 shown]
	v_and_b32_e32 v206, 0xffff, v1
	v_mad_u64_u32 v[223:224], null, v239, v204, v[207:208]
	v_and_b32_e32 v207, 0xffff, v0
	v_dot4c_i32_i8 v44, v232, v225
	v_dot4c_i32_i8 v38, v233, v225
	v_dot4c_i32_i8 v14, v234, v225
	v_dot4c_i32_i8 v9, v235, v225
	v_mul_lo_u32 v209, v207, v209
	v_and_b32_e32 v0, 15, v208
	v_and_b32_sdwa v1, v208, v158 dst_sel:DWORD dst_unused:UNUSED_PAD src0_sel:BYTE_1 src1_sel:DWORD
	v_cvt_f32_i32_e32 v224, v222
	v_cvt_f32_i32_e32 v223, v223
	;; [unrolled: 1-line block ×3, first 2 shown]
	v_and_b32_e32 v208, 0xffff, v1
	v_mad_u64_u32 v[225:226], null, v206, v236, v[209:210]
	v_mul_lo_u32 v209, v220, v207
	v_and_b32_sdwa v1, v199, v158 dst_sel:DWORD dst_unused:UNUSED_PAD src0_sel:BYTE_1 src1_sel:DWORD
	v_cvt_f32_i32_e32 v222, v225
	v_mad_u64_u32 v[220:221], null, v240, v206, v[209:210]
	v_and_b32_e32 v209, 0xffff, v0
	v_and_b32_e32 v0, 15, v199
	;; [unrolled: 1-line block ×3, first 2 shown]
	v_mul_lo_u32 v210, v209, v210
	v_cvt_f32_i32_e32 v221, v220
	v_mad_u64_u32 v[226:227], null, v208, v237, v[210:211]
	v_mul_lo_u32 v210, v219, v209
	v_cvt_f32_i32_e32 v220, v226
	v_mad_u64_u32 v[227:228], null, v241, v208, v[210:211]
	v_and_b32_e32 v210, 0xffff, v0
	v_add3_u32 v0, s1, v149, v150
	v_mul_lo_u32 v211, v210, v211
	ds_read_b32 v225, v0
	v_cvt_f32_i32_e32 v0, v216
	v_cvt_f32_i32_e32 v219, v227
	v_mad_u64_u32 v[228:229], null, v199, v238, v[211:212]
	v_mul_lo_u32 v211, v212, v210
	v_mad_u64_u32 v[211:212], null, v242, v199, v[211:212]
	v_cvt_f32_i32_e32 v212, v228
	s_waitcnt lgkmcnt(0)
	v_cvt_f32_f16_sdwa v226, v225 dst_sel:DWORD dst_unused:UNUSED_PAD src0_sel:WORD_1
	v_mul_f32_e32 v0, v226, v0
	v_cvt_f32_i32_e32 v211, v211
	v_mul_f32_e32 v10, v226, v10
	v_fma_mix_f32 v224, v225, v224, -v0 op_sel_hi:[1,0,0]
	v_cvt_f32_i32_e32 v0, v218
	v_mul_f32_e32 v0, v226, v0
	v_fma_mix_f32 v218, v225, v223, -v0 op_sel_hi:[1,0,0]
	v_add3_u32 v0, s1, v151, v152
	ds_read_b32 v216, v0
	v_cvt_f32_i32_e32 v0, v215
	s_waitcnt lgkmcnt(0)
	v_cvt_f32_f16_sdwa v215, v216 dst_sel:DWORD dst_unused:UNUSED_PAD src0_sel:WORD_1
	v_mul_f32_e32 v0, v215, v0
	v_mul_f32_e32 v6, v215, v6
	v_fma_mix_f32 v222, v216, v222, -v0 op_sel_hi:[1,0,0]
	v_cvt_f32_i32_e32 v0, v217
	v_mul_f32_e32 v0, v215, v0
	v_fma_mix_f32 v221, v216, v221, -v0 op_sel_hi:[1,0,0]
	v_add3_u32 v0, s1, v153, v154
	ds_read_b32 v217, v0
	v_cvt_f32_i32_e32 v0, v213
	s_waitcnt lgkmcnt(0)
	v_cvt_f32_f16_sdwa v213, v217 dst_sel:DWORD dst_unused:UNUSED_PAD src0_sel:WORD_1
	v_mul_f32_e32 v0, v213, v0
	v_mul_f32_e32 v5, v213, v5
	v_fma_mix_f32 v220, v217, v220, -v0 op_sel_hi:[1,0,0]
	v_cvt_f32_i32_e32 v0, v214
	v_mul_f32_e32 v0, v213, v0
	v_fma_mix_f32 v219, v217, v219, -v0 op_sel_hi:[1,0,0]
	v_add3_u32 v0, s1, v155, v156
	s_add_i32 s1, s0, 2
	s_cmp_lt_u32 s0, 30
	s_mov_b32 s0, s1
	ds_read_b32 v214, v0
	v_cvt_f32_i32_e32 v0, v7
	v_cvt_f32_i32_e32 v7, v15
	s_waitcnt lgkmcnt(0)
	v_cvt_f32_f16_sdwa v1, v214 dst_sel:DWORD dst_unused:UNUSED_PAD src0_sel:WORD_1
	v_mul_f32_e32 v0, v1, v0
	v_mul_f32_e32 v7, v1, v7
	;; [unrolled: 1-line block ×3, first 2 shown]
	v_fma_mix_f32 v0, v214, v212, -v0 op_sel_hi:[1,0,0]
	v_fma_mix_f32 v7, v214, v211, -v7 op_sel_hi:[1,0,0]
	ds_read2_b32 v[211:212], v3 offset1:32
	s_waitcnt lgkmcnt(0)
	v_fmac_f32_e32 v100, v212, v7
	v_mul_lo_u32 v7, v40, v205
	v_fmac_f32_e32 v112, v211, v224
	v_fmac_f32_e32 v105, v212, v218
	;; [unrolled: 1-line block ×7, first 2 shown]
	v_mad_u64_u32 v[211:212], null, v187, v204, v[7:8]
	v_mul_lo_u32 v7, v172, v205
	v_cvt_f32_i32_e32 v0, v211
	v_mad_u64_u32 v[218:219], null, v198, v204, v[7:8]
	v_mul_lo_u32 v7, v41, v207
	v_fma_mix_f32 v0, v225, v0, -v10 op_sel_hi:[1,0,0]
	v_cvt_f32_i32_e32 v10, v11
	v_mul_f32_e32 v10, v215, v10
	v_mad_u64_u32 v[40:41], null, v184, v206, v[7:8]
	v_mul_lo_u32 v7, v42, v209
	v_cvt_f32_i32_e32 v15, v40
	v_mad_u64_u32 v[41:42], null, v185, v208, v[7:8]
	v_mul_lo_u32 v7, v45, v210
	v_fma_mix_f32 v15, v216, v15, -v10 op_sel_hi:[1,0,0]
	v_cvt_f32_i32_e32 v10, v12
	v_cvt_f32_i32_e32 v18, v41
	v_mul_f32_e32 v10, v213, v10
	v_mad_u64_u32 v[184:185], null, v186, v199, v[7:8]
	v_mul_lo_u32 v7, v170, v207
	v_fma_mix_f32 v12, v217, v18, -v10 op_sel_hi:[1,0,0]
	v_cvt_f32_i32_e32 v10, v13
	v_cvt_f32_i32_e32 v40, v184
	v_mad_u64_u32 v[185:186], null, v195, v206, v[7:8]
	v_mul_lo_u32 v7, v173, v209
	v_mul_f32_e32 v10, v1, v10
	v_fma_mix_f32 v13, v214, v40, -v10 op_sel_hi:[1,0,0]
	v_cvt_f32_i32_e32 v10, v48
	v_mad_u64_u32 v[172:173], null, v196, v208, v[7:8]
	v_mul_lo_u32 v7, v174, v210
	v_cvt_f32_i32_e32 v41, v185
	v_mul_f32_e32 v10, v226, v10
	v_cvt_f32_i32_e32 v42, v172
	v_mad_u64_u32 v[173:174], null, v197, v199, v[7:8]
	v_cvt_f32_i32_e32 v7, v218
	v_fma_mix_f32 v7, v225, v7, -v10 op_sel_hi:[1,0,0]
	v_cvt_f32_i32_e32 v10, v50
	v_cvt_f32_i32_e32 v45, v173
	v_mul_f32_e32 v10, v215, v10
	v_fma_mix_f32 v18, v216, v41, -v10 op_sel_hi:[1,0,0]
	v_cvt_f32_i32_e32 v10, v51
	v_mul_f32_e32 v10, v213, v10
	v_fma_mix_f32 v40, v217, v42, -v10 op_sel_hi:[1,0,0]
	;; [unrolled: 3-line block ×3, first 2 shown]
	ds_read2_b32 v[10:11], v3 offset0:64 offset1:96
	s_waitcnt lgkmcnt(0)
	v_fmac_f32_e32 v84, v11, v7
	v_mul_lo_u32 v7, v160, v205
	v_fmac_f32_e32 v97, v10, v0
	v_fmac_f32_e32 v93, v10, v15
	v_fmac_f32_e32 v90, v10, v12
	v_fmac_f32_e32 v86, v10, v13
	v_fmac_f32_e32 v81, v11, v18
	v_fmac_f32_e32 v77, v11, v40
	v_fmac_f32_e32 v72, v11, v41
	v_mad_u64_u32 v[10:11], null, v194, v204, v[7:8]
	v_mul_lo_u32 v7, v176, v205
	v_cvt_f32_i32_e32 v0, v10
	v_mad_u64_u32 v[11:12], null, v203, v204, v[7:8]
	v_mul_lo_u32 v7, v162, v207
	v_mad_u64_u32 v[12:13], null, v190, v206, v[7:8]
	v_mul_lo_u32 v7, v163, v209
	v_cvt_f32_i32_e32 v10, v12
	v_mad_u64_u32 v[40:41], null, v191, v208, v[7:8]
	v_mul_lo_u32 v7, v164, v210
	;; [unrolled: 5-line block ×3, first 2 shown]
	v_cvt_f32_i32_e32 v13, v50
	v_mad_u64_u32 v[51:52], null, v201, v208, v[7:8]
	v_mul_lo_u32 v7, v178, v210
	v_cvt_f32_i32_e32 v15, v51
	v_mad_u64_u32 v[162:163], null, v202, v199, v[7:8]
	v_cvt_f32_i32_e32 v7, v11
	v_cvt_f32_i32_e32 v11, v40
	;; [unrolled: 1-line block ×4, first 2 shown]
	v_mul_f32_e32 v40, v226, v40
	v_fma_mix_f32 v0, v225, v0, -v40 op_sel_hi:[1,0,0]
	v_cvt_f32_i32_e32 v40, v46
	v_mul_f32_e32 v40, v215, v40
	v_fma_mix_f32 v40, v216, v10, -v40 op_sel_hi:[1,0,0]
	v_cvt_f32_i32_e32 v10, v47
	;; [unrolled: 3-line block ×7, first 2 shown]
	v_mul_f32_e32 v10, v1, v10
	v_mul_f32_e32 v1, v1, v9
	v_fma_mix_f32 v18, v214, v18, -v10 op_sel_hi:[1,0,0]
	ds_read2_b32 v[10:11], v3 offset0:128 offset1:160
	s_waitcnt lgkmcnt(0)
	v_fmac_f32_e32 v65, v11, v7
	v_mul_lo_u32 v7, v39, v205
	v_fmac_f32_e32 v70, v10, v0
	v_fmac_f32_e32 v68, v10, v40
	;; [unrolled: 1-line block ×7, first 2 shown]
	v_mad_u64_u32 v[10:11], null, v182, v204, v[7:8]
	v_mul_lo_u32 v7, v169, v205
	v_cvt_f32_i32_e32 v0, v10
	v_cvt_f32_i32_e32 v10, v44
	v_mad_u64_u32 v[11:12], null, v193, v204, v[7:8]
	v_mul_lo_u32 v7, v37, v207
	v_mul_f32_e32 v10, v226, v10
	v_mad_u64_u32 v[12:13], null, v181, v206, v[7:8]
	v_mul_lo_u32 v7, v165, v207
	v_mad_u64_u32 v[39:40], null, v189, v206, v[7:8]
	v_mul_lo_u32 v7, v17, v209
	;; [unrolled: 2-line block ×5, first 2 shown]
	v_mad_u64_u32 v[16:17], null, v183, v199, v[7:8]
	v_cvt_f32_i32_e32 v8, v8
	v_cvt_f32_i32_e32 v7, v11
	;; [unrolled: 1-line block ×3, first 2 shown]
	v_mul_f32_e32 v8, v226, v8
	v_fma_mix_f32 v7, v225, v7, -v10 op_sel_hi:[1,0,0]
	v_cvt_f32_i32_e32 v10, v39
	v_mul_f32_e32 v11, v215, v11
	v_fma_mix_f32 v0, v225, v0, -v8 op_sel_hi:[1,0,0]
	v_cvt_f32_i32_e32 v8, v12
	v_cvt_f32_i32_e32 v12, v14
	v_fma_mix_f32 v6, v216, v8, -v6 op_sel_hi:[1,0,0]
	v_fma_mix_f32 v8, v216, v10, -v11 op_sel_hi:[1,0,0]
	v_cvt_f32_i32_e32 v10, v40
	v_cvt_f32_i32_e32 v11, v41
	v_mul_f32_e32 v12, v213, v12
	v_fma_mix_f32 v10, v217, v10, -v5 op_sel_hi:[1,0,0]
	v_cvt_f32_i32_e32 v5, v15
	v_fma_mix_f32 v11, v217, v11, -v12 op_sel_hi:[1,0,0]
	v_cvt_f32_i32_e32 v12, v16
	v_fma_mix_f32 v9, v214, v5, -v4 op_sel_hi:[1,0,0]
	ds_read2_b32 v[4:5], v3 offset0:192 offset1:224
	v_fma_mix_f32 v1, v214, v12, -v1 op_sel_hi:[1,0,0]
	v_add_nc_u32_e32 v3, 4, v3
	s_waitcnt lgkmcnt(0)
	v_fmac_f32_e32 v60, v4, v0
	v_fmac_f32_e32 v59, v4, v6
	;; [unrolled: 1-line block ×8, first 2 shown]
	s_cbranch_scc1 .LBB128_14
; %bb.15:                               ;   in Loop: Header=BB128_6 Depth=1
	s_barrier
	buffer_gl0_inv
	s_branch .LBB128_5
.LBB128_16:
	s_clause 0x2
	buffer_load_dword v2, off, s[16:19], 0 offset:44
	buffer_load_dword v1, off, s[16:19], 0 offset:36
	;; [unrolled: 1-line block ×3, first 2 shown]
.LBB128_17:
	s_mov_b32 s0, exec_lo
	s_waitcnt vmcnt(2)
	v_cmpx_gt_u32_e64 s10, v2
	s_cbranch_execz .LBB128_68
; %bb.18:
	s_waitcnt vmcnt(0)
	v_add_nc_u32_e32 v0, s6, v0
	v_mul_lo_u32 v5, v2, s14
	v_cmp_gt_u32_e32 vcc_lo, s14, v0
	s_and_saveexec_b32 s1, vcc_lo
	s_cbranch_execz .LBB128_20
; %bb.19:
	v_add_nc_u32_e32 v2, v0, v5
	v_mov_b32_e32 v3, 0
	v_lshlrev_b64 v[2:3], 2, v[2:3]
	s_waitcnt lgkmcnt(0)
	v_add_co_u32 v2, s0, s12, v2
	v_add_co_ci_u32_e64 v3, null, s13, v3, s0
	global_store_dword v[2:3], v112, off
.LBB128_20:
	s_or_b32 exec_lo, exec_lo, s1
	v_add_nc_u32_e32 v2, 32, v0
	v_cmp_gt_u32_e64 s0, s14, v2
	s_and_saveexec_b32 s2, s0
	s_cbranch_execz .LBB128_22
; %bb.21:
	v_add_nc_u32_e32 v3, v2, v5
	v_mov_b32_e32 v4, 0
	v_lshlrev_b64 v[3:4], 2, v[3:4]
	s_waitcnt lgkmcnt(0)
	v_add_co_u32 v3, s1, s12, v3
	v_add_co_ci_u32_e64 v4, null, s13, v4, s1
	global_store_dword v[3:4], v110, off
.LBB128_22:
	s_or_b32 exec_lo, exec_lo, s2
	v_add_nc_u32_e32 v3, 64, v0
	v_cmp_gt_u32_e64 s1, s14, v3
	s_and_saveexec_b32 s3, s1
	;; [unrolled: 14-line block ×3, first 2 shown]
	s_cbranch_execz .LBB128_26
; %bb.25:
	v_add_nc_u32_e32 v5, v4, v5
	v_mov_b32_e32 v6, 0
	v_lshlrev_b64 v[5:6], 2, v[5:6]
	s_waitcnt lgkmcnt(0)
	v_add_co_u32 v5, s3, s12, v5
	v_add_co_ci_u32_e64 v6, null, s13, v6, s3
	global_store_dword v[5:6], v106, off
.LBB128_26:
	s_or_b32 exec_lo, exec_lo, s4
	v_add3_u32 v5, v1, s7, 8
	v_cmp_gt_u32_e64 s3, s10, v5
	s_and_b32 exec_lo, exec_lo, s3
	s_cbranch_execz .LBB128_68
; %bb.27:
	v_mul_lo_u32 v5, v5, s14
	s_and_saveexec_b32 s4, vcc_lo
	s_cbranch_execnz .LBB128_69
; %bb.28:
	s_or_b32 exec_lo, exec_lo, s4
	s_and_saveexec_b32 s4, s0
	s_cbranch_execnz .LBB128_70
.LBB128_29:
	s_or_b32 exec_lo, exec_lo, s4
	s_and_saveexec_b32 s4, s1
	s_cbranch_execnz .LBB128_71
.LBB128_30:
	s_or_b32 exec_lo, exec_lo, s4
	s_and_saveexec_b32 s4, s2
	s_cbranch_execz .LBB128_32
.LBB128_31:
	v_add_nc_u32_e32 v5, v5, v4
	v_mov_b32_e32 v6, 0
	v_lshlrev_b64 v[5:6], 2, v[5:6]
	s_waitcnt lgkmcnt(0)
	v_add_co_u32 v5, s3, s12, v5
	v_add_co_ci_u32_e64 v6, null, s13, v6, s3
	global_store_dword v[5:6], v100, off
.LBB128_32:
	s_or_b32 exec_lo, exec_lo, s4
	v_add3_u32 v5, v1, s7, 16
	v_cmp_gt_u32_e64 s3, s10, v5
	s_and_b32 exec_lo, exec_lo, s3
	s_cbranch_execz .LBB128_68
; %bb.33:
	v_mul_lo_u32 v5, v5, s14
	s_and_saveexec_b32 s4, vcc_lo
	s_cbranch_execnz .LBB128_72
; %bb.34:
	s_or_b32 exec_lo, exec_lo, s4
	s_and_saveexec_b32 s4, s0
	s_cbranch_execnz .LBB128_73
.LBB128_35:
	s_or_b32 exec_lo, exec_lo, s4
	s_and_saveexec_b32 s4, s1
	s_cbranch_execnz .LBB128_74
.LBB128_36:
	s_or_b32 exec_lo, exec_lo, s4
	s_and_saveexec_b32 s4, s2
	s_cbranch_execz .LBB128_38
.LBB128_37:
	v_add_nc_u32_e32 v5, v5, v4
	v_mov_b32_e32 v6, 0
	v_lshlrev_b64 v[5:6], 2, v[5:6]
	s_waitcnt lgkmcnt(0)
	v_add_co_u32 v5, s3, s12, v5
	v_add_co_ci_u32_e64 v6, null, s13, v6, s3
	global_store_dword v[5:6], v86, off
.LBB128_38:
	s_or_b32 exec_lo, exec_lo, s4
	v_add3_u32 v5, v1, s7, 24
	v_cmp_gt_u32_e64 s3, s10, v5
	s_and_b32 exec_lo, exec_lo, s3
	s_cbranch_execz .LBB128_68
; %bb.39:
	v_mul_lo_u32 v5, v5, s14
	s_and_saveexec_b32 s4, vcc_lo
	s_cbranch_execnz .LBB128_75
; %bb.40:
	s_or_b32 exec_lo, exec_lo, s4
	s_and_saveexec_b32 s4, s0
	s_cbranch_execnz .LBB128_76
.LBB128_41:
	s_or_b32 exec_lo, exec_lo, s4
	s_and_saveexec_b32 s4, s1
	s_cbranch_execnz .LBB128_77
.LBB128_42:
	s_or_b32 exec_lo, exec_lo, s4
	s_and_saveexec_b32 s4, s2
	s_cbranch_execz .LBB128_44
.LBB128_43:
	v_add_nc_u32_e32 v5, v5, v4
	v_mov_b32_e32 v6, 0
	v_lshlrev_b64 v[5:6], 2, v[5:6]
	s_waitcnt lgkmcnt(0)
	v_add_co_u32 v5, s3, s12, v5
	v_add_co_ci_u32_e64 v6, null, s13, v6, s3
	global_store_dword v[5:6], v72, off
.LBB128_44:
	s_or_b32 exec_lo, exec_lo, s4
	v_add3_u32 v5, v1, s7, 32
	v_cmp_gt_u32_e64 s3, s10, v5
	s_and_b32 exec_lo, exec_lo, s3
	s_cbranch_execz .LBB128_68
; %bb.45:
	v_mul_lo_u32 v5, v5, s14
	s_and_saveexec_b32 s4, vcc_lo
	s_cbranch_execnz .LBB128_78
; %bb.46:
	s_or_b32 exec_lo, exec_lo, s4
	s_and_saveexec_b32 s4, s0
	s_cbranch_execnz .LBB128_79
.LBB128_47:
	s_or_b32 exec_lo, exec_lo, s4
	s_and_saveexec_b32 s4, s1
	s_cbranch_execnz .LBB128_80
.LBB128_48:
	s_or_b32 exec_lo, exec_lo, s4
	s_and_saveexec_b32 s4, s2
	s_cbranch_execz .LBB128_50
.LBB128_49:
	v_add_nc_u32_e32 v5, v5, v4
	v_mov_b32_e32 v6, 0
	v_lshlrev_b64 v[5:6], 2, v[5:6]
	s_waitcnt lgkmcnt(0)
	v_add_co_u32 v5, s3, s12, v5
	v_add_co_ci_u32_e64 v6, null, s13, v6, s3
	global_store_dword v[5:6], v66, off
.LBB128_50:
	s_or_b32 exec_lo, exec_lo, s4
	v_add3_u32 v5, v1, s7, 40
	v_cmp_gt_u32_e64 s3, s10, v5
	s_and_b32 exec_lo, exec_lo, s3
	s_cbranch_execz .LBB128_68
; %bb.51:
	v_mul_lo_u32 v5, v5, s14
	s_and_saveexec_b32 s4, vcc_lo
	s_cbranch_execnz .LBB128_81
; %bb.52:
	s_or_b32 exec_lo, exec_lo, s4
	s_and_saveexec_b32 s4, s0
	s_cbranch_execnz .LBB128_82
.LBB128_53:
	s_or_b32 exec_lo, exec_lo, s4
	s_and_saveexec_b32 s4, s1
	s_cbranch_execnz .LBB128_83
.LBB128_54:
	s_or_b32 exec_lo, exec_lo, s4
	s_and_saveexec_b32 s4, s2
	s_cbranch_execz .LBB128_56
.LBB128_55:
	v_add_nc_u32_e32 v5, v5, v4
	v_mov_b32_e32 v6, 0
	v_lshlrev_b64 v[5:6], 2, v[5:6]
	s_waitcnt lgkmcnt(0)
	v_add_co_u32 v5, s3, s12, v5
	v_add_co_ci_u32_e64 v6, null, s13, v6, s3
	global_store_dword v[5:6], v62, off
.LBB128_56:
	s_or_b32 exec_lo, exec_lo, s4
	v_add3_u32 v5, v1, s7, 48
	v_cmp_gt_u32_e64 s3, s10, v5
	s_and_b32 exec_lo, exec_lo, s3
	s_cbranch_execz .LBB128_68
; %bb.57:
	v_mul_lo_u32 v5, v5, s14
	s_and_saveexec_b32 s4, vcc_lo
	s_cbranch_execnz .LBB128_84
; %bb.58:
	s_or_b32 exec_lo, exec_lo, s4
	s_and_saveexec_b32 s4, s0
	s_cbranch_execnz .LBB128_85
.LBB128_59:
	s_or_b32 exec_lo, exec_lo, s4
	s_and_saveexec_b32 s4, s1
	s_cbranch_execnz .LBB128_86
.LBB128_60:
	s_or_b32 exec_lo, exec_lo, s4
	s_and_saveexec_b32 s4, s2
	s_cbranch_execz .LBB128_62
.LBB128_61:
	v_add_nc_u32_e32 v5, v5, v4
	v_mov_b32_e32 v6, 0
	v_lshlrev_b64 v[5:6], 2, v[5:6]
	s_waitcnt lgkmcnt(0)
	v_add_co_u32 v5, s3, s12, v5
	v_add_co_ci_u32_e64 v6, null, s13, v6, s3
	global_store_dword v[5:6], v57, off
.LBB128_62:
	s_or_b32 exec_lo, exec_lo, s4
	v_add3_u32 v1, v1, s7, 56
	v_cmp_gt_u32_e64 s3, s10, v1
	s_and_b32 exec_lo, exec_lo, s3
	s_cbranch_execz .LBB128_68
; %bb.63:
	v_mul_lo_u32 v1, v1, s14
	s_and_saveexec_b32 s3, vcc_lo
	s_cbranch_execnz .LBB128_87
; %bb.64:
	s_or_b32 exec_lo, exec_lo, s3
	s_and_saveexec_b32 s3, s0
	s_cbranch_execnz .LBB128_88
.LBB128_65:
	s_or_b32 exec_lo, exec_lo, s3
	s_and_saveexec_b32 s0, s1
	s_cbranch_execnz .LBB128_89
.LBB128_66:
	s_or_b32 exec_lo, exec_lo, s0
	s_and_b32 exec_lo, exec_lo, s2
	s_cbranch_execz .LBB128_68
.LBB128_67:
	v_add_nc_u32_e32 v0, v1, v4
	v_mov_b32_e32 v1, 0
	v_lshlrev_b64 v[0:1], 2, v[0:1]
	s_waitcnt lgkmcnt(0)
	v_add_co_u32 v0, vcc_lo, s12, v0
	v_add_co_ci_u32_e64 v1, null, s13, v1, vcc_lo
	global_store_dword v[0:1], v53, off
.LBB128_68:
	s_endpgm
.LBB128_69:
	v_add_nc_u32_e32 v6, v5, v0
	v_mov_b32_e32 v7, 0
	v_lshlrev_b64 v[6:7], 2, v[6:7]
	s_waitcnt lgkmcnt(0)
	v_add_co_u32 v6, s3, s12, v6
	v_add_co_ci_u32_e64 v7, null, s13, v7, s3
	global_store_dword v[6:7], v105, off
	s_or_b32 exec_lo, exec_lo, s4
	s_and_saveexec_b32 s4, s0
	s_cbranch_execz .LBB128_29
.LBB128_70:
	v_add_nc_u32_e32 v6, v5, v2
	v_mov_b32_e32 v7, 0
	v_lshlrev_b64 v[6:7], 2, v[6:7]
	s_waitcnt lgkmcnt(0)
	v_add_co_u32 v6, s3, s12, v6
	v_add_co_ci_u32_e64 v7, null, s13, v7, s3
	global_store_dword v[6:7], v104, off
	s_or_b32 exec_lo, exec_lo, s4
	s_and_saveexec_b32 s4, s1
	s_cbranch_execz .LBB128_30
.LBB128_71:
	v_add_nc_u32_e32 v6, v5, v3
	v_mov_b32_e32 v7, 0
	v_lshlrev_b64 v[6:7], 2, v[6:7]
	s_waitcnt lgkmcnt(0)
	v_add_co_u32 v6, s3, s12, v6
	v_add_co_ci_u32_e64 v7, null, s13, v7, s3
	global_store_dword v[6:7], v103, off
	s_or_b32 exec_lo, exec_lo, s4
	s_and_saveexec_b32 s4, s2
	s_cbranch_execnz .LBB128_31
	s_branch .LBB128_32
.LBB128_72:
	v_add_nc_u32_e32 v6, v5, v0
	v_mov_b32_e32 v7, 0
	v_lshlrev_b64 v[6:7], 2, v[6:7]
	s_waitcnt lgkmcnt(0)
	v_add_co_u32 v6, s3, s12, v6
	v_add_co_ci_u32_e64 v7, null, s13, v7, s3
	global_store_dword v[6:7], v97, off
	s_or_b32 exec_lo, exec_lo, s4
	s_and_saveexec_b32 s4, s0
	s_cbranch_execz .LBB128_35
.LBB128_73:
	v_add_nc_u32_e32 v6, v5, v2
	v_mov_b32_e32 v7, 0
	v_lshlrev_b64 v[6:7], 2, v[6:7]
	s_waitcnt lgkmcnt(0)
	v_add_co_u32 v6, s3, s12, v6
	v_add_co_ci_u32_e64 v7, null, s13, v7, s3
	global_store_dword v[6:7], v93, off
	s_or_b32 exec_lo, exec_lo, s4
	s_and_saveexec_b32 s4, s1
	s_cbranch_execz .LBB128_36
.LBB128_74:
	v_add_nc_u32_e32 v6, v5, v3
	v_mov_b32_e32 v7, 0
	v_lshlrev_b64 v[6:7], 2, v[6:7]
	s_waitcnt lgkmcnt(0)
	v_add_co_u32 v6, s3, s12, v6
	v_add_co_ci_u32_e64 v7, null, s13, v7, s3
	global_store_dword v[6:7], v90, off
	s_or_b32 exec_lo, exec_lo, s4
	s_and_saveexec_b32 s4, s2
	s_cbranch_execnz .LBB128_37
	s_branch .LBB128_38
.LBB128_75:
	v_add_nc_u32_e32 v6, v5, v0
	v_mov_b32_e32 v7, 0
	v_lshlrev_b64 v[6:7], 2, v[6:7]
	s_waitcnt lgkmcnt(0)
	v_add_co_u32 v6, s3, s12, v6
	v_add_co_ci_u32_e64 v7, null, s13, v7, s3
	global_store_dword v[6:7], v84, off
	s_or_b32 exec_lo, exec_lo, s4
	s_and_saveexec_b32 s4, s0
	s_cbranch_execz .LBB128_41
.LBB128_76:
	v_add_nc_u32_e32 v6, v5, v2
	v_mov_b32_e32 v7, 0
	v_lshlrev_b64 v[6:7], 2, v[6:7]
	s_waitcnt lgkmcnt(0)
	v_add_co_u32 v6, s3, s12, v6
	v_add_co_ci_u32_e64 v7, null, s13, v7, s3
	global_store_dword v[6:7], v81, off
	s_or_b32 exec_lo, exec_lo, s4
	s_and_saveexec_b32 s4, s1
	s_cbranch_execz .LBB128_42
.LBB128_77:
	v_add_nc_u32_e32 v6, v5, v3
	v_mov_b32_e32 v7, 0
	v_lshlrev_b64 v[6:7], 2, v[6:7]
	s_waitcnt lgkmcnt(0)
	v_add_co_u32 v6, s3, s12, v6
	v_add_co_ci_u32_e64 v7, null, s13, v7, s3
	global_store_dword v[6:7], v77, off
	s_or_b32 exec_lo, exec_lo, s4
	s_and_saveexec_b32 s4, s2
	s_cbranch_execnz .LBB128_43
	s_branch .LBB128_44
.LBB128_78:
	v_add_nc_u32_e32 v6, v5, v0
	v_mov_b32_e32 v7, 0
	v_lshlrev_b64 v[6:7], 2, v[6:7]
	s_waitcnt lgkmcnt(0)
	v_add_co_u32 v6, s3, s12, v6
	v_add_co_ci_u32_e64 v7, null, s13, v7, s3
	global_store_dword v[6:7], v70, off
	s_or_b32 exec_lo, exec_lo, s4
	s_and_saveexec_b32 s4, s0
	s_cbranch_execz .LBB128_47
.LBB128_79:
	v_add_nc_u32_e32 v6, v5, v2
	v_mov_b32_e32 v7, 0
	v_lshlrev_b64 v[6:7], 2, v[6:7]
	s_waitcnt lgkmcnt(0)
	v_add_co_u32 v6, s3, s12, v6
	v_add_co_ci_u32_e64 v7, null, s13, v7, s3
	global_store_dword v[6:7], v68, off
	s_or_b32 exec_lo, exec_lo, s4
	s_and_saveexec_b32 s4, s1
	s_cbranch_execz .LBB128_48
.LBB128_80:
	v_add_nc_u32_e32 v6, v5, v3
	v_mov_b32_e32 v7, 0
	v_lshlrev_b64 v[6:7], 2, v[6:7]
	s_waitcnt lgkmcnt(0)
	v_add_co_u32 v6, s3, s12, v6
	v_add_co_ci_u32_e64 v7, null, s13, v7, s3
	global_store_dword v[6:7], v67, off
	s_or_b32 exec_lo, exec_lo, s4
	s_and_saveexec_b32 s4, s2
	s_cbranch_execnz .LBB128_49
	s_branch .LBB128_50
.LBB128_81:
	v_add_nc_u32_e32 v6, v5, v0
	v_mov_b32_e32 v7, 0
	v_lshlrev_b64 v[6:7], 2, v[6:7]
	s_waitcnt lgkmcnt(0)
	v_add_co_u32 v6, s3, s12, v6
	v_add_co_ci_u32_e64 v7, null, s13, v7, s3
	global_store_dword v[6:7], v65, off
	s_or_b32 exec_lo, exec_lo, s4
	s_and_saveexec_b32 s4, s0
	s_cbranch_execz .LBB128_53
.LBB128_82:
	v_add_nc_u32_e32 v6, v5, v2
	v_mov_b32_e32 v7, 0
	v_lshlrev_b64 v[6:7], 2, v[6:7]
	s_waitcnt lgkmcnt(0)
	v_add_co_u32 v6, s3, s12, v6
	v_add_co_ci_u32_e64 v7, null, s13, v7, s3
	global_store_dword v[6:7], v64, off
	s_or_b32 exec_lo, exec_lo, s4
	s_and_saveexec_b32 s4, s1
	s_cbranch_execz .LBB128_54
.LBB128_83:
	v_add_nc_u32_e32 v6, v5, v3
	v_mov_b32_e32 v7, 0
	v_lshlrev_b64 v[6:7], 2, v[6:7]
	s_waitcnt lgkmcnt(0)
	v_add_co_u32 v6, s3, s12, v6
	v_add_co_ci_u32_e64 v7, null, s13, v7, s3
	global_store_dword v[6:7], v63, off
	s_or_b32 exec_lo, exec_lo, s4
	s_and_saveexec_b32 s4, s2
	s_cbranch_execnz .LBB128_55
	s_branch .LBB128_56
.LBB128_84:
	v_add_nc_u32_e32 v6, v5, v0
	v_mov_b32_e32 v7, 0
	v_lshlrev_b64 v[6:7], 2, v[6:7]
	s_waitcnt lgkmcnt(0)
	v_add_co_u32 v6, s3, s12, v6
	v_add_co_ci_u32_e64 v7, null, s13, v7, s3
	global_store_dword v[6:7], v60, off
	s_or_b32 exec_lo, exec_lo, s4
	s_and_saveexec_b32 s4, s0
	s_cbranch_execz .LBB128_59
.LBB128_85:
	v_add_nc_u32_e32 v6, v5, v2
	v_mov_b32_e32 v7, 0
	v_lshlrev_b64 v[6:7], 2, v[6:7]
	s_waitcnt lgkmcnt(0)
	v_add_co_u32 v6, s3, s12, v6
	v_add_co_ci_u32_e64 v7, null, s13, v7, s3
	global_store_dword v[6:7], v59, off
	s_or_b32 exec_lo, exec_lo, s4
	s_and_saveexec_b32 s4, s1
	s_cbranch_execz .LBB128_60
.LBB128_86:
	v_add_nc_u32_e32 v6, v5, v3
	v_mov_b32_e32 v7, 0
	v_lshlrev_b64 v[6:7], 2, v[6:7]
	s_waitcnt lgkmcnt(0)
	v_add_co_u32 v6, s3, s12, v6
	v_add_co_ci_u32_e64 v7, null, s13, v7, s3
	global_store_dword v[6:7], v58, off
	s_or_b32 exec_lo, exec_lo, s4
	s_and_saveexec_b32 s4, s2
	s_cbranch_execnz .LBB128_61
	s_branch .LBB128_62
.LBB128_87:
	v_add_nc_u32_e32 v5, v1, v0
	v_mov_b32_e32 v6, 0
	v_lshlrev_b64 v[5:6], 2, v[5:6]
	s_waitcnt lgkmcnt(0)
	v_add_co_u32 v5, vcc_lo, s12, v5
	v_add_co_ci_u32_e64 v6, null, s13, v6, vcc_lo
	global_store_dword v[5:6], v56, off
	s_or_b32 exec_lo, exec_lo, s3
	s_and_saveexec_b32 s3, s0
	s_cbranch_execz .LBB128_65
.LBB128_88:
	v_add_nc_u32_e32 v5, v1, v2
	v_mov_b32_e32 v6, 0
	v_lshlrev_b64 v[5:6], 2, v[5:6]
	s_waitcnt lgkmcnt(0)
	v_add_co_u32 v5, vcc_lo, s12, v5
	v_add_co_ci_u32_e64 v6, null, s13, v6, vcc_lo
	global_store_dword v[5:6], v55, off
	s_or_b32 exec_lo, exec_lo, s3
	s_and_saveexec_b32 s0, s1
	s_cbranch_execz .LBB128_66
.LBB128_89:
	v_add_nc_u32_e32 v2, v1, v3
	v_mov_b32_e32 v3, 0
	v_lshlrev_b64 v[2:3], 2, v[2:3]
	s_waitcnt lgkmcnt(0)
	v_add_co_u32 v2, vcc_lo, s12, v2
	v_add_co_ci_u32_e64 v3, null, s13, v3, vcc_lo
	global_store_dword v[2:3], v54, off
	s_or_b32 exec_lo, exec_lo, s0
	s_and_b32 exec_lo, exec_lo, s2
	s_cbranch_execnz .LBB128_67
	s_branch .LBB128_68
	.section	.rodata,"a",@progbits
	.p2align	6, 0x0
	.amdhsa_kernel _ZL12mul_mat_q2_KIfLb1EEvPKvS1_PT_iiiii
		.amdhsa_group_segment_fixed_size 31392
		.amdhsa_private_segment_fixed_size 52
		.amdhsa_kernarg_size 44
		.amdhsa_user_sgpr_count 6
		.amdhsa_user_sgpr_private_segment_buffer 1
		.amdhsa_user_sgpr_dispatch_ptr 0
		.amdhsa_user_sgpr_queue_ptr 0
		.amdhsa_user_sgpr_kernarg_segment_ptr 1
		.amdhsa_user_sgpr_dispatch_id 0
		.amdhsa_user_sgpr_flat_scratch_init 0
		.amdhsa_user_sgpr_private_segment_size 0
		.amdhsa_wavefront_size32 1
		.amdhsa_uses_dynamic_stack 0
		.amdhsa_system_sgpr_private_segment_wavefront_offset 1
		.amdhsa_system_sgpr_workgroup_id_x 1
		.amdhsa_system_sgpr_workgroup_id_y 1
		.amdhsa_system_sgpr_workgroup_id_z 0
		.amdhsa_system_sgpr_workgroup_info 0
		.amdhsa_system_vgpr_workitem_id 1
		.amdhsa_next_free_vgpr 256
		.amdhsa_next_free_sgpr 20
		.amdhsa_reserve_vcc 1
		.amdhsa_reserve_flat_scratch 0
		.amdhsa_float_round_mode_32 0
		.amdhsa_float_round_mode_16_64 0
		.amdhsa_float_denorm_mode_32 3
		.amdhsa_float_denorm_mode_16_64 3
		.amdhsa_dx10_clamp 1
		.amdhsa_ieee_mode 1
		.amdhsa_fp16_overflow 0
		.amdhsa_workgroup_processor_mode 1
		.amdhsa_memory_ordered 1
		.amdhsa_forward_progress 1
		.amdhsa_shared_vgpr_count 0
		.amdhsa_exception_fp_ieee_invalid_op 0
		.amdhsa_exception_fp_denorm_src 0
		.amdhsa_exception_fp_ieee_div_zero 0
		.amdhsa_exception_fp_ieee_overflow 0
		.amdhsa_exception_fp_ieee_underflow 0
		.amdhsa_exception_fp_ieee_inexact 0
		.amdhsa_exception_int_div_zero 0
	.end_amdhsa_kernel
	.section	.text._ZL12mul_mat_q2_KIfLb1EEvPKvS1_PT_iiiii,"axG",@progbits,_ZL12mul_mat_q2_KIfLb1EEvPKvS1_PT_iiiii,comdat
.Lfunc_end128:
	.size	_ZL12mul_mat_q2_KIfLb1EEvPKvS1_PT_iiiii, .Lfunc_end128-_ZL12mul_mat_q2_KIfLb1EEvPKvS1_PT_iiiii
                                        ; -- End function
	.set _ZL12mul_mat_q2_KIfLb1EEvPKvS1_PT_iiiii.num_vgpr, 256
	.set _ZL12mul_mat_q2_KIfLb1EEvPKvS1_PT_iiiii.num_agpr, 0
	.set _ZL12mul_mat_q2_KIfLb1EEvPKvS1_PT_iiiii.numbered_sgpr, 20
	.set _ZL12mul_mat_q2_KIfLb1EEvPKvS1_PT_iiiii.num_named_barrier, 0
	.set _ZL12mul_mat_q2_KIfLb1EEvPKvS1_PT_iiiii.private_seg_size, 52
	.set _ZL12mul_mat_q2_KIfLb1EEvPKvS1_PT_iiiii.uses_vcc, 1
	.set _ZL12mul_mat_q2_KIfLb1EEvPKvS1_PT_iiiii.uses_flat_scratch, 0
	.set _ZL12mul_mat_q2_KIfLb1EEvPKvS1_PT_iiiii.has_dyn_sized_stack, 0
	.set _ZL12mul_mat_q2_KIfLb1EEvPKvS1_PT_iiiii.has_recursion, 0
	.set _ZL12mul_mat_q2_KIfLb1EEvPKvS1_PT_iiiii.has_indirect_call, 0
	.section	.AMDGPU.csdata,"",@progbits
; Kernel info:
; codeLenInByte = 27288
; TotalNumSgprs: 22
; NumVgprs: 256
; ScratchSize: 52
; MemoryBound: 0
; FloatMode: 240
; IeeeMode: 1
; LDSByteSize: 31392 bytes/workgroup (compile time only)
; SGPRBlocks: 0
; VGPRBlocks: 31
; NumSGPRsForWavesPerEU: 22
; NumVGPRsForWavesPerEU: 256
; Occupancy: 4
; WaveLimiterHint : 0
; COMPUTE_PGM_RSRC2:SCRATCH_EN: 1
; COMPUTE_PGM_RSRC2:USER_SGPR: 6
; COMPUTE_PGM_RSRC2:TRAP_HANDLER: 0
; COMPUTE_PGM_RSRC2:TGID_X_EN: 1
; COMPUTE_PGM_RSRC2:TGID_Y_EN: 1
; COMPUTE_PGM_RSRC2:TGID_Z_EN: 0
; COMPUTE_PGM_RSRC2:TIDIG_COMP_CNT: 1
	.section	.text._ZL12mul_mat_q3_KIfLb0EEvPKvS1_PT_iiiii,"axG",@progbits,_ZL12mul_mat_q3_KIfLb0EEvPKvS1_PT_iiiii,comdat
	.globl	_ZL12mul_mat_q3_KIfLb0EEvPKvS1_PT_iiiii ; -- Begin function _ZL12mul_mat_q3_KIfLb0EEvPKvS1_PT_iiiii
	.p2align	8
	.type	_ZL12mul_mat_q3_KIfLb0EEvPKvS1_PT_iiiii,@function
_ZL12mul_mat_q3_KIfLb0EEvPKvS1_PT_iiiii: ; @_ZL12mul_mat_q3_KIfLb0EEvPKvS1_PT_iiiii
; %bb.0:
	s_clause 0x1
	s_load_dword s14, s[4:5], 0x18
	s_load_dwordx4 s[8:11], s[4:5], 0x20
	s_lshl_b32 s7, s7, 6
	v_add_nc_u32_e32 v49, s7, v1
	s_waitcnt lgkmcnt(0)
	s_cmpk_gt_i32 s14, 0xff
	s_cbranch_scc1 .LBB129_2
; %bb.1:
	v_add_nc_u32_e32 v34, s7, v1
	s_mov_b32 s0, 0
	s_branch .LBB129_3
.LBB129_2:
	s_mov_b32 s0, -1
                                        ; implicit-def: $vgpr34
.LBB129_3:
	s_load_dwordx2 s[12:13], s[4:5], 0x10
	s_lshl_b32 s6, s6, 7
	s_andn2_b32 vcc_lo, exec_lo, s0
	s_mov_b32 s11, 0
	s_cbranch_vccnz .LBB129_16
; %bb.4:
	s_load_dwordx4 s[0:3], s[4:5], 0x0
	s_ashr_i32 s4, s14, 31
	s_ashr_i32 s5, s9, 31
	s_lshr_b32 s4, s4, 24
	s_lshr_b32 s5, s5, 27
	s_add_i32 s14, s14, s4
	s_add_i32 s5, s9, s5
	s_ashr_i32 s4, s14, 8
	s_ashr_i32 s14, s5, 5
	s_mul_i32 s9, s4, s6
	v_lshrrev_b32_e32 v50, 4, v0
	s_mul_i32 s5, s9, 0x6e
	s_mul_hi_i32 s9, s9, 0x6e
	v_lshlrev_b32_e32 v23, 4, v1
	v_lshrrev_b32_e32 v52, 1, v0
	v_lshlrev_b32_e32 v4, 1, v1
	v_and_b32_e32 v3, 15, v0
	v_and_b32_e32 v51, 1, v0
	v_mov_b32_e32 v24, 2
	v_add_nc_u32_e32 v6, v52, v23
	s_waitcnt lgkmcnt(0)
	s_add_u32 s5, s0, s5
	s_addc_u32 s9, s1, s9
	s_lshl_b32 s0, s4, 3
	v_add_nc_u32_e32 v8, v50, v4
	v_mad_i32_i24 v53, s4, v1, s0
	v_lshlrev_b32_e32 v54, 2, v3
	v_lshlrev_b32_e32 v7, 2, v51
	v_cmp_lt_u32_e32 vcc_lo, 7, v3
	v_add_nc_u16 v3, v50, v4
	v_add_nc_u32_e32 v55, s0, v53
	v_and_b32_e32 v4, 0x7f, v6
	v_lshrrev_b32_e32 v6, 2, v6
	v_add_nc_u32_e32 v9, 16, v8
	v_add_nc_u32_e32 v10, 32, v8
	;; [unrolled: 1-line block ×4, first 2 shown]
	v_lshrrev_b16 v3, 1, v3
	v_add_nc_u32_e32 v12, 64, v8
	v_mul_i32_i24_e32 v84, s4, v4
	v_add_nc_u32_e32 v61, s0, v57
	v_lshl_or_b32 v4, v4, 3, v7
	v_and_b32_e32 v6, 28, v6
	v_lshlrev_b32_e32 v7, 1, v9
	v_lshlrev_b32_e32 v26, 6, v9
	v_add_nc_u32_e32 v66, s0, v61
	v_lshlrev_b32_e32 v9, 1, v10
	v_lshlrev_b32_e32 v27, 6, v10
	;; [unrolled: 1-line block ×3, first 2 shown]
	v_lshlrev_b32_sdwa v3, v24, v3 dst_sel:DWORD dst_unused:UNUSED_PAD src0_sel:DWORD src1_sel:WORD_0
	v_add_nc_u32_e32 v71, s0, v66
	v_lshlrev_b32_e32 v13, 1, v12
	v_add3_u32 v87, v4, v6, 0x9380
	v_and_b32_e32 v4, 0xffc, v9
	v_and_b32_e32 v6, 0xffc, v10
	v_add_nc_u32_e32 v76, s0, v71
	v_add3_u32 v28, v3, v54, 0x4200
	v_and_b32_e32 v3, 0xffc, v7
	v_add3_u32 v30, v4, v54, 0x4200
	v_add3_u32 v31, v6, v54, 0x4200
	v_add_nc_u32_e32 v80, s0, v76
	v_and_b32_e32 v4, 0xffc, v13
	v_add_nc_u32_e32 v6, 0x60, v8
	s_lshl_b32 s1, s4, 4
	v_mul_i32_i24_e32 v81, s4, v8
	v_add_nc_u32_e32 v82, s0, v80
	v_lshlrev_b32_e32 v25, 6, v8
	v_mad_i32_i24 v89, s4, v8, s1
	v_add3_u32 v29, v3, v54, 0x4200
	v_add_nc_u32_e32 v3, 0x50, v8
	v_add_nc_u32_e32 v83, s0, v82
	v_add3_u32 v33, v4, v54, 0x4200
	v_lshlrev_b32_e32 v4, 1, v6
	v_add_nc_u32_e32 v8, 0x70, v8
	v_and_b32_e32 v5, 7, v0
	v_add_nc_u32_e32 v85, s0, v83
	v_cndmask_b32_e64 v58, 0, 1, vcc_lo
	v_and_b32_e32 v4, 0xffc, v4
	v_lshlrev_b32_e32 v9, 1, v8
	v_lshlrev_b32_e32 v7, 1, v3
	v_add_nc_u32_e32 v86, s0, v85
	v_lshlrev_b32_e32 v36, 6, v3
	v_add3_u32 v37, v4, v54, 0x4200
	v_and_b32_e32 v4, 0xffc, v9
	v_and_b32_e32 v3, 3, v0
	v_add_nc_u32_e32 v88, s0, v86
	v_cmp_lt_u32_e32 vcc_lo, 3, v5
	v_and_b32_e32 v7, 0xffc, v7
	v_lshlrev_b32_e32 v34, 6, v12
	v_add3_u32 v39, v4, v54, 0x4200
	v_add_nc_u32_e32 v90, s0, v88
	v_lshlrev_b32_e32 v40, 6, v8
	v_add_nc_u16 v4, v3, -2
	v_cndmask_b32_e64 v99, 0, 1, vcc_lo
	v_cmp_gt_u32_e32 vcc_lo, 2, v3
	v_add_nc_u32_e32 v8, 8, v49
	v_add_nc_u32_e32 v10, 16, v49
	;; [unrolled: 1-line block ×8, first 2 shown]
	s_add_i32 s0, s8, -1
	v_lshlrev_b32_e32 v59, 2, v5
	v_lshlrev_b32_e32 v32, 6, v11
	v_add3_u32 v35, v7, v54, 0x4200
	v_lshlrev_b32_e32 v38, 6, v6
	v_cndmask_b32_e32 v42, v4, v3, vcc_lo
	v_cvt_f64_i32_e32 v[4:5], s0
	v_cvt_f64_u32_e32 v[6:7], v49
	v_cvt_f64_u32_e32 v[8:9], v8
	;; [unrolled: 1-line block ×8, first 2 shown]
	v_lshrrev_b32_e32 v97, 3, v0
	v_add_nc_u32_e32 v91, s1, v89
	v_lshlrev_b32_sdwa v102, v24, v42 dst_sel:DWORD dst_unused:UNUSED_PAD src0_sel:DWORD src1_sel:BYTE_0
	v_lshlrev_b32_e32 v22, 2, v0
	v_lshlrev_b32_e32 v103, 1, v3
	v_lshl_add_u32 v41, v1, 2, v97
	v_add_nc_u32_e32 v93, s1, v91
	v_mov_b32_e32 v2, 0
	v_mad_u32_u24 v56, 0x84, v1, v22
	v_lshlrev_b32_e32 v100, 1, v0
	v_add_nc_u32_e32 v24, 32, v41
	v_add_nc_u32_e32 v94, s1, v93
	v_and_b32_e32 v43, 0x7fc, v41
	v_mul_i32_i24_e32 v104, s4, v41
	v_min_f64 v[6:7], v[6:7], v[4:5]
	v_min_f64 v[8:9], v[8:9], v[4:5]
	;; [unrolled: 1-line block ×8, first 2 shown]
	v_lshrrev_b32_e32 v20, 2, v0
	v_and_b32_e32 v42, 0xffc, v24
	v_add_nc_u32_e32 v95, s1, v94
	v_add3_u32 v45, v43, v59, 0x8300
	v_lshlrev_b32_e32 v46, 5, v41
	v_lshl_add_u32 v20, v1, 3, v20
	v_add3_u32 v47, v42, v59, 0x8300
	v_add_nc_u32_e32 v42, 64, v41
	v_add_nc_u32_e32 v96, s1, v95
	v_lshlrev_b32_e32 v24, 5, v24
	v_add_nc_u32_e32 v136, 0x97a0, v23
	v_add_nc_u32_e32 v138, v28, v25
	v_and_b32_e32 v43, 0xffc, v42
	v_add_nc_u32_e32 v98, s1, v96
	v_cvt_i32_f64_e32 v6, v[6:7]
	v_cvt_i32_f64_e32 v7, v[8:9]
	;; [unrolled: 1-line block ×8, first 2 shown]
	v_and_b32_e32 v8, 63, v20
	v_lshlrev_b32_e32 v16, 2, v3
	s_lshl_b32 s1, s4, 5
	v_add3_u32 v48, v43, v59, 0x8300
	v_mad_i32_i24 v105, s4, v41, s1
	v_or_b32_e32 v14, s7, v8
	v_add_nc_u32_e32 v41, 0x60, v41
	v_lshlrev_b32_e32 v148, 5, v42
	v_lshl_or_b32 v8, v8, 4, v16
	v_add_nc_u32_e32 v16, 0x60, v0
	v_min_i32_e32 v5, s0, v14
	v_and_b32_e32 v21, 0xffc, v41
	v_and_b32_e32 v12, 31, v0
	;; [unrolled: 1-line block ×3, first 2 shown]
	v_lshlrev_b32_e32 v14, 7, v1
	v_and_b32_e32 v44, 0x1fc, v16
	v_add3_u32 v21, v21, v59, 0x8300
	v_lshlrev_b32_e32 v10, 5, v41
	v_lshl_or_b32 v12, v12, 2, 0x6300
	v_add_nc_u32_e32 v108, 0x97a0, v8
	v_mul_lo_u32 v115, s14, v17
	v_mad_u64_u32 v[42:43], null, v5, s14, v[3:4]
	v_mul_lo_u32 v116, s14, v4
	v_add_nc_u32_e32 v3, 32, v0
	v_add_nc_u32_e32 v4, 64, v0
	v_lshlrev_b32_e32 v5, 5, v0
	v_and_b32_e32 v43, 0xfc, v0
	v_mul_lo_u32 v109, s14, v6
	v_lshrrev_b32_e32 v17, 1, v3
	v_lshrrev_b32_e32 v19, 4, v3
	;; [unrolled: 1-line block ×4, first 2 shown]
	v_lshlrev_b32_e32 v119, 6, v3
	v_lshlrev_b32_e32 v120, 3, v3
	;; [unrolled: 1-line block ×4, first 2 shown]
	v_lshrrev_b32_e32 v125, 3, v3
	v_lshrrev_b32_e32 v126, 3, v4
	v_and_b32_e32 v3, 0x1fc, v3
	v_and_b32_e32 v4, 0x1fc, v4
	v_mul_lo_u32 v110, s14, v7
	v_add_nc_u32_e32 v6, 0x400, v14
	v_mul_lo_u32 v111, s14, v9
	v_add_nc_u32_e32 v7, 0x800, v14
	;; [unrolled: 2-line block ×5, first 2 shown]
	v_add_nc_u32_e32 v13, 0x1800, v14
	v_add_nc_u32_e32 v15, 0x1c00, v14
	v_add_nc_u32_e32 v128, v5, v43
	v_add_nc_u32_e32 v129, v5, v3
	v_add_nc_u32_e32 v130, v5, v4
	v_add_nc_u32_e32 v131, v5, v44
	v_mov_b32_e32 v5, v2
	v_add_nc_u32_e32 v106, s1, v105
	v_lshrrev_b32_e32 v41, 1, v16
	v_lshrrev_b32_e32 v163, 4, v16
	v_mov_b32_e32 v3, v2
	v_mov_b32_e32 v4, v2
	v_add_co_u32 v43, s0, s2, v18
	v_lshlrev_b32_e32 v123, 6, v16
	v_lshlrev_b32_e32 v124, 3, v16
	v_lshrrev_b32_e32 v127, 3, v16
	v_add_nc_u32_e32 v137, 0x6300, v14
	v_add_nc_u32_e32 v139, v29, v26
	;; [unrolled: 1-line block ×15, first 2 shown]
	v_lshlrev_b32_e32 v158, 2, v17
	v_lshlrev_b32_e32 v159, 2, v19
	;; [unrolled: 1-line block ×4, first 2 shown]
	v_mov_b32_e32 v21, v5
	v_mov_b32_e32 v33, v5
	;; [unrolled: 1-line block ×7, first 2 shown]
	v_mul_i32_i24_e32 v60, s4, v1
	v_add_nc_u32_e32 v62, 0x420, v56
	v_add_nc_u32_e32 v63, 0x840, v56
	;; [unrolled: 1-line block ×15, first 2 shown]
	v_and_b32_e32 v101, 4, v100
	v_add_nc_u32_e32 v107, s1, v106
	v_mul_u32_u24_e32 v117, 0x84, v0
	v_lshlrev_b32_e32 v118, 6, v0
	v_add_co_ci_u32_e64 v44, null, s3, 0, s0
	v_add_nc_u32_e32 v132, 0x8300, v128
	v_add_nc_u32_e32 v133, 0x8700, v129
	;; [unrolled: 1-line block ×9, first 2 shown]
	v_lshlrev_b32_e32 v162, 2, v41
	v_lshlrev_b32_e32 v163, 2, v163
	v_mov_b32_e32 v20, v4
	v_mov_b32_e32 v19, v3
	v_mov_b32_e32 v18, v2
	v_mov_b32_e32 v32, v4
	v_mov_b32_e32 v31, v3
	v_mov_b32_e32 v30, v2
	v_mov_b32_e32 v16, v4
	v_mov_b32_e32 v15, v3
	v_mov_b32_e32 v14, v2
	v_mov_b32_e32 v28, v4
	v_mov_b32_e32 v27, v3
	v_mov_b32_e32 v26, v2
	v_mov_b32_e32 v12, v4
	v_mov_b32_e32 v11, v3
	v_mov_b32_e32 v10, v2
	v_mov_b32_e32 v24, v4
	v_mov_b32_e32 v23, v3
	v_mov_b32_e32 v22, v2
	v_mov_b32_e32 v8, v4
	v_mov_b32_e32 v7, v3
	v_mov_b32_e32 v6, v2
	s_branch .LBB129_6
.LBB129_5:                              ;   in Loop: Header=BB129_6 Depth=1
	s_add_i32 s11, s11, 2
	s_cmp_ge_i32 s11, s4
	s_cbranch_scc1 .LBB129_18
.LBB129_6:                              ; =>This Loop Header: Depth=1
                                        ;     Child Loop BB129_7 Depth 2
                                        ;     Child Loop BB129_9 Depth 2
	;; [unrolled: 1-line block ×4, first 2 shown]
	s_mul_i32 s0, s11, 0x6e
	s_mul_hi_u32 s1, s11, 0x6e
	s_add_u32 s0, s5, s0
	s_addc_u32 s1, s9, s1
	v_mov_b32_e32 v168, v137
	v_mad_u64_u32 v[34:35], null, 0x6e, v50, s[0:1]
	v_mov_b32_e32 v169, v136
	s_mov_b32 s16, -2
	s_mov_b32 s14, 0
	v_mad_u64_u32 v[36:37], null, 0x6e, v60, v[34:35]
	v_add_co_u32 v36, vcc_lo, v36, v54
	v_add_co_ci_u32_e64 v37, null, 0, v37, vcc_lo
	global_load_dword v36, v[36:37], off offset:32
	s_waitcnt vmcnt(0)
	ds_write_b32 v56, v36
	v_mad_u64_u32 v[36:37], null, 0x6e, v53, v[34:35]
	v_add_co_u32 v36, vcc_lo, v36, v54
	v_add_co_ci_u32_e64 v37, null, 0, v37, vcc_lo
	global_load_dword v36, v[36:37], off offset:32
	s_waitcnt vmcnt(0)
	ds_write_b32 v62, v36
	;; [unrolled: 6-line block ×14, first 2 shown]
	v_mad_u64_u32 v[36:37], null, 0x6e, v90, v[34:35]
	v_mad_u64_u32 v[34:35], null, 0x6e, v92, v[34:35]
	v_add_co_u32 v36, vcc_lo, v36, v54
	v_add_co_ci_u32_e64 v37, null, 0, v37, vcc_lo
	v_add_co_u32 v34, vcc_lo, v34, v54
	v_add_co_ci_u32_e64 v35, null, 0, v35, vcc_lo
	s_clause 0x1
	global_load_dword v36, v[36:37], off offset:32
	global_load_dword v34, v[34:35], off offset:32
	s_waitcnt vmcnt(1)
	ds_write_b32 v78, v36
	s_waitcnt vmcnt(0)
	ds_write_b32 v79, v34
	v_mad_u64_u32 v[34:35], null, 0x6e, v84, s[0:1]
	v_mad_u64_u32 v[34:35], null, 0x6e, v51, v[34:35]
	global_load_ushort v34, v[34:35], off offset:108
	s_waitcnt vmcnt(0)
	v_cvt_f32_f16_e32 v34, v34
	ds_write_b32 v87, v34
	v_mad_u64_u32 v[34:35], null, 0x6e, v58, s[0:1]
	v_add_co_u32 v34, vcc_lo, v34, v59
	v_add_co_ci_u32_e64 v35, null, 0, v35, vcc_lo
	v_mad_u64_u32 v[36:37], null, 0x6e, v81, v[34:35]
	global_load_dword v36, v[36:37], off
	s_waitcnt vmcnt(0)
	v_not_b32_e32 v36, v36
	ds_write_b32 v138, v36
	v_mad_u64_u32 v[36:37], null, 0x6e, v89, v[34:35]
	global_load_dword v36, v[36:37], off
	s_waitcnt vmcnt(0)
	v_not_b32_e32 v36, v36
	ds_write_b32 v139, v36
	;; [unrolled: 5-line block ×6, first 2 shown]
	v_mad_u64_u32 v[36:37], null, 0x6e, v96, v[34:35]
	v_mad_u64_u32 v[34:35], null, 0x6e, v98, v[34:35]
	s_clause 0x1
	global_load_dword v36, v[36:37], off
	global_load_dword v34, v[34:35], off
	s_waitcnt vmcnt(1)
	v_not_b32_e32 v36, v36
	s_waitcnt vmcnt(0)
	v_not_b32_e32 v34, v34
	ds_write_b32 v144, v36
	ds_write_b32 v145, v34
	v_mad_u64_u32 v[34:35], null, 0x6e, v99, s[0:1]
	s_lshl_b32 s0, s11, 3
	s_mov_b32 s1, 0
	v_add_nc_u32_e32 v167, s0, v42
	v_mad_u64_u32 v[36:37], null, 0x6e, v104, v[34:35]
	v_add_co_u32 v38, vcc_lo, v36, v102
	v_add_co_ci_u32_e64 v39, null, 0, v37, vcc_lo
	s_clause 0x1
	global_load_dword v36, v[36:37], off offset:104
	global_load_dword v38, v[38:39], off offset:96
	s_waitcnt vmcnt(1)
	v_ashrrev_i32_e32 v36, v103, v36
	s_waitcnt vmcnt(0)
	v_ashrrev_i32_e32 v38, v101, v38
	v_lshlrev_b32_e32 v36, 4, v36
	v_and_b32_e32 v38, 0xf0f0f0f, v38
	v_and_or_b32 v36, 0x30303030, v36, v38
	v_lshrrev_b32_e32 v37, 16, v36
	v_and_b32_e32 v38, 0x3f00, v36
	v_lshlrev_b16 v36, 8, v36
	v_add_nc_u16 v36, 0xe000, v36
	v_or_b32_sdwa v36, v38, v36 dst_sel:DWORD dst_unused:UNUSED_PAD src0_sel:DWORD src1_sel:BYTE_1
	v_and_b32_e32 v38, 0x3f00, v37
	v_lshlrev_b16 v37, 8, v37
	v_add_nc_u16 v36, 0xe000, v36
	v_add_nc_u16 v37, 0xe000, v37
	v_or_b32_sdwa v37, v38, v37 dst_sel:DWORD dst_unused:UNUSED_PAD src0_sel:DWORD src1_sel:BYTE_1
	v_add_nc_u16 v37, 0xe000, v37
	v_lshlrev_b32_e32 v37, 16, v37
	v_or_b32_sdwa v36, v36, v37 dst_sel:DWORD dst_unused:UNUSED_PAD src0_sel:WORD_0 src1_sel:DWORD
	ds_write_b32 v146, v36
	v_mad_u64_u32 v[36:37], null, 0x6e, v105, v[34:35]
	v_add_co_u32 v38, vcc_lo, v36, v102
	v_add_co_ci_u32_e64 v39, null, 0, v37, vcc_lo
	s_clause 0x1
	global_load_dword v36, v[36:37], off offset:104
	global_load_dword v38, v[38:39], off offset:96
	s_waitcnt vmcnt(1)
	v_ashrrev_i32_e32 v36, v103, v36
	s_waitcnt vmcnt(0)
	v_ashrrev_i32_e32 v38, v101, v38
	v_lshlrev_b32_e32 v36, 4, v36
	v_and_b32_e32 v38, 0xf0f0f0f, v38
	v_and_or_b32 v36, 0x30303030, v36, v38
	v_lshrrev_b32_e32 v37, 16, v36
	v_and_b32_e32 v38, 0x3f00, v36
	v_lshlrev_b16 v36, 8, v36
	v_add_nc_u16 v36, 0xe000, v36
	v_or_b32_sdwa v36, v38, v36 dst_sel:DWORD dst_unused:UNUSED_PAD src0_sel:DWORD src1_sel:BYTE_1
	v_and_b32_e32 v38, 0x3f00, v37
	v_lshlrev_b16 v37, 8, v37
	v_add_nc_u16 v36, 0xe000, v36
	v_add_nc_u16 v37, 0xe000, v37
	v_or_b32_sdwa v37, v38, v37 dst_sel:DWORD dst_unused:UNUSED_PAD src0_sel:DWORD src1_sel:BYTE_1
	v_add_nc_u16 v37, 0xe000, v37
	v_lshlrev_b32_e32 v37, 16, v37
	v_or_b32_sdwa v36, v36, v37 dst_sel:DWORD dst_unused:UNUSED_PAD src0_sel:WORD_0 src1_sel:DWORD
	ds_write_b32 v147, v36
	v_mad_u64_u32 v[36:37], null, 0x6e, v106, v[34:35]
	v_mad_u64_u32 v[34:35], null, 0x6e, v107, v[34:35]
	v_add_co_u32 v38, vcc_lo, v36, v102
	v_add_co_ci_u32_e64 v39, null, 0, v37, vcc_lo
	s_clause 0x1
	global_load_dword v36, v[36:37], off offset:104
	global_load_dword v38, v[38:39], off offset:96
	s_waitcnt vmcnt(1)
	v_ashrrev_i32_e32 v36, v103, v36
	s_waitcnt vmcnt(0)
	v_ashrrev_i32_e32 v38, v101, v38
	v_lshlrev_b32_e32 v36, 4, v36
	v_and_b32_e32 v38, 0xf0f0f0f, v38
	v_and_or_b32 v36, 0x30303030, v36, v38
	v_lshrrev_b32_e32 v37, 16, v36
	v_and_b32_e32 v38, 0x3f00, v36
	v_lshlrev_b16 v36, 8, v36
	v_add_nc_u16 v36, 0xe000, v36
	v_or_b32_sdwa v36, v38, v36 dst_sel:DWORD dst_unused:UNUSED_PAD src0_sel:DWORD src1_sel:BYTE_1
	v_and_b32_e32 v38, 0x3f00, v37
	v_lshlrev_b16 v37, 8, v37
	v_add_nc_u16 v36, 0xe000, v36
	v_add_nc_u16 v37, 0xe000, v37
	v_or_b32_sdwa v37, v38, v37 dst_sel:DWORD dst_unused:UNUSED_PAD src0_sel:DWORD src1_sel:BYTE_1
	v_add_nc_u16 v37, 0xe000, v37
	v_lshlrev_b32_e32 v37, 16, v37
	v_or_b32_sdwa v36, v36, v37 dst_sel:DWORD dst_unused:UNUSED_PAD src0_sel:WORD_0 src1_sel:DWORD
	ds_write_b32 v148, v36
	v_add_co_u32 v36, vcc_lo, v34, v102
	v_add_co_ci_u32_e64 v37, null, 0, v35, vcc_lo
	s_clause 0x1
	global_load_dword v34, v[34:35], off offset:104
	global_load_dword v36, v[36:37], off offset:96
	s_waitcnt vmcnt(1)
	v_ashrrev_i32_e32 v34, v103, v34
	s_waitcnt vmcnt(0)
	v_ashrrev_i32_e32 v36, v101, v36
	v_lshlrev_b32_e32 v34, 4, v34
	v_and_b32_e32 v36, 0xf0f0f0f, v36
	v_and_or_b32 v34, 0x30303030, v34, v36
	v_lshrrev_b32_e32 v35, 16, v34
	v_and_b32_e32 v36, 0x3f00, v34
	v_lshlrev_b16 v34, 8, v34
	v_add_nc_u16 v34, 0xe000, v34
	v_or_b32_sdwa v34, v36, v34 dst_sel:DWORD dst_unused:UNUSED_PAD src0_sel:DWORD src1_sel:BYTE_1
	v_and_b32_e32 v36, 0x3f00, v35
	v_lshlrev_b16 v35, 8, v35
	v_add_nc_u16 v34, 0xe000, v34
	v_add_nc_u16 v35, 0xe000, v35
	v_or_b32_sdwa v35, v36, v35 dst_sel:DWORD dst_unused:UNUSED_PAD src0_sel:DWORD src1_sel:BYTE_1
	v_add_nc_u32_e32 v36, s0, v97
	v_add_nc_u16 v35, 0xe000, v35
	v_lshlrev_b32_e32 v35, 16, v35
	v_or_b32_sdwa v34, v34, v35 dst_sel:DWORD dst_unused:UNUSED_PAD src0_sel:WORD_0 src1_sel:DWORD
	ds_write_b32 v149, v34
	v_add_nc_u32_e32 v34, v36, v109
	v_mad_i64_i32 v[34:35], null, v34, 36, v[43:44]
	global_load_dword v34, v[34:35], off offset:4
	s_waitcnt vmcnt(0)
	ds_write_b32 v150, v34
	v_add_nc_u32_e32 v34, v36, v110
	v_mad_i64_i32 v[34:35], null, v34, 36, v[43:44]
	global_load_dword v34, v[34:35], off offset:4
	s_waitcnt vmcnt(0)
	;; [unrolled: 5-line block ×8, first 2 shown]
	ds_write_b32 v157, v34
	v_mad_u64_u32 v[34:35], null, v167, 36, s[2:3]
	global_load_dword v34, v[34:35], off
	s_waitcnt vmcnt(0)
	v_cvt_f32_f16_e32 v34, v34
	ds_write_b32 v108, v34
	s_waitcnt lgkmcnt(0)
	s_barrier
	buffer_gl0_inv
.LBB129_7:                              ;   Parent Loop BB129_6 Depth=1
                                        ; =>  This Inner Loop Header: Depth=2
	s_add_i32 s15, s16, 2
	v_lshlrev_b32_e32 v164, 2, v52
	s_lshr_b32 s17, s15, 4
	s_and_b32 s18, s15, 0x3ffffff8
	ds_read2_b32 v[45:46], v169 offset1:32
	ds_read_b128 v[38:41], v168
	ds_read_b128 v[34:37], v168 offset:16
	v_lshl_add_u32 v179, s18, 2, v117
	s_lshl_b32 s18, s17, 5
	s_lshl_b32 s17, s17, 2
	s_addk_i32 s18, 0x4200
	s_add_i32 s17, s17, 0x9380
	v_add3_u32 v176, s18, v164, v118
	ds_read2_b32 v[47:48], v179 offset1:1
	v_add3_u32 v186, s18, v158, v119
	v_add3_u32 v195, s18, v160, v121
	v_mov_b32_e32 v211, 0
	ds_read2_b32 v[165:166], v176 offset1:1
	v_mov_b32_e32 v212, 0
	v_mov_b32_e32 v206, 0
	;; [unrolled: 1-line block ×15, first 2 shown]
	s_waitcnt lgkmcnt(1)
	v_ashrrev_i32_e32 v47, s15, v47
	v_mov_b32_e32 v230, 0
	v_mov_b32_e32 v227, 0
	;; [unrolled: 1-line block ×3, first 2 shown]
	s_waitcnt lgkmcnt(0)
	v_ashrrev_i32_e32 v165, s1, v165
	v_and_b32_e32 v170, 0x3030303, v47
	v_bfe_u32 v47, v47, 24, 2
	v_ashrrev_i32_e32 v166, s1, v166
	v_mov_b32_e32 v221, 0
	v_lshlrev_b32_e32 v165, 2, v165
	v_lshrrev_b16 v172, 8, v170
	v_lshrrev_b32_e32 v171, 16, v170
	v_lshlrev_b32_e32 v166, 2, v166
	v_mov_b32_e32 v222, 0
	v_and_b32_e32 v165, 0x4040404, v165
	s_and_b32 s19, s14, -16
	v_mov_b32_e32 v232, 0
	v_and_b32_e32 v166, 0x4040404, v166
	s_add_i32 s16, s16, s19
	v_lshrrev_b16 v175, 8, v165
	v_lshrrev_b32_e32 v173, 16, v165
	v_lshrrev_b32_e32 v174, 24, v165
	v_sub_nc_u16 v165, v170, v165
	v_add_nc_u32_e32 v209, s16, v132
	v_sub_nc_u16 v170, v172, v175
	v_lshrrev_b32_e32 v172, 16, v166
	v_sub_nc_u16 v47, v47, v174
	v_lshrrev_b16 v174, 8, v166
	v_add_nc_u32_e32 v207, s16, v133
	v_lshlrev_b16 v170, 8, v170
	v_mov_b32_e32 v235, 0
	v_lshlrev_b16 v47, 8, v47
	v_add_nc_u32_e32 v214, s16, v134
	v_mov_b32_e32 v237, 0
	v_or_b32_sdwa v165, v165, v170 dst_sel:DWORD dst_unused:UNUSED_PAD src0_sel:BYTE_0 src1_sel:DWORD
	v_sub_nc_u16 v170, v171, v173
	v_lshrrev_b32_e32 v173, 24, v166
	v_mov_b32_e32 v238, 0
	v_mov_b32_e32 v239, 0
	s_add_i32 s14, s14, 2
	v_or_b32_sdwa v47, v170, v47 dst_sel:WORD_1 dst_unused:UNUSED_PAD src0_sel:BYTE_0 src1_sel:DWORD
	v_or_b32_sdwa v170, v165, v47 dst_sel:DWORD dst_unused:UNUSED_PAD src0_sel:WORD_0 src1_sel:DWORD
	v_ashrrev_i32_e32 v47, s15, v48
	v_dot4c_i32_i8 v211, v170, v38
	v_and_b32_e32 v48, 0x3030303, v47
	v_bfe_u32 v47, v47, 24, 2
	v_lshrrev_b16 v171, 8, v48
	v_lshrrev_b32_e32 v165, 16, v48
	v_sub_nc_u16 v48, v48, v166
	v_sub_nc_u16 v47, v47, v173
	;; [unrolled: 1-line block ×4, first 2 shown]
	v_lshlrev_b16 v47, 8, v47
	v_lshlrev_b16 v166, 8, v166
	v_or_b32_sdwa v47, v165, v47 dst_sel:WORD_1 dst_unused:UNUSED_PAD src0_sel:BYTE_0 src1_sel:DWORD
	v_or_b32_sdwa v48, v48, v166 dst_sel:DWORD dst_unused:UNUSED_PAD src0_sel:BYTE_0 src1_sel:DWORD
	ds_read2_b32 v[165:166], v176 offset0:2 offset1:3
	v_or_b32_sdwa v171, v48, v47 dst_sel:DWORD dst_unused:UNUSED_PAD src0_sel:WORD_0 src1_sel:DWORD
	ds_read2_b32 v[47:48], v179 offset0:2 offset1:3
	v_dot4c_i32_i8 v211, v171, v39
	s_waitcnt lgkmcnt(1)
	v_ashrrev_i32_e32 v165, s1, v165
	v_ashrrev_i32_e32 v166, s1, v166
	s_waitcnt lgkmcnt(0)
	v_ashrrev_i32_e32 v47, s15, v47
	v_lshlrev_b32_e32 v165, 2, v165
	v_lshlrev_b32_e32 v166, 2, v166
	v_and_b32_e32 v172, 0x3030303, v47
	v_and_b32_e32 v165, 0x4040404, v165
	v_bfe_u32 v47, v47, 24, 2
	v_and_b32_e32 v166, 0x4040404, v166
	v_lshrrev_b16 v174, 8, v172
	v_lshrrev_b16 v178, 8, v165
	v_lshrrev_b32_e32 v173, 16, v172
	v_lshrrev_b32_e32 v175, 16, v165
	;; [unrolled: 1-line block ×3, first 2 shown]
	v_sub_nc_u16 v165, v172, v165
	v_sub_nc_u16 v172, v174, v178
	v_lshrrev_b32_e32 v174, 16, v166
	v_sub_nc_u16 v47, v47, v177
	v_lshrrev_b16 v177, 8, v166
	v_lshlrev_b16 v172, 8, v172
	v_lshlrev_b16 v47, 8, v47
	v_or_b32_sdwa v165, v165, v172 dst_sel:DWORD dst_unused:UNUSED_PAD src0_sel:BYTE_0 src1_sel:DWORD
	v_sub_nc_u16 v172, v173, v175
	v_lshrrev_b32_e32 v175, 24, v166
	v_or_b32_sdwa v47, v172, v47 dst_sel:WORD_1 dst_unused:UNUSED_PAD src0_sel:BYTE_0 src1_sel:DWORD
	v_or_b32_sdwa v172, v165, v47 dst_sel:DWORD dst_unused:UNUSED_PAD src0_sel:WORD_0 src1_sel:DWORD
	v_ashrrev_i32_e32 v47, s15, v48
	v_dot4c_i32_i8 v211, v172, v40
	v_and_b32_e32 v48, 0x3030303, v47
	v_bfe_u32 v47, v47, 24, 2
	v_lshrrev_b16 v173, 8, v48
	v_lshrrev_b32_e32 v165, 16, v48
	v_sub_nc_u16 v48, v48, v166
	v_sub_nc_u16 v47, v47, v175
	;; [unrolled: 1-line block ×4, first 2 shown]
	v_lshlrev_b16 v47, 8, v47
	v_lshlrev_b16 v166, 8, v166
	v_or_b32_sdwa v47, v165, v47 dst_sel:WORD_1 dst_unused:UNUSED_PAD src0_sel:BYTE_0 src1_sel:DWORD
	v_or_b32_sdwa v48, v48, v166 dst_sel:DWORD dst_unused:UNUSED_PAD src0_sel:BYTE_0 src1_sel:DWORD
	ds_read2_b32 v[165:166], v176 offset0:4 offset1:5
	v_or_b32_sdwa v173, v48, v47 dst_sel:DWORD dst_unused:UNUSED_PAD src0_sel:WORD_0 src1_sel:DWORD
	ds_read2_b32 v[47:48], v179 offset0:4 offset1:5
	v_dot4c_i32_i8 v211, v173, v41
	s_waitcnt lgkmcnt(1)
	v_ashrrev_i32_e32 v165, s1, v165
	v_ashrrev_i32_e32 v166, s1, v166
	s_waitcnt lgkmcnt(0)
	v_ashrrev_i32_e32 v47, s15, v47
	v_lshlrev_b32_e32 v165, 2, v165
	v_lshlrev_b32_e32 v166, 2, v166
	v_and_b32_e32 v174, 0x3030303, v47
	v_and_b32_e32 v165, 0x4040404, v165
	v_bfe_u32 v47, v47, 24, 2
	v_and_b32_e32 v166, 0x4040404, v166
	v_lshrrev_b16 v177, 8, v174
	v_lshrrev_b16 v181, 8, v165
	v_lshrrev_b32_e32 v175, 16, v174
	v_lshrrev_b32_e32 v178, 16, v165
	;; [unrolled: 1-line block ×3, first 2 shown]
	v_sub_nc_u16 v165, v174, v165
	v_sub_nc_u16 v174, v177, v181
	v_lshrrev_b32_e32 v177, 16, v166
	v_sub_nc_u16 v47, v47, v180
	v_lshrrev_b16 v180, 8, v166
	v_lshlrev_b16 v174, 8, v174
	v_lshlrev_b16 v47, 8, v47
	v_or_b32_sdwa v165, v165, v174 dst_sel:DWORD dst_unused:UNUSED_PAD src0_sel:BYTE_0 src1_sel:DWORD
	v_sub_nc_u16 v174, v175, v178
	v_lshrrev_b32_e32 v178, 24, v166
	v_or_b32_sdwa v47, v174, v47 dst_sel:WORD_1 dst_unused:UNUSED_PAD src0_sel:BYTE_0 src1_sel:DWORD
	v_or_b32_sdwa v174, v165, v47 dst_sel:DWORD dst_unused:UNUSED_PAD src0_sel:WORD_0 src1_sel:DWORD
	v_ashrrev_i32_e32 v47, s15, v48
	v_dot4c_i32_i8 v212, v174, v34
	v_and_b32_e32 v48, 0x3030303, v47
	v_bfe_u32 v47, v47, 24, 2
	v_lshrrev_b16 v175, 8, v48
	v_lshrrev_b32_e32 v165, 16, v48
	v_sub_nc_u16 v48, v48, v166
	v_sub_nc_u16 v47, v47, v178
	;; [unrolled: 1-line block ×4, first 2 shown]
	v_lshlrev_b16 v47, 8, v47
	v_lshlrev_b16 v166, 8, v166
	v_or_b32_sdwa v47, v165, v47 dst_sel:WORD_1 dst_unused:UNUSED_PAD src0_sel:BYTE_0 src1_sel:DWORD
	v_or_b32_sdwa v48, v48, v166 dst_sel:DWORD dst_unused:UNUSED_PAD src0_sel:BYTE_0 src1_sel:DWORD
	ds_read2_b32 v[165:166], v176 offset0:6 offset1:7
	v_or_b32_sdwa v175, v48, v47 dst_sel:DWORD dst_unused:UNUSED_PAD src0_sel:WORD_0 src1_sel:DWORD
	ds_read2_b32 v[47:48], v179 offset0:6 offset1:7
	v_dot4c_i32_i8 v212, v175, v35
	s_waitcnt lgkmcnt(1)
	v_ashrrev_i32_e32 v165, s1, v165
	v_ashrrev_i32_e32 v166, s1, v166
	s_waitcnt lgkmcnt(0)
	v_ashrrev_i32_e32 v47, s15, v47
	v_lshlrev_b32_e32 v165, 2, v165
	v_lshlrev_b32_e32 v166, 2, v166
	v_and_b32_e32 v177, 0x3030303, v47
	v_bfe_u32 v47, v47, 24, 2
	v_and_b32_e32 v165, 0x4040404, v165
	v_and_b32_e32 v166, 0x4040404, v166
	v_lshrrev_b16 v180, 8, v177
	v_lshrrev_b32_e32 v178, 16, v177
	v_lshrrev_b32_e32 v181, 24, v165
	v_lshrrev_b16 v182, 8, v165
	v_lshrrev_b32_e32 v176, 16, v165
	v_sub_nc_u16 v165, v177, v165
	v_sub_nc_u16 v47, v47, v181
	;; [unrolled: 1-line block ×4, first 2 shown]
	v_lshrrev_b32_e32 v180, 24, v166
	v_lshrrev_b16 v181, 8, v166
	v_lshlrev_b16 v47, 8, v47
	v_lshlrev_b16 v177, 8, v177
	v_lshrrev_b32_e32 v178, 16, v166
	v_or_b32_sdwa v47, v176, v47 dst_sel:WORD_1 dst_unused:UNUSED_PAD src0_sel:BYTE_0 src1_sel:DWORD
	v_or_b32_sdwa v165, v165, v177 dst_sel:DWORD dst_unused:UNUSED_PAD src0_sel:BYTE_0 src1_sel:DWORD
	v_or_b32_sdwa v176, v165, v47 dst_sel:DWORD dst_unused:UNUSED_PAD src0_sel:WORD_0 src1_sel:DWORD
	v_ashrrev_i32_e32 v47, s15, v48
	v_dot4c_i32_i8 v212, v176, v36
	v_and_b32_e32 v48, 0x3030303, v47
	v_bfe_u32 v47, v47, 24, 2
	v_lshrrev_b16 v177, 8, v48
	v_lshrrev_b32_e32 v165, 16, v48
	v_sub_nc_u16 v48, v48, v166
	v_sub_nc_u16 v47, v47, v180
	;; [unrolled: 1-line block ×4, first 2 shown]
	ds_read2_b32 v[180:181], v186 offset1:1
	v_lshlrev_b16 v47, 8, v47
	v_lshlrev_b16 v166, 8, v166
	v_or_b32_sdwa v47, v165, v47 dst_sel:WORD_1 dst_unused:UNUSED_PAD src0_sel:BYTE_0 src1_sel:DWORD
	v_lshlrev_b32_e32 v165, 2, v50
	v_or_b32_sdwa v48, v48, v166 dst_sel:DWORD dst_unused:UNUSED_PAD src0_sel:BYTE_0 src1_sel:DWORD
	v_lshlrev_b32_e32 v166, 2, v100
	v_or_b32_sdwa v178, v48, v47 dst_sel:DWORD dst_unused:UNUSED_PAD src0_sel:WORD_0 src1_sel:DWORD
	v_add3_u32 v47, s17, v165, v166
	v_dot4c_i32_i8 v212, v178, v37
	ds_read_b32 v177, v47
	v_add_nc_u32_e32 v47, 0x1080, v179
	s_waitcnt lgkmcnt(1)
	v_ashrrev_i32_e32 v180, s1, v180
	v_ashrrev_i32_e32 v181, s1, v181
	ds_read2_b32 v[47:48], v47 offset1:1
	v_lshlrev_b32_e32 v180, 2, v180
	v_lshlrev_b32_e32 v181, 2, v181
	v_and_b32_e32 v180, 0x4040404, v180
	v_and_b32_e32 v181, 0x4040404, v181
	v_lshrrev_b16 v188, 8, v180
	v_lshrrev_b32_e32 v185, 16, v180
	v_lshrrev_b32_e32 v187, 24, v180
	s_waitcnt lgkmcnt(0)
	v_ashrrev_i32_e32 v47, s15, v47
	v_and_b32_e32 v182, 0x3030303, v47
	v_bfe_u32 v47, v47, 24, 2
	v_lshrrev_b16 v184, 8, v182
	v_lshrrev_b32_e32 v183, 16, v182
	v_sub_nc_u16 v180, v182, v180
	v_sub_nc_u16 v47, v47, v187
	v_lshrrev_b16 v187, 8, v181
	v_sub_nc_u16 v182, v184, v188
	v_lshrrev_b32_e32 v184, 16, v181
	v_lshlrev_b16 v47, 8, v47
	v_lshlrev_b16 v182, 8, v182
	v_or_b32_sdwa v180, v180, v182 dst_sel:DWORD dst_unused:UNUSED_PAD src0_sel:BYTE_0 src1_sel:DWORD
	v_sub_nc_u16 v182, v183, v185
	v_lshrrev_b32_e32 v185, 24, v181
	v_or_b32_sdwa v47, v182, v47 dst_sel:WORD_1 dst_unused:UNUSED_PAD src0_sel:BYTE_0 src1_sel:DWORD
	v_or_b32_sdwa v180, v180, v47 dst_sel:DWORD dst_unused:UNUSED_PAD src0_sel:WORD_0 src1_sel:DWORD
	v_ashrrev_i32_e32 v47, s15, v48
	v_dot4c_i32_i8 v206, v180, v38
	v_and_b32_e32 v48, 0x3030303, v47
	v_bfe_u32 v47, v47, 24, 2
	v_lshrrev_b16 v183, 8, v48
	v_lshrrev_b32_e32 v182, 16, v48
	v_sub_nc_u16 v48, v48, v181
	v_sub_nc_u16 v47, v47, v185
	v_sub_nc_u16 v181, v183, v187
	v_lshlrev_b16 v47, 8, v47
	v_lshlrev_b16 v181, 8, v181
	v_or_b32_sdwa v48, v48, v181 dst_sel:DWORD dst_unused:UNUSED_PAD src0_sel:BYTE_0 src1_sel:DWORD
	v_sub_nc_u16 v181, v182, v184
	ds_read2_b32 v[182:183], v186 offset0:2 offset1:3
	v_or_b32_sdwa v47, v181, v47 dst_sel:WORD_1 dst_unused:UNUSED_PAD src0_sel:BYTE_0 src1_sel:DWORD
	v_or_b32_sdwa v181, v48, v47 dst_sel:DWORD dst_unused:UNUSED_PAD src0_sel:WORD_0 src1_sel:DWORD
	v_add_nc_u32_e32 v47, 0x1088, v179
	v_dot4c_i32_i8 v206, v181, v39
	ds_read2_b32 v[47:48], v47 offset1:1
	s_waitcnt lgkmcnt(1)
	v_ashrrev_i32_e32 v182, s1, v182
	v_ashrrev_i32_e32 v183, s1, v183
	v_lshlrev_b32_e32 v182, 2, v182
	v_lshlrev_b32_e32 v183, 2, v183
	v_and_b32_e32 v182, 0x4040404, v182
	v_and_b32_e32 v183, 0x4040404, v183
	s_waitcnt lgkmcnt(0)
	v_ashrrev_i32_e32 v47, s15, v47
	v_lshrrev_b16 v190, 8, v182
	v_lshrrev_b32_e32 v188, 16, v182
	v_lshrrev_b32_e32 v189, 24, v182
	v_and_b32_e32 v184, 0x3030303, v47
	v_bfe_u32 v47, v47, 24, 2
	v_lshrrev_b16 v187, 8, v184
	v_lshrrev_b32_e32 v185, 16, v184
	v_sub_nc_u16 v182, v184, v182
	v_sub_nc_u16 v47, v47, v189
	v_lshrrev_b16 v189, 8, v183
	v_sub_nc_u16 v184, v187, v190
	v_lshrrev_b32_e32 v187, 16, v183
	v_lshlrev_b16 v47, 8, v47
	v_lshlrev_b16 v184, 8, v184
	v_or_b32_sdwa v182, v182, v184 dst_sel:DWORD dst_unused:UNUSED_PAD src0_sel:BYTE_0 src1_sel:DWORD
	v_sub_nc_u16 v184, v185, v188
	v_lshrrev_b32_e32 v188, 24, v183
	v_or_b32_sdwa v47, v184, v47 dst_sel:WORD_1 dst_unused:UNUSED_PAD src0_sel:BYTE_0 src1_sel:DWORD
	v_or_b32_sdwa v182, v182, v47 dst_sel:DWORD dst_unused:UNUSED_PAD src0_sel:WORD_0 src1_sel:DWORD
	v_ashrrev_i32_e32 v47, s15, v48
	v_dot4c_i32_i8 v206, v182, v40
	v_and_b32_e32 v48, 0x3030303, v47
	v_bfe_u32 v47, v47, 24, 2
	v_lshrrev_b16 v185, 8, v48
	v_lshrrev_b32_e32 v184, 16, v48
	v_sub_nc_u16 v48, v48, v183
	v_sub_nc_u16 v47, v47, v188
	v_sub_nc_u16 v183, v185, v189
	v_lshlrev_b16 v47, 8, v47
	v_lshlrev_b16 v183, 8, v183
	v_or_b32_sdwa v48, v48, v183 dst_sel:DWORD dst_unused:UNUSED_PAD src0_sel:BYTE_0 src1_sel:DWORD
	v_sub_nc_u16 v183, v184, v187
	ds_read2_b32 v[184:185], v186 offset0:4 offset1:5
	v_or_b32_sdwa v47, v183, v47 dst_sel:WORD_1 dst_unused:UNUSED_PAD src0_sel:BYTE_0 src1_sel:DWORD
	v_or_b32_sdwa v183, v48, v47 dst_sel:DWORD dst_unused:UNUSED_PAD src0_sel:WORD_0 src1_sel:DWORD
	v_add_nc_u32_e32 v47, 0x1090, v179
	v_dot4c_i32_i8 v206, v183, v41
	ds_read2_b32 v[47:48], v47 offset1:1
	s_waitcnt lgkmcnt(1)
	v_ashrrev_i32_e32 v184, s1, v184
	v_ashrrev_i32_e32 v185, s1, v185
	v_lshlrev_b32_e32 v184, 2, v184
	v_lshlrev_b32_e32 v185, 2, v185
	v_and_b32_e32 v184, 0x4040404, v184
	v_and_b32_e32 v185, 0x4040404, v185
	s_waitcnt lgkmcnt(0)
	v_ashrrev_i32_e32 v47, s15, v47
	v_lshrrev_b16 v192, 8, v184
	v_lshrrev_b32_e32 v190, 16, v184
	v_lshrrev_b32_e32 v191, 24, v184
	;; [unrolled: 47-line block ×3, first 2 shown]
	v_and_b32_e32 v188, 0x3030303, v47
	v_bfe_u32 v47, v47, 24, 2
	v_lshrrev_b16 v190, 8, v188
	v_lshrrev_b32_e32 v189, 16, v188
	v_sub_nc_u16 v186, v188, v186
	v_sub_nc_u16 v47, v47, v192
	v_lshrrev_b16 v192, 8, v187
	v_sub_nc_u16 v188, v190, v193
	v_lshrrev_b32_e32 v190, 16, v187
	v_lshlrev_b16 v47, 8, v47
	v_lshlrev_b16 v188, 8, v188
	v_or_b32_sdwa v186, v186, v188 dst_sel:DWORD dst_unused:UNUSED_PAD src0_sel:BYTE_0 src1_sel:DWORD
	v_sub_nc_u16 v188, v189, v191
	v_lshrrev_b32_e32 v191, 24, v187
	v_or_b32_sdwa v47, v188, v47 dst_sel:WORD_1 dst_unused:UNUSED_PAD src0_sel:BYTE_0 src1_sel:DWORD
	v_or_b32_sdwa v186, v186, v47 dst_sel:DWORD dst_unused:UNUSED_PAD src0_sel:WORD_0 src1_sel:DWORD
	v_ashrrev_i32_e32 v47, s15, v48
	v_dot4c_i32_i8 v208, v186, v36
	v_and_b32_e32 v48, 0x3030303, v47
	v_bfe_u32 v47, v47, 24, 2
	v_lshrrev_b16 v189, 8, v48
	v_lshrrev_b32_e32 v188, 16, v48
	v_sub_nc_u16 v48, v48, v187
	v_sub_nc_u16 v47, v47, v191
	;; [unrolled: 1-line block ×3, first 2 shown]
	v_lshlrev_b16 v47, 8, v47
	v_lshlrev_b16 v187, 8, v187
	v_or_b32_sdwa v48, v48, v187 dst_sel:DWORD dst_unused:UNUSED_PAD src0_sel:BYTE_0 src1_sel:DWORD
	v_sub_nc_u16 v187, v188, v190
	ds_read2_b32 v[189:190], v195 offset1:1
	v_or_b32_sdwa v47, v187, v47 dst_sel:WORD_1 dst_unused:UNUSED_PAD src0_sel:BYTE_0 src1_sel:DWORD
	v_or_b32_sdwa v188, v48, v47 dst_sel:DWORD dst_unused:UNUSED_PAD src0_sel:WORD_0 src1_sel:DWORD
	v_add3_u32 v47, s17, v159, v120
	v_dot4c_i32_i8 v208, v188, v37
	ds_read_b32 v187, v47
	v_add_nc_u32_e32 v47, 0x2100, v179
	s_waitcnt lgkmcnt(1)
	v_ashrrev_i32_e32 v189, s1, v189
	ds_read2_b32 v[47:48], v47 offset1:1
	v_ashrrev_i32_e32 v190, s1, v190
	v_lshlrev_b32_e32 v189, 2, v189
	v_lshlrev_b32_e32 v190, 2, v190
	v_and_b32_e32 v189, 0x4040404, v189
	v_and_b32_e32 v190, 0x4040404, v190
	v_lshrrev_b16 v197, 8, v189
	v_lshrrev_b32_e32 v194, 16, v189
	v_lshrrev_b32_e32 v196, 24, v189
	s_waitcnt lgkmcnt(0)
	v_ashrrev_i32_e32 v47, s15, v47
	v_and_b32_e32 v191, 0x3030303, v47
	v_bfe_u32 v47, v47, 24, 2
	v_lshrrev_b16 v193, 8, v191
	v_lshrrev_b32_e32 v192, 16, v191
	v_sub_nc_u16 v189, v191, v189
	v_sub_nc_u16 v47, v47, v196
	v_lshrrev_b16 v196, 8, v190
	v_sub_nc_u16 v191, v193, v197
	v_lshrrev_b32_e32 v193, 16, v190
	v_lshlrev_b16 v47, 8, v47
	v_lshlrev_b16 v191, 8, v191
	v_or_b32_sdwa v189, v189, v191 dst_sel:DWORD dst_unused:UNUSED_PAD src0_sel:BYTE_0 src1_sel:DWORD
	v_sub_nc_u16 v191, v192, v194
	v_lshrrev_b32_e32 v194, 24, v190
	v_or_b32_sdwa v47, v191, v47 dst_sel:WORD_1 dst_unused:UNUSED_PAD src0_sel:BYTE_0 src1_sel:DWORD
	v_or_b32_sdwa v189, v189, v47 dst_sel:DWORD dst_unused:UNUSED_PAD src0_sel:WORD_0 src1_sel:DWORD
	v_ashrrev_i32_e32 v47, s15, v48
	v_dot4c_i32_i8 v213, v189, v38
	v_and_b32_e32 v48, 0x3030303, v47
	v_bfe_u32 v47, v47, 24, 2
	v_lshrrev_b16 v192, 8, v48
	v_lshrrev_b32_e32 v191, 16, v48
	v_sub_nc_u16 v48, v48, v190
	v_sub_nc_u16 v47, v47, v194
	v_sub_nc_u16 v190, v192, v196
	v_lshlrev_b16 v47, 8, v47
	v_lshlrev_b16 v190, 8, v190
	v_or_b32_sdwa v48, v48, v190 dst_sel:DWORD dst_unused:UNUSED_PAD src0_sel:BYTE_0 src1_sel:DWORD
	v_sub_nc_u16 v190, v191, v193
	ds_read2_b32 v[191:192], v195 offset0:2 offset1:3
	v_or_b32_sdwa v47, v190, v47 dst_sel:WORD_1 dst_unused:UNUSED_PAD src0_sel:BYTE_0 src1_sel:DWORD
	v_or_b32_sdwa v190, v48, v47 dst_sel:DWORD dst_unused:UNUSED_PAD src0_sel:WORD_0 src1_sel:DWORD
	v_add_nc_u32_e32 v47, 0x2108, v179
	v_dot4c_i32_i8 v213, v190, v39
	ds_read2_b32 v[47:48], v47 offset1:1
	s_waitcnt lgkmcnt(1)
	v_ashrrev_i32_e32 v191, s1, v191
	v_ashrrev_i32_e32 v192, s1, v192
	v_lshlrev_b32_e32 v191, 2, v191
	v_lshlrev_b32_e32 v192, 2, v192
	v_and_b32_e32 v191, 0x4040404, v191
	v_and_b32_e32 v192, 0x4040404, v192
	s_waitcnt lgkmcnt(0)
	v_ashrrev_i32_e32 v47, s15, v47
	v_lshrrev_b16 v199, 8, v191
	v_lshrrev_b32_e32 v197, 16, v191
	v_lshrrev_b32_e32 v198, 24, v191
	v_and_b32_e32 v193, 0x3030303, v47
	v_bfe_u32 v47, v47, 24, 2
	v_lshrrev_b16 v196, 8, v193
	v_lshrrev_b32_e32 v194, 16, v193
	v_sub_nc_u16 v191, v193, v191
	v_sub_nc_u16 v47, v47, v198
	v_lshrrev_b16 v198, 8, v192
	v_sub_nc_u16 v193, v196, v199
	v_lshrrev_b32_e32 v196, 16, v192
	v_lshlrev_b16 v47, 8, v47
	v_lshlrev_b16 v193, 8, v193
	v_or_b32_sdwa v191, v191, v193 dst_sel:DWORD dst_unused:UNUSED_PAD src0_sel:BYTE_0 src1_sel:DWORD
	v_sub_nc_u16 v193, v194, v197
	v_lshrrev_b32_e32 v197, 24, v192
	v_or_b32_sdwa v47, v193, v47 dst_sel:WORD_1 dst_unused:UNUSED_PAD src0_sel:BYTE_0 src1_sel:DWORD
	v_or_b32_sdwa v191, v191, v47 dst_sel:DWORD dst_unused:UNUSED_PAD src0_sel:WORD_0 src1_sel:DWORD
	v_ashrrev_i32_e32 v47, s15, v48
	v_dot4c_i32_i8 v213, v191, v40
	v_and_b32_e32 v48, 0x3030303, v47
	v_bfe_u32 v47, v47, 24, 2
	v_lshrrev_b16 v194, 8, v48
	v_lshrrev_b32_e32 v193, 16, v48
	v_sub_nc_u16 v48, v48, v192
	v_sub_nc_u16 v47, v47, v197
	v_sub_nc_u16 v192, v194, v198
	v_lshlrev_b16 v47, 8, v47
	v_lshlrev_b16 v192, 8, v192
	v_or_b32_sdwa v48, v48, v192 dst_sel:DWORD dst_unused:UNUSED_PAD src0_sel:BYTE_0 src1_sel:DWORD
	v_sub_nc_u16 v192, v193, v196
	ds_read2_b32 v[193:194], v195 offset0:4 offset1:5
	v_or_b32_sdwa v47, v192, v47 dst_sel:WORD_1 dst_unused:UNUSED_PAD src0_sel:BYTE_0 src1_sel:DWORD
	v_or_b32_sdwa v192, v48, v47 dst_sel:DWORD dst_unused:UNUSED_PAD src0_sel:WORD_0 src1_sel:DWORD
	v_add_nc_u32_e32 v47, 0x2110, v179
	v_dot4c_i32_i8 v213, v192, v41
	ds_read2_b32 v[47:48], v47 offset1:1
	s_waitcnt lgkmcnt(1)
	v_ashrrev_i32_e32 v193, s1, v193
	v_ashrrev_i32_e32 v194, s1, v194
	v_lshlrev_b32_e32 v193, 2, v193
	v_lshlrev_b32_e32 v194, 2, v194
	v_and_b32_e32 v193, 0x4040404, v193
	v_and_b32_e32 v194, 0x4040404, v194
	s_waitcnt lgkmcnt(0)
	v_ashrrev_i32_e32 v47, s15, v47
	v_lshrrev_b16 v201, 8, v193
	v_lshrrev_b32_e32 v199, 16, v193
	v_lshrrev_b32_e32 v200, 24, v193
	;; [unrolled: 47-line block ×3, first 2 shown]
	v_and_b32_e32 v197, 0x3030303, v47
	v_bfe_u32 v47, v47, 24, 2
	v_lshrrev_b16 v199, 8, v197
	v_lshrrev_b32_e32 v198, 16, v197
	v_sub_nc_u16 v195, v197, v195
	v_sub_nc_u16 v47, v47, v201
	v_lshrrev_b16 v201, 8, v196
	v_sub_nc_u16 v197, v199, v202
	v_lshrrev_b32_e32 v199, 16, v196
	v_lshlrev_b16 v47, 8, v47
	v_lshlrev_b16 v197, 8, v197
	v_or_b32_sdwa v195, v195, v197 dst_sel:DWORD dst_unused:UNUSED_PAD src0_sel:BYTE_0 src1_sel:DWORD
	v_sub_nc_u16 v197, v198, v200
	v_lshrrev_b32_e32 v200, 24, v196
	v_or_b32_sdwa v47, v197, v47 dst_sel:WORD_1 dst_unused:UNUSED_PAD src0_sel:BYTE_0 src1_sel:DWORD
	v_or_b32_sdwa v195, v195, v47 dst_sel:DWORD dst_unused:UNUSED_PAD src0_sel:WORD_0 src1_sel:DWORD
	v_ashrrev_i32_e32 v47, s15, v48
	v_dot4c_i32_i8 v215, v195, v36
	v_and_b32_e32 v48, 0x3030303, v47
	v_bfe_u32 v47, v47, 24, 2
	v_lshrrev_b16 v198, 8, v48
	v_lshrrev_b32_e32 v197, 16, v48
	v_sub_nc_u16 v48, v48, v196
	v_sub_nc_u16 v47, v47, v200
	;; [unrolled: 1-line block ×3, first 2 shown]
	v_add3_u32 v201, s18, v162, v123
	v_lshlrev_b16 v47, 8, v47
	v_lshlrev_b16 v196, 8, v196
	ds_read2_b32 v[202:203], v201 offset1:1
	v_or_b32_sdwa v48, v48, v196 dst_sel:DWORD dst_unused:UNUSED_PAD src0_sel:BYTE_0 src1_sel:DWORD
	v_sub_nc_u16 v196, v197, v199
	v_or_b32_sdwa v47, v196, v47 dst_sel:WORD_1 dst_unused:UNUSED_PAD src0_sel:BYTE_0 src1_sel:DWORD
	v_or_b32_sdwa v197, v48, v47 dst_sel:DWORD dst_unused:UNUSED_PAD src0_sel:WORD_0 src1_sel:DWORD
	v_add3_u32 v47, s17, v161, v122
	v_dot4c_i32_i8 v215, v197, v37
	ds_read_b32 v196, v47
	v_add_nc_u32_e32 v47, 0x3180, v179
	s_waitcnt lgkmcnt(1)
	v_ashrrev_i32_e32 v202, s1, v202
	ds_read2_b32 v[47:48], v47 offset1:1
	v_lshlrev_b32_e32 v202, 2, v202
	v_and_b32_e32 v202, 0x4040404, v202
	v_lshrrev_b32_e32 v205, 24, v202
	v_lshrrev_b16 v210, 8, v202
	v_lshrrev_b32_e32 v204, 16, v202
	s_waitcnt lgkmcnt(0)
	v_ashrrev_i32_e32 v198, s15, v47
	v_and_b32_e32 v199, 0x3030303, v198
	v_bfe_u32 v198, v198, 24, 2
	v_lshrrev_b16 v200, 8, v199
	v_lshrrev_b32_e32 v47, 16, v199
	v_sub_nc_u16 v198, v198, v205
	v_sub_nc_u16 v199, v199, v202
	v_sub_nc_u16 v200, v200, v210
	v_sub_nc_u16 v47, v47, v204
	v_lshlrev_b16 v198, 8, v198
	v_lshlrev_b16 v200, 8, v200
	v_or_b32_sdwa v47, v47, v198 dst_sel:WORD_1 dst_unused:UNUSED_PAD src0_sel:BYTE_0 src1_sel:DWORD
	v_or_b32_sdwa v199, v199, v200 dst_sel:DWORD dst_unused:UNUSED_PAD src0_sel:BYTE_0 src1_sel:DWORD
	v_ashrrev_i32_e32 v200, s1, v203
	v_or_b32_sdwa v202, v199, v47 dst_sel:DWORD dst_unused:UNUSED_PAD src0_sel:WORD_0 src1_sel:DWORD
	v_ashrrev_i32_e32 v47, s15, v48
	v_lshlrev_b32_e32 v200, 2, v200
	v_and_b32_e32 v48, 0x3030303, v47
	v_and_b32_e32 v200, 0x4040404, v200
	v_bfe_u32 v47, v47, 24, 2
	v_lshrrev_b16 v199, 8, v48
	v_lshrrev_b32_e32 v204, 24, v200
	v_lshrrev_b16 v205, 8, v200
	v_lshrrev_b32_e32 v198, 16, v48
	v_lshrrev_b32_e32 v203, 16, v200
	v_sub_nc_u16 v48, v48, v200
	v_sub_nc_u16 v47, v47, v204
	;; [unrolled: 1-line block ×4, first 2 shown]
	v_lshlrev_b16 v47, 8, v47
	v_lshlrev_b16 v199, 8, v199
	v_or_b32_sdwa v47, v198, v47 dst_sel:WORD_1 dst_unused:UNUSED_PAD src0_sel:BYTE_0 src1_sel:DWORD
	v_or_b32_sdwa v48, v48, v199 dst_sel:DWORD dst_unused:UNUSED_PAD src0_sel:BYTE_0 src1_sel:DWORD
	ds_read2_b32 v[198:199], v201 offset0:2 offset1:3
	v_or_b32_sdwa v203, v48, v47 dst_sel:DWORD dst_unused:UNUSED_PAD src0_sel:WORD_0 src1_sel:DWORD
	v_add_nc_u32_e32 v47, 0x3188, v179
	ds_read2_b32 v[47:48], v47 offset1:1
	s_waitcnt lgkmcnt(1)
	v_ashrrev_i32_e32 v198, s1, v198
	v_ashrrev_i32_e32 v199, s1, v199
	v_lshlrev_b32_e32 v198, 2, v198
	v_lshlrev_b32_e32 v199, 2, v199
	s_waitcnt lgkmcnt(0)
	v_ashrrev_i32_e32 v47, s15, v47
	v_and_b32_e32 v198, 0x4040404, v198
	v_and_b32_e32 v199, 0x4040404, v199
	;; [unrolled: 1-line block ×3, first 2 shown]
	v_lshrrev_b16 v217, 8, v198
	v_bfe_u32 v47, v47, 24, 2
	v_lshrrev_b32_e32 v210, 16, v198
	v_lshrrev_b32_e32 v216, 24, v198
	v_lshrrev_b16 v205, 8, v200
	v_lshrrev_b32_e32 v204, 16, v200
	v_sub_nc_u16 v198, v200, v198
	v_sub_nc_u16 v47, v47, v216
	;; [unrolled: 1-line block ×3, first 2 shown]
	v_lshrrev_b16 v216, 8, v199
	v_lshrrev_b32_e32 v205, 16, v199
	v_lshlrev_b16 v47, 8, v47
	v_lshlrev_b16 v200, 8, v200
	v_or_b32_sdwa v198, v198, v200 dst_sel:DWORD dst_unused:UNUSED_PAD src0_sel:BYTE_0 src1_sel:DWORD
	v_sub_nc_u16 v200, v204, v210
	v_lshrrev_b32_e32 v210, 24, v199
	v_or_b32_sdwa v47, v200, v47 dst_sel:WORD_1 dst_unused:UNUSED_PAD src0_sel:BYTE_0 src1_sel:DWORD
	v_or_b32_sdwa v204, v198, v47 dst_sel:DWORD dst_unused:UNUSED_PAD src0_sel:WORD_0 src1_sel:DWORD
	v_ashrrev_i32_e32 v47, s15, v48
	v_and_b32_e32 v48, 0x3030303, v47
	v_bfe_u32 v47, v47, 24, 2
	v_lshrrev_b16 v200, 8, v48
	v_lshrrev_b32_e32 v198, 16, v48
	v_sub_nc_u16 v48, v48, v199
	v_sub_nc_u16 v47, v47, v210
	;; [unrolled: 1-line block ×4, first 2 shown]
	v_lshlrev_b16 v47, 8, v47
	v_lshlrev_b16 v199, 8, v199
	v_or_b32_sdwa v47, v198, v47 dst_sel:WORD_1 dst_unused:UNUSED_PAD src0_sel:BYTE_0 src1_sel:DWORD
	v_or_b32_sdwa v48, v48, v199 dst_sel:DWORD dst_unused:UNUSED_PAD src0_sel:BYTE_0 src1_sel:DWORD
	ds_read2_b32 v[199:200], v201 offset0:4 offset1:5
	v_or_b32_sdwa v205, v48, v47 dst_sel:DWORD dst_unused:UNUSED_PAD src0_sel:WORD_0 src1_sel:DWORD
	v_add_nc_u32_e32 v47, 0x3190, v179
	ds_read2_b32 v[47:48], v47 offset1:1
	s_waitcnt lgkmcnt(1)
	v_ashrrev_i32_e32 v199, s1, v199
	v_ashrrev_i32_e32 v200, s1, v200
	v_lshlrev_b32_e32 v199, 2, v199
	v_lshlrev_b32_e32 v200, 2, v200
	s_waitcnt lgkmcnt(0)
	v_ashrrev_i32_e32 v47, s15, v47
	v_and_b32_e32 v199, 0x4040404, v199
	v_and_b32_e32 v200, 0x4040404, v200
	;; [unrolled: 1-line block ×3, first 2 shown]
	v_lshrrev_b16 v219, 8, v199
	v_bfe_u32 v47, v47, 24, 2
	v_lshrrev_b32_e32 v217, 16, v199
	v_lshrrev_b32_e32 v218, 24, v199
	v_lshrrev_b16 v216, 8, v198
	v_lshrrev_b32_e32 v210, 16, v198
	v_sub_nc_u16 v198, v198, v199
	v_sub_nc_u16 v47, v47, v218
	;; [unrolled: 1-line block ×3, first 2 shown]
	v_lshrrev_b16 v218, 8, v200
	v_lshrrev_b32_e32 v216, 16, v200
	v_lshlrev_b16 v47, 8, v47
	v_lshlrev_b16 v199, 8, v199
	v_or_b32_sdwa v198, v198, v199 dst_sel:DWORD dst_unused:UNUSED_PAD src0_sel:BYTE_0 src1_sel:DWORD
	v_sub_nc_u16 v199, v210, v217
	v_lshrrev_b32_e32 v217, 24, v200
	v_or_b32_sdwa v47, v199, v47 dst_sel:WORD_1 dst_unused:UNUSED_PAD src0_sel:BYTE_0 src1_sel:DWORD
	v_or_b32_sdwa v199, v198, v47 dst_sel:DWORD dst_unused:UNUSED_PAD src0_sel:WORD_0 src1_sel:DWORD
	v_ashrrev_i32_e32 v47, s15, v48
	v_and_b32_e32 v48, 0x3030303, v47
	v_bfe_u32 v47, v47, 24, 2
	v_lshrrev_b16 v210, 8, v48
	v_lshrrev_b32_e32 v198, 16, v48
	v_sub_nc_u16 v48, v48, v200
	v_sub_nc_u16 v47, v47, v217
	;; [unrolled: 1-line block ×4, first 2 shown]
	v_lshlrev_b16 v47, 8, v47
	v_lshlrev_b16 v200, 8, v200
	v_or_b32_sdwa v47, v198, v47 dst_sel:WORD_1 dst_unused:UNUSED_PAD src0_sel:BYTE_0 src1_sel:DWORD
	v_or_b32_sdwa v48, v48, v200 dst_sel:DWORD dst_unused:UNUSED_PAD src0_sel:BYTE_0 src1_sel:DWORD
	ds_read2_b32 v[200:201], v201 offset0:6 offset1:7
	v_or_b32_sdwa v198, v48, v47 dst_sel:DWORD dst_unused:UNUSED_PAD src0_sel:WORD_0 src1_sel:DWORD
	v_add_nc_u32_e32 v47, 0x3198, v179
	ds_read2_b32 v[47:48], v47 offset1:1
	s_waitcnt lgkmcnt(1)
	v_ashrrev_i32_e32 v200, s1, v200
	v_ashrrev_i32_e32 v201, s1, v201
	s_add_i32 s1, s1, 1
	s_cmp_lt_u32 s15, 6
	v_lshlrev_b32_e32 v200, 2, v200
	v_lshlrev_b32_e32 v201, 2, v201
	s_waitcnt lgkmcnt(0)
	v_ashrrev_i32_e32 v47, s15, v47
	v_and_b32_e32 v200, 0x4040404, v200
	v_and_b32_e32 v201, 0x4040404, v201
	;; [unrolled: 1-line block ×3, first 2 shown]
	v_bfe_u32 v47, v47, 24, 2
	v_lshrrev_b16 v219, 8, v200
	v_lshrrev_b32_e32 v217, 16, v200
	v_lshrrev_b32_e32 v218, 24, v200
	v_lshrrev_b16 v216, 8, v179
	v_lshrrev_b32_e32 v210, 16, v179
	v_sub_nc_u16 v179, v179, v200
	v_sub_nc_u16 v47, v47, v218
	;; [unrolled: 1-line block ×3, first 2 shown]
	v_lshrrev_b32_e32 v216, 16, v201
	v_lshrrev_b16 v218, 8, v201
	v_mov_b32_e32 v219, 0
	v_lshlrev_b16 v47, 8, v47
	v_lshlrev_b16 v200, 8, v200
	v_or_b32_sdwa v179, v179, v200 dst_sel:DWORD dst_unused:UNUSED_PAD src0_sel:BYTE_0 src1_sel:DWORD
	v_sub_nc_u16 v200, v210, v217
	v_lshrrev_b32_e32 v217, 24, v201
	v_or_b32_sdwa v47, v200, v47 dst_sel:WORD_1 dst_unused:UNUSED_PAD src0_sel:BYTE_0 src1_sel:DWORD
	v_or_b32_sdwa v200, v179, v47 dst_sel:DWORD dst_unused:UNUSED_PAD src0_sel:WORD_0 src1_sel:DWORD
	v_ashrrev_i32_e32 v47, s15, v48
	v_and_b32_e32 v48, 0x3030303, v47
	v_bfe_u32 v47, v47, 24, 2
	v_lshrrev_b32_e32 v179, 16, v48
	v_lshrrev_b16 v210, 8, v48
	v_sub_nc_u16 v48, v48, v201
	v_sub_nc_u16 v47, v47, v217
	v_add_nc_u32_e32 v217, s16, v135
	v_sub_nc_u16 v179, v179, v216
	v_sub_nc_u16 v201, v210, v218
	v_mov_b32_e32 v216, 0
	v_mov_b32_e32 v218, 0
	v_lshlrev_b16 v47, 8, v47
	s_mov_b32 s16, s15
	v_lshlrev_b16 v201, 8, v201
	v_dot4c_i32_i8 v216, v202, v38
	v_dot4c_i32_i8 v218, v199, v34
	v_or_b32_sdwa v47, v179, v47 dst_sel:WORD_1 dst_unused:UNUSED_PAD src0_sel:BYTE_0 src1_sel:DWORD
	v_or_b32_sdwa v48, v48, v201 dst_sel:DWORD dst_unused:UNUSED_PAD src0_sel:BYTE_0 src1_sel:DWORD
	v_dot4c_i32_i8 v216, v203, v39
	v_dot4c_i32_i8 v218, v198, v35
	v_or_b32_sdwa v201, v48, v47 dst_sel:DWORD dst_unused:UNUSED_PAD src0_sel:WORD_0 src1_sel:DWORD
	v_add3_u32 v47, s17, v163, v124
	v_dot4c_i32_i8 v216, v204, v40
	v_dot4c_i32_i8 v218, v200, v36
	ds_read_b32 v179, v47
	v_dot4c_i32_i8 v216, v205, v41
	v_dot4c_i32_i8 v218, v201, v37
	ds_read_b128 v[34:37], v168 offset:1024
	ds_read_b128 v[38:41], v168 offset:1040
	s_waitcnt lgkmcnt(1)
	v_dot4c_i32_i8 v231, v170, v34
	s_waitcnt lgkmcnt(0)
	v_dot4c_i32_i8 v236, v174, v38
	v_dot4c_i32_i8 v226, v180, v34
	;; [unrolled: 1-line block ×31, first 2 shown]
	ds_read2_b32 v[47:48], v169 offset0:64 offset1:96
	ds_read_b128 v[34:37], v168 offset:2048
	ds_read_b128 v[38:41], v168 offset:2064
	s_waitcnt lgkmcnt(1)
	v_dot4c_i32_i8 v234, v170, v34
	s_waitcnt lgkmcnt(0)
	v_dot4c_i32_i8 v233, v174, v38
	v_dot4c_i32_i8 v229, v180, v34
	v_dot4c_i32_i8 v230, v184, v38
	v_dot4c_i32_i8 v227, v189, v34
	v_dot4c_i32_i8 v228, v193, v38
	v_dot4c_i32_i8 v221, v202, v34
	v_dot4c_i32_i8 v222, v199, v38
	v_dot4c_i32_i8 v234, v171, v35
	v_dot4c_i32_i8 v233, v175, v39
	v_dot4c_i32_i8 v229, v181, v35
	v_dot4c_i32_i8 v230, v185, v39
	v_dot4c_i32_i8 v227, v190, v35
	v_dot4c_i32_i8 v228, v194, v39
	v_dot4c_i32_i8 v221, v203, v35
	v_dot4c_i32_i8 v222, v198, v39
	v_dot4c_i32_i8 v234, v172, v36
	v_dot4c_i32_i8 v233, v176, v40
	v_dot4c_i32_i8 v229, v182, v36
	v_dot4c_i32_i8 v230, v186, v40
	v_dot4c_i32_i8 v227, v191, v36
	v_dot4c_i32_i8 v228, v195, v40
	v_dot4c_i32_i8 v221, v204, v36
	v_dot4c_i32_i8 v222, v200, v40
	v_dot4c_i32_i8 v234, v173, v37
	v_dot4c_i32_i8 v233, v178, v41
	v_dot4c_i32_i8 v229, v183, v37
	v_dot4c_i32_i8 v230, v188, v41
	v_dot4c_i32_i8 v227, v192, v37
	v_dot4c_i32_i8 v228, v197, v41
	v_dot4c_i32_i8 v221, v205, v37
	v_dot4c_i32_i8 v222, v201, v41
	ds_read_b128 v[38:41], v168 offset:3072
	ds_read_b128 v[34:37], v168 offset:3088
	ds_read_u16 v210, v209 offset:2
	ds_read_u16 v207, v207 offset:2
	s_waitcnt lgkmcnt(3)
	v_dot4c_i32_i8 v232, v170, v38
	s_waitcnt lgkmcnt(2)
	v_dot4c_i32_i8 v235, v174, v34
	s_waitcnt lgkmcnt(1)
	v_lshrrev_b16 v209, 8, v210
	v_bfe_i32 v210, v210, 0, 8
	v_dot4c_i32_i8 v232, v171, v39
	v_dot4c_i32_i8 v235, v175, v35
	v_bfe_i32 v209, v209, 0, 8
	v_mul_lo_u32 v231, v231, v210
	v_dot4c_i32_i8 v232, v172, v40
	v_dot4c_i32_i8 v235, v176, v36
	v_mul_lo_u32 v233, v233, v209
	v_mul_lo_u32 v212, v212, v209
	v_dot4c_i32_i8 v232, v173, v41
	v_dot4c_i32_i8 v235, v178, v37
	v_mul_lo_u32 v232, v232, v210
	v_mad_u64_u32 v[233:234], null, v234, v210, v[233:234]
	v_mad_u64_u32 v[211:212], null, v211, v210, v[212:213]
	v_mul_f32_e32 v212, v177, v46
	v_mad_u64_u32 v[234:235], null, v235, v209, v[232:233]
                                        ; kill: def $vgpr232 killed $sgpr0 killed $exec
	v_cvt_f32_i32_e32 v211, v211
	v_mad_u64_u32 v[231:232], null, v236, v209, v[231:232]
	v_mul_f32_e32 v232, v177, v45
	v_mul_f32_e32 v236, v177, v47
	;; [unrolled: 1-line block ×3, first 2 shown]
	v_cvt_f32_i32_e32 v234, v234
	v_cvt_f32_i32_e32 v233, v233
	v_fma_f32 v3, v232, v211, v3
	v_cvt_f32_i32_e32 v231, v231
	v_mov_b32_e32 v232, 0
	s_waitcnt lgkmcnt(0)
	v_lshrrev_b16 v211, 8, v207
	v_fma_f32 v5, v236, v233, v5
	v_fma_f32 v4, v235, v234, v4
	v_fmac_f32_e32 v2, v212, v231
	v_mov_b32_e32 v231, 0
	v_dot4c_i32_i8 v232, v184, v34
	v_bfe_i32 v211, v211, 0, 8
	v_bfe_i32 v212, v207, 0, 8
	v_mov_b32_e32 v233, 0
	v_dot4c_i32_i8 v231, v180, v38
	v_dot4c_i32_i8 v232, v185, v35
	v_mul_lo_u32 v230, v230, v211
	v_mul_lo_u32 v207, v226, v212
	;; [unrolled: 1-line block ×3, first 2 shown]
	v_dot4c_i32_i8 v231, v181, v39
	v_dot4c_i32_i8 v232, v186, v36
	v_mov_b32_e32 v234, 0
	v_mov_b32_e32 v235, 0
	;; [unrolled: 1-line block ×3, first 2 shown]
	v_dot4c_i32_i8 v231, v182, v40
	v_dot4c_i32_i8 v232, v188, v37
	;; [unrolled: 1-line block ×3, first 2 shown]
	v_mul_lo_u32 v226, v231, v212
                                        ; kill: def $vgpr231 killed $sgpr0 killed $exec
	v_mad_u64_u32 v[229:230], null, v229, v212, v[230:231]
	v_mad_u64_u32 v[230:231], null, v232, v211, v[226:227]
	;; [unrolled: 1-line block ×4, first 2 shown]
	v_mul_f32_e32 v207, v187, v46
	v_mul_f32_e32 v225, v187, v48
	v_cvt_f32_i32_e32 v230, v230
	v_mul_f32_e32 v226, v187, v47
	v_cvt_f32_i32_e32 v229, v229
	v_mul_f32_e32 v208, v187, v45
	v_cvt_f32_i32_e32 v206, v206
	v_fma_f32 v32, v225, v230, v32
	v_mov_b32_e32 v225, 0
	v_fma_f32 v33, v226, v229, v33
	v_mov_b32_e32 v226, 0
	v_fmac_f32_e32 v30, v207, v206
	ds_read_u16 v206, v214 offset:2
	v_dot4c_i32_i8 v225, v189, v38
	v_cvt_f32_i32_e32 v231, v231
	v_dot4c_i32_i8 v226, v193, v34
	v_mov_b32_e32 v229, 0
	v_mov_b32_e32 v230, 0
	v_dot4c_i32_i8 v225, v190, v39
	v_fma_f32 v31, v208, v231, v31
	v_dot4c_i32_i8 v226, v194, v35
	v_mov_b32_e32 v231, 0
	v_mov_b32_e32 v232, 0
	v_dot4c_i32_i8 v225, v191, v40
	v_dot4c_i32_i8 v226, v195, v36
	;; [unrolled: 1-line block ×4, first 2 shown]
	s_waitcnt lgkmcnt(0)
	v_lshrrev_b16 v207, 8, v206
	v_bfe_i32 v214, v206, 0, 8
	v_bfe_i32 v208, v207, 0, 8
	v_mul_lo_u32 v206, v224, v214
	v_mul_lo_u32 v224, v228, v208
	;; [unrolled: 1-line block ×4, first 2 shown]
                                        ; kill: def $vgpr225 killed $sgpr0 killed $exec
	v_mad_u64_u32 v[224:225], null, v227, v214, v[224:225]
	v_mad_u64_u32 v[225:226], null, v226, v208, v[215:216]
	;; [unrolled: 1-line block ×3, first 2 shown]
	v_mul_f32_e32 v213, v196, v45
                                        ; kill: def $vgpr207 killed $sgpr0 killed $exec
	v_mul_f32_e32 v215, v196, v48
	v_mad_u64_u32 v[206:207], null, v223, v208, v[206:207]
	v_mul_f32_e32 v207, v196, v46
	v_mul_f32_e32 v223, v196, v47
	v_cvt_f32_i32_e32 v226, v226
	v_cvt_f32_i32_e32 v225, v225
	;; [unrolled: 1-line block ×4, first 2 shown]
	v_fma_f32 v27, v213, v226, v27
	v_mov_b32_e32 v213, 0
	v_fma_f32 v28, v215, v225, v28
	v_fma_f32 v29, v223, v224, v29
	v_fmac_f32_e32 v26, v207, v206
	v_mov_b32_e32 v223, 0
	v_dot4c_i32_i8 v213, v202, v38
                                        ; kill: def $vgpr38 killed $sgpr0 killed $exec
	v_mov_b32_e32 v224, 0
	v_mov_b32_e32 v215, 0
	v_dot4c_i32_i8 v213, v203, v39
	v_mov_b32_e32 v39, 0
	v_dot4c_i32_i8 v213, v204, v40
	v_dot4c_i32_i8 v39, v199, v34
	ds_read_u16 v34, v217 offset:2
	v_mov_b32_e32 v217, 0
	v_dot4c_i32_i8 v213, v205, v41
	v_dot4c_i32_i8 v39, v198, v35
	v_mul_f32_e32 v41, v179, v47
	v_mov_b32_e32 v47, 0
	v_dot4c_i32_i8 v39, v200, v36
	v_dot4c_i32_i8 v39, v201, v37
	s_waitcnt lgkmcnt(0)
	v_lshrrev_b16 v35, 8, v34
	v_bfe_i32 v207, v34, 0, 8
	v_bfe_i32 v206, v35, 0, 8
	v_mul_lo_u32 v36, v213, v207
	v_mul_lo_u32 v34, v220, v207
	v_mov_b32_e32 v213, 0
	v_mov_b32_e32 v220, 0
	v_mul_lo_u32 v37, v222, v206
	v_mul_lo_u32 v35, v218, v206
	v_mov_b32_e32 v218, 0
	v_mov_b32_e32 v222, 0
	v_mad_u64_u32 v[37:38], null, v221, v207, v[37:38]
	v_mov_b32_e32 v221, 0
	v_mad_u64_u32 v[38:39], null, v39, v206, v[36:37]
                                        ; kill: def $vgpr36 killed $sgpr0 killed $exec
	v_cvt_f32_i32_e32 v37, v37
	v_mad_u64_u32 v[35:36], null, v216, v207, v[35:36]
	v_mul_f32_e32 v36, v179, v45
	v_mov_b32_e32 v216, 0
	v_fma_f32 v25, v41, v37, v25
	v_cvt_f32_i32_e32 v38, v38
	v_mad_u64_u32 v[39:40], null, v219, v206, v[34:35]
	v_mul_f32_e32 v34, v179, v46
	v_mul_f32_e32 v40, v179, v48
	v_cvt_f32_i32_e32 v35, v35
	v_mov_b32_e32 v219, 0
	v_mov_b32_e32 v48, 0
	v_cvt_f32_i32_e32 v39, v39
	v_fma_f32 v24, v40, v38, v24
	v_fma_f32 v23, v36, v35, v23
	v_fmac_f32_e32 v22, v34, v39
	ds_read2_b32 v[45:46], v169 offset0:128 offset1:160
	ds_read_b128 v[38:41], v168 offset:4096
	ds_read_b128 v[34:37], v168 offset:4112
	s_waitcnt lgkmcnt(1)
	v_dot4c_i32_i8 v213, v170, v38
	v_dot4c_i32_i8 v217, v180, v38
	;; [unrolled: 1-line block ×4, first 2 shown]
	s_waitcnt lgkmcnt(0)
	v_dot4c_i32_i8 v221, v174, v34
	v_dot4c_i32_i8 v213, v171, v39
	;; [unrolled: 1-line block ×10, first 2 shown]
	v_mov_b32_e32 v40, 0
	v_dot4c_i32_i8 v219, v193, v34
	v_dot4c_i32_i8 v221, v175, v35
	;; [unrolled: 1-line block ×17, first 2 shown]
	v_mov_b32_e32 v41, 0
	v_dot4c_i32_i8 v40, v201, v37
	ds_read_b128 v[34:37], v168 offset:5120
	ds_read_b128 v[225:228], v168 offset:5136
	s_waitcnt lgkmcnt(1)
	v_dot4c_i32_i8 v229, v170, v34
	s_waitcnt lgkmcnt(0)
	v_dot4c_i32_i8 v230, v174, v225
	v_dot4c_i32_i8 v223, v180, v34
	;; [unrolled: 1-line block ×31, first 2 shown]
	ds_read2_b32 v[38:39], v169 offset0:192 offset1:224
	ds_read_b128 v[34:37], v168 offset:6144
	ds_read_b128 v[225:228], v168 offset:6160
	v_add_nc_u32_e32 v169, 4, v169
	v_mul_lo_u32 v41, v41, v207
	s_waitcnt lgkmcnt(1)
	v_dot4c_i32_i8 v232, v170, v34
	s_waitcnt lgkmcnt(0)
	v_dot4c_i32_i8 v233, v174, v225
	v_dot4c_i32_i8 v234, v180, v34
	;; [unrolled: 1-line block ×31, first 2 shown]
	ds_read_b128 v[225:228], v168 offset:7168
	ds_read_b128 v[34:37], v168 offset:7184
	v_add_nc_u32_e32 v168, 32, v168
	s_waitcnt lgkmcnt(1)
	v_dot4c_i32_i8 v238, v170, v225
	s_waitcnt lgkmcnt(0)
	v_dot4c_i32_i8 v239, v174, v34
                                        ; kill: def $vgpr174 killed $sgpr0 killed $exec
	v_mul_lo_u32 v170, v229, v210
	v_dot4c_i32_i8 v238, v171, v226
	v_dot4c_i32_i8 v239, v175, v35
	v_mul_lo_u32 v171, v221, v209
	v_dot4c_i32_i8 v238, v172, v227
	v_dot4c_i32_i8 v239, v176, v36
	v_dot4c_i32_i8 v238, v173, v228
	v_mul_lo_u32 v173, v233, v209
	v_dot4c_i32_i8 v239, v178, v37
	v_mul_lo_u32 v172, v238, v210
	v_mad_u64_u32 v[173:174], null, v232, v210, v[173:174]
	v_mad_u64_u32 v[174:175], null, v239, v209, v[172:173]
                                        ; kill: def $vgpr172 killed $sgpr0 killed $exec
	v_cvt_f32_i32_e32 v173, v173
	v_mad_u64_u32 v[171:172], null, v213, v210, v[171:172]
	v_mul_f32_e32 v172, v177, v45
	v_cvt_f32_i32_e32 v174, v174
	v_mad_u64_u32 v[175:176], null, v230, v209, v[170:171]
	v_cvt_f32_i32_e32 v171, v171
	v_mul_f32_e32 v170, v177, v46
	v_mul_f32_e32 v176, v177, v39
	;; [unrolled: 1-line block ×3, first 2 shown]
	v_fma_f32 v19, v172, v171, v19
	v_mov_b32_e32 v172, 0
	v_cvt_f32_i32_e32 v175, v175
	v_fma_f32 v21, v177, v173, v21
	v_mul_lo_u32 v173, v235, v211
	v_fma_f32 v20, v176, v174, v20
	v_dot4c_i32_i8 v172, v180, v225
	v_fmac_f32_e32 v18, v170, v175
	v_mov_b32_e32 v175, 0
                                        ; kill: def $vgpr174 killed $sgpr0 killed $exec
	v_mul_lo_u32 v171, v220, v211
	v_mul_lo_u32 v170, v223, v212
	v_dot4c_i32_i8 v172, v181, v226
	v_mad_u64_u32 v[173:174], null, v234, v212, v[173:174]
	v_dot4c_i32_i8 v175, v184, v34
	v_mul_f32_e32 v177, v187, v38
	v_dot4c_i32_i8 v172, v182, v227
	v_dot4c_i32_i8 v175, v185, v35
	;; [unrolled: 1-line block ×4, first 2 shown]
	v_mul_lo_u32 v172, v172, v212
	v_dot4c_i32_i8 v175, v188, v37
	v_mad_u64_u32 v[174:175], null, v175, v211, v[172:173]
                                        ; kill: def $vgpr172 killed $sgpr0 killed $exec
	v_cvt_f32_i32_e32 v173, v173
	v_mad_u64_u32 v[171:172], null, v217, v212, v[171:172]
	v_mul_f32_e32 v172, v187, v45
	v_fma_f32 v17, v177, v173, v17
	v_mul_lo_u32 v173, v237, v208
	v_cvt_f32_i32_e32 v174, v174
	v_mul_f32_e32 v177, v196, v38
	v_mad_u64_u32 v[175:176], null, v231, v211, v[170:171]
	v_cvt_f32_i32_e32 v171, v171
	v_mul_f32_e32 v170, v187, v46
	v_mul_f32_e32 v176, v187, v39
	v_fma_f32 v15, v172, v171, v15
	v_mov_b32_e32 v172, 0
	v_cvt_f32_i32_e32 v175, v175
	v_fma_f32 v16, v176, v174, v16
                                        ; kill: def $vgpr174 killed $sgpr0 killed $exec
	v_mul_lo_u32 v171, v219, v208
	v_mad_u64_u32 v[173:174], null, v236, v214, v[173:174]
	v_dot4c_i32_i8 v172, v189, v225
	v_fmac_f32_e32 v14, v170, v175
	v_mov_b32_e32 v175, 0
	v_mul_lo_u32 v170, v224, v214
	v_dot4c_i32_i8 v172, v190, v226
	v_dot4c_i32_i8 v175, v193, v34
	;; [unrolled: 1-line block ×6, first 2 shown]
	v_mul_lo_u32 v172, v172, v214
	v_dot4c_i32_i8 v175, v197, v37
	v_mad_u64_u32 v[174:175], null, v175, v208, v[172:173]
                                        ; kill: def $vgpr172 killed $sgpr0 killed $exec
	v_cvt_f32_i32_e32 v173, v173
	v_mad_u64_u32 v[171:172], null, v218, v214, v[171:172]
	v_mul_f32_e32 v172, v196, v45
	v_fma_f32 v13, v177, v173, v13
	v_cvt_f32_i32_e32 v174, v174
	v_mad_u64_u32 v[175:176], null, v222, v208, v[170:171]
	v_mul_f32_e32 v170, v196, v46
	v_cvt_f32_i32_e32 v171, v171
	v_mul_f32_e32 v176, v196, v39
	v_mul_f32_e32 v39, v179, v39
	v_cvt_f32_i32_e32 v175, v175
	v_fma_f32 v11, v172, v171, v11
	v_mov_b32_e32 v171, 0
	v_fma_f32 v12, v176, v174, v12
	v_fmac_f32_e32 v10, v170, v175
	v_mov_b32_e32 v170, 0
	v_dot4c_i32_i8 v171, v199, v34
	v_mul_lo_u32 v34, v216, v206
	v_dot4c_i32_i8 v170, v202, v225
	v_dot4c_i32_i8 v171, v198, v35
                                        ; kill: def $vgpr35 killed $sgpr0 killed $exec
	v_dot4c_i32_i8 v170, v203, v226
	v_dot4c_i32_i8 v171, v200, v36
	v_mad_u64_u32 v[34:35], null, v215, v207, v[34:35]
	v_dot4c_i32_i8 v170, v204, v227
	v_dot4c_i32_i8 v171, v201, v37
	v_mul_lo_u32 v37, v40, v206
	v_mad_u64_u32 v[40:41], null, v48, v206, v[41:42]
	v_dot4c_i32_i8 v170, v205, v228
	v_mul_f32_e32 v41, v179, v45
	v_cvt_f32_i32_e32 v34, v34
	v_mul_lo_u32 v36, v170, v207
	v_cvt_f32_i32_e32 v40, v40
	v_mad_u64_u32 v[35:36], null, v171, v206, v[36:37]
	v_mad_u64_u32 v[36:37], null, v47, v207, v[37:38]
	v_mul_f32_e32 v37, v179, v46
	v_mul_f32_e32 v38, v179, v38
	v_cvt_f32_i32_e32 v35, v35
	v_fmac_f32_e32 v6, v37, v40
	v_cvt_f32_i32_e32 v36, v36
	v_fma_f32 v9, v38, v34, v9
	v_fma_f32 v8, v39, v35, v8
	;; [unrolled: 1-line block ×3, first 2 shown]
	s_cbranch_scc1 .LBB129_7
; %bb.8:                                ;   in Loop: Header=BB129_6 Depth=1
	v_add_nc_u32_e32 v168, s0, v125
	v_add_nc_u32_e32 v47, 4, v167
	s_barrier
	buffer_gl0_inv
	v_add_nc_u32_e32 v34, v168, v109
	v_add_nc_u32_e32 v36, v168, v110
	;; [unrolled: 1-line block ×5, first 2 shown]
	v_mad_u64_u32 v[47:48], null, v47, 36, s[2:3]
	v_mad_i64_i32 v[34:35], null, v34, 36, v[43:44]
	v_add_nc_u32_e32 v169, v168, v114
	v_mad_i64_i32 v[36:37], null, v36, 36, v[43:44]
	v_add_nc_u32_e32 v170, v168, v115
	;; [unrolled: 2-line block ×3, first 2 shown]
	v_mad_i64_i32 v[40:41], null, v40, 36, v[43:44]
	v_mad_i64_i32 v[45:46], null, v45, 36, v[43:44]
	;; [unrolled: 1-line block ×5, first 2 shown]
	s_clause 0x8
	global_load_dword v47, v[47:48], off
	global_load_dword v34, v[34:35], off offset:4
	global_load_dword v35, v[36:37], off offset:4
	;; [unrolled: 1-line block ×8, first 2 shown]
	v_mov_b32_e32 v168, v137
	v_mov_b32_e32 v169, v136
	s_mov_b32 s1, 4
	s_mov_b32 s14, 8
	;; [unrolled: 1-line block ×3, first 2 shown]
	s_waitcnt vmcnt(8)
	v_cvt_f32_f16_e32 v45, v47
	s_waitcnt vmcnt(7)
	ds_write_b32 v150, v34
	s_waitcnt vmcnt(6)
	ds_write_b32 v151, v35
	;; [unrolled: 2-line block ×8, first 2 shown]
	ds_write_b32 v108, v45
	s_waitcnt lgkmcnt(0)
	s_barrier
	buffer_gl0_inv
.LBB129_9:                              ;   Parent Loop BB129_6 Depth=1
                                        ; =>  This Inner Loop Header: Depth=2
	s_add_i32 s15, s17, 2
	ds_read2_b32 v[45:46], v169 offset1:32
	ds_read_b128 v[38:41], v168
	ds_read_b128 v[34:37], v168 offset:16
	s_lshr_b32 s20, s15, 4
	s_and_b32 s19, s15, 0x3ffffff8
	s_add_i32 s16, s17, -6
	v_lshl_add_u32 v197, s19, 2, v117
	s_lshl_b32 s19, s20, 5
	s_and_b32 s18, s14, -16
	s_addk_i32 s19, 0x4200
	s_add_i32 s17, s17, s18
	v_add3_u32 v176, s19, v164, v118
	ds_read2_b32 v[47:48], v197 offset1:1
	s_lshl_b32 s18, s20, 2
	v_add3_u32 v184, s19, v158, v119
	s_add_i32 s18, s18, 0x9380
	ds_read2_b32 v[170:171], v176 offset1:1
	v_add3_u32 v194, s19, v160, v121
	v_mov_b32_e32 v206, 0
	v_mov_b32_e32 v209, 0
	;; [unrolled: 1-line block ×14, first 2 shown]
	s_waitcnt lgkmcnt(1)
	v_ashrrev_i32_e32 v47, s16, v47
	v_mov_b32_e32 v233, 0
	v_mov_b32_e32 v229, 0
	;; [unrolled: 1-line block ×3, first 2 shown]
	s_waitcnt lgkmcnt(0)
	v_ashrrev_i32_e32 v170, s1, v170
	v_and_b32_e32 v172, 0x3030303, v47
	v_bfe_u32 v47, v47, 24, 2
	v_ashrrev_i32_e32 v171, s1, v171
	v_mov_b32_e32 v227, 0
	v_lshlrev_b32_e32 v170, 2, v170
	v_lshrrev_b16 v174, 8, v172
	v_lshrrev_b32_e32 v173, 16, v172
	v_lshlrev_b32_e32 v171, 2, v171
	v_mov_b32_e32 v228, 0
	v_and_b32_e32 v170, 0x4040404, v170
	v_mov_b32_e32 v221, 0
	v_mov_b32_e32 v222, 0
	v_and_b32_e32 v171, 0x4040404, v171
	v_add_nc_u32_e32 v208, s17, v128
	v_lshrrev_b16 v178, 8, v170
	v_lshrrev_b32_e32 v175, 16, v170
	v_lshrrev_b32_e32 v177, 24, v170
	v_sub_nc_u16 v170, v172, v170
	v_mov_b32_e32 v232, 0
	v_sub_nc_u16 v172, v174, v178
	v_lshrrev_b32_e32 v174, 16, v171
	v_sub_nc_u16 v47, v47, v177
	v_lshrrev_b16 v177, 8, v171
	v_mov_b32_e32 v235, 0
	v_lshlrev_b16 v172, 8, v172
	v_add_nc_u32_e32 v210, s17, v129
	v_lshlrev_b16 v47, 8, v47
	v_add_nc_u32_e32 v213, s17, v130
	v_mov_b32_e32 v238, 0
	v_or_b32_sdwa v170, v170, v172 dst_sel:DWORD dst_unused:UNUSED_PAD src0_sel:BYTE_0 src1_sel:DWORD
	v_sub_nc_u16 v172, v173, v175
	v_lshrrev_b32_e32 v175, 24, v171
	v_mov_b32_e32 v239, 0
	s_add_i32 s14, s14, 2
	v_or_b32_sdwa v47, v172, v47 dst_sel:WORD_1 dst_unused:UNUSED_PAD src0_sel:BYTE_0 src1_sel:DWORD
	v_or_b32_sdwa v170, v170, v47 dst_sel:DWORD dst_unused:UNUSED_PAD src0_sel:WORD_0 src1_sel:DWORD
	v_ashrrev_i32_e32 v47, s16, v48
	v_dot4c_i32_i8 v206, v170, v38
	v_and_b32_e32 v48, 0x3030303, v47
	v_bfe_u32 v47, v47, 24, 2
	v_lshrrev_b16 v173, 8, v48
	v_lshrrev_b32_e32 v172, 16, v48
	v_sub_nc_u16 v48, v48, v171
	v_sub_nc_u16 v47, v47, v175
	v_sub_nc_u16 v171, v173, v177
	v_lshlrev_b16 v47, 8, v47
	v_lshlrev_b16 v171, 8, v171
	v_or_b32_sdwa v48, v48, v171 dst_sel:DWORD dst_unused:UNUSED_PAD src0_sel:BYTE_0 src1_sel:DWORD
	v_sub_nc_u16 v171, v172, v174
	ds_read2_b32 v[172:173], v176 offset0:2 offset1:3
	v_or_b32_sdwa v47, v171, v47 dst_sel:WORD_1 dst_unused:UNUSED_PAD src0_sel:BYTE_0 src1_sel:DWORD
	v_or_b32_sdwa v171, v48, v47 dst_sel:DWORD dst_unused:UNUSED_PAD src0_sel:WORD_0 src1_sel:DWORD
	ds_read2_b32 v[47:48], v197 offset0:2 offset1:3
	v_dot4c_i32_i8 v206, v171, v39
	s_waitcnt lgkmcnt(1)
	v_ashrrev_i32_e32 v172, s1, v172
	v_ashrrev_i32_e32 v173, s1, v173
	v_lshlrev_b32_e32 v172, 2, v172
	v_lshlrev_b32_e32 v173, 2, v173
	s_waitcnt lgkmcnt(0)
	v_ashrrev_i32_e32 v47, s16, v47
	v_and_b32_e32 v172, 0x4040404, v172
	v_and_b32_e32 v173, 0x4040404, v173
	v_and_b32_e32 v174, 0x3030303, v47
	v_bfe_u32 v47, v47, 24, 2
	v_lshrrev_b16 v180, 8, v172
	v_lshrrev_b32_e32 v178, 16, v172
	v_lshrrev_b32_e32 v179, 24, v172
	v_lshrrev_b16 v177, 8, v174
	v_lshrrev_b32_e32 v175, 16, v174
	v_sub_nc_u16 v172, v174, v172
	v_sub_nc_u16 v47, v47, v179
	v_sub_nc_u16 v174, v177, v180
	v_lshrrev_b16 v179, 8, v173
	v_lshrrev_b32_e32 v177, 16, v173
	v_lshlrev_b16 v47, 8, v47
	v_lshlrev_b16 v174, 8, v174
	v_or_b32_sdwa v172, v172, v174 dst_sel:DWORD dst_unused:UNUSED_PAD src0_sel:BYTE_0 src1_sel:DWORD
	v_sub_nc_u16 v174, v175, v178
	v_lshrrev_b32_e32 v178, 24, v173
	v_or_b32_sdwa v47, v174, v47 dst_sel:WORD_1 dst_unused:UNUSED_PAD src0_sel:BYTE_0 src1_sel:DWORD
	v_or_b32_sdwa v172, v172, v47 dst_sel:DWORD dst_unused:UNUSED_PAD src0_sel:WORD_0 src1_sel:DWORD
	v_ashrrev_i32_e32 v47, s16, v48
	v_dot4c_i32_i8 v206, v172, v40
	v_and_b32_e32 v48, 0x3030303, v47
	v_bfe_u32 v47, v47, 24, 2
	v_lshrrev_b16 v175, 8, v48
	v_lshrrev_b32_e32 v174, 16, v48
	v_sub_nc_u16 v48, v48, v173
	v_sub_nc_u16 v47, v47, v178
	v_sub_nc_u16 v173, v175, v179
	v_lshlrev_b16 v47, 8, v47
	v_lshlrev_b16 v173, 8, v173
	v_or_b32_sdwa v48, v48, v173 dst_sel:DWORD dst_unused:UNUSED_PAD src0_sel:BYTE_0 src1_sel:DWORD
	v_sub_nc_u16 v173, v174, v177
	ds_read2_b32 v[174:175], v176 offset0:4 offset1:5
	v_or_b32_sdwa v47, v173, v47 dst_sel:WORD_1 dst_unused:UNUSED_PAD src0_sel:BYTE_0 src1_sel:DWORD
	v_or_b32_sdwa v173, v48, v47 dst_sel:DWORD dst_unused:UNUSED_PAD src0_sel:WORD_0 src1_sel:DWORD
	ds_read2_b32 v[47:48], v197 offset0:4 offset1:5
	v_dot4c_i32_i8 v206, v173, v41
	s_waitcnt lgkmcnt(1)
	v_ashrrev_i32_e32 v174, s1, v174
	v_ashrrev_i32_e32 v175, s1, v175
	v_lshlrev_b32_e32 v174, 2, v174
	v_lshlrev_b32_e32 v175, 2, v175
	s_waitcnt lgkmcnt(0)
	v_ashrrev_i32_e32 v47, s16, v47
	v_and_b32_e32 v174, 0x4040404, v174
	v_and_b32_e32 v175, 0x4040404, v175
	v_and_b32_e32 v177, 0x3030303, v47
	v_bfe_u32 v47, v47, 24, 2
	v_lshrrev_b16 v182, 8, v174
	v_lshrrev_b32_e32 v180, 16, v174
	v_lshrrev_b32_e32 v181, 24, v174
	v_lshrrev_b16 v179, 8, v177
	v_lshrrev_b32_e32 v178, 16, v177
	v_sub_nc_u16 v174, v177, v174
	v_sub_nc_u16 v47, v47, v181
	v_sub_nc_u16 v177, v179, v182
	v_lshrrev_b16 v181, 8, v175
	v_lshrrev_b32_e32 v179, 16, v175
	v_lshlrev_b16 v47, 8, v47
	v_lshlrev_b16 v177, 8, v177
	v_or_b32_sdwa v174, v174, v177 dst_sel:DWORD dst_unused:UNUSED_PAD src0_sel:BYTE_0 src1_sel:DWORD
	v_sub_nc_u16 v177, v178, v180
	v_lshrrev_b32_e32 v180, 24, v175
	;; [unrolled: 46-line block ×3, first 2 shown]
	v_or_b32_sdwa v47, v178, v47 dst_sel:WORD_1 dst_unused:UNUSED_PAD src0_sel:BYTE_0 src1_sel:DWORD
	v_or_b32_sdwa v176, v176, v47 dst_sel:DWORD dst_unused:UNUSED_PAD src0_sel:WORD_0 src1_sel:DWORD
	v_ashrrev_i32_e32 v47, s16, v48
	v_dot4c_i32_i8 v209, v176, v36
	v_and_b32_e32 v48, 0x3030303, v47
	v_bfe_u32 v47, v47, 24, 2
	v_lshrrev_b16 v179, 8, v48
	v_lshrrev_b32_e32 v178, 16, v48
	v_sub_nc_u16 v48, v48, v177
	v_sub_nc_u16 v47, v47, v181
	;; [unrolled: 1-line block ×3, first 2 shown]
	v_lshlrev_b16 v47, 8, v47
	v_lshlrev_b16 v177, 8, v177
	v_or_b32_sdwa v48, v48, v177 dst_sel:DWORD dst_unused:UNUSED_PAD src0_sel:BYTE_0 src1_sel:DWORD
	v_sub_nc_u16 v177, v178, v180
	ds_read2_b32 v[179:180], v184 offset1:1
	v_or_b32_sdwa v47, v177, v47 dst_sel:WORD_1 dst_unused:UNUSED_PAD src0_sel:BYTE_0 src1_sel:DWORD
	v_or_b32_sdwa v178, v48, v47 dst_sel:DWORD dst_unused:UNUSED_PAD src0_sel:WORD_0 src1_sel:DWORD
	v_add3_u32 v47, s18, v165, v166
	v_dot4c_i32_i8 v209, v178, v37
	ds_read_b32 v177, v47
	v_add_nc_u32_e32 v47, 0x1080, v197
	s_waitcnt lgkmcnt(1)
	v_ashrrev_i32_e32 v179, s1, v179
	ds_read2_b32 v[47:48], v47 offset1:1
	v_ashrrev_i32_e32 v180, s1, v180
	v_lshlrev_b32_e32 v179, 2, v179
	v_lshlrev_b32_e32 v180, 2, v180
	v_and_b32_e32 v179, 0x4040404, v179
	v_and_b32_e32 v180, 0x4040404, v180
	v_lshrrev_b16 v187, 8, v179
	v_lshrrev_b32_e32 v185, 16, v179
	v_lshrrev_b32_e32 v186, 24, v179
	s_waitcnt lgkmcnt(0)
	v_ashrrev_i32_e32 v47, s16, v47
	v_and_b32_e32 v181, 0x3030303, v47
	v_bfe_u32 v47, v47, 24, 2
	v_lshrrev_b16 v183, 8, v181
	v_lshrrev_b32_e32 v182, 16, v181
	v_sub_nc_u16 v179, v181, v179
	v_sub_nc_u16 v47, v47, v186
	v_lshrrev_b16 v186, 8, v180
	v_sub_nc_u16 v181, v183, v187
	v_lshrrev_b32_e32 v183, 16, v180
	v_lshlrev_b16 v47, 8, v47
	v_lshlrev_b16 v181, 8, v181
	v_or_b32_sdwa v179, v179, v181 dst_sel:DWORD dst_unused:UNUSED_PAD src0_sel:BYTE_0 src1_sel:DWORD
	v_sub_nc_u16 v181, v182, v185
	v_lshrrev_b32_e32 v185, 24, v180
	v_or_b32_sdwa v47, v181, v47 dst_sel:WORD_1 dst_unused:UNUSED_PAD src0_sel:BYTE_0 src1_sel:DWORD
	v_or_b32_sdwa v181, v179, v47 dst_sel:DWORD dst_unused:UNUSED_PAD src0_sel:WORD_0 src1_sel:DWORD
	v_ashrrev_i32_e32 v47, s16, v48
	v_dot4c_i32_i8 v207, v181, v38
	v_and_b32_e32 v48, 0x3030303, v47
	v_bfe_u32 v47, v47, 24, 2
	v_lshrrev_b16 v182, 8, v48
	v_lshrrev_b32_e32 v179, 16, v48
	v_sub_nc_u16 v48, v48, v180
	v_sub_nc_u16 v47, v47, v185
	;; [unrolled: 1-line block ×4, first 2 shown]
	v_lshlrev_b16 v47, 8, v47
	v_lshlrev_b16 v180, 8, v180
	v_or_b32_sdwa v47, v179, v47 dst_sel:WORD_1 dst_unused:UNUSED_PAD src0_sel:BYTE_0 src1_sel:DWORD
	v_or_b32_sdwa v48, v48, v180 dst_sel:DWORD dst_unused:UNUSED_PAD src0_sel:BYTE_0 src1_sel:DWORD
	ds_read2_b32 v[179:180], v184 offset0:2 offset1:3
	v_or_b32_sdwa v182, v48, v47 dst_sel:DWORD dst_unused:UNUSED_PAD src0_sel:WORD_0 src1_sel:DWORD
	v_add_nc_u32_e32 v47, 0x1088, v197
	v_dot4c_i32_i8 v207, v182, v39
	ds_read2_b32 v[47:48], v47 offset1:1
	s_waitcnt lgkmcnt(1)
	v_ashrrev_i32_e32 v179, s1, v179
	v_ashrrev_i32_e32 v180, s1, v180
	v_lshlrev_b32_e32 v179, 2, v179
	v_lshlrev_b32_e32 v180, 2, v180
	s_waitcnt lgkmcnt(0)
	v_ashrrev_i32_e32 v47, s16, v47
	v_and_b32_e32 v179, 0x4040404, v179
	v_and_b32_e32 v180, 0x4040404, v180
	;; [unrolled: 1-line block ×3, first 2 shown]
	v_bfe_u32 v47, v47, 24, 2
	v_lshrrev_b16 v189, 8, v179
	v_lshrrev_b32_e32 v187, 16, v179
	v_lshrrev_b32_e32 v188, 24, v179
	v_lshrrev_b16 v186, 8, v183
	v_lshrrev_b32_e32 v185, 16, v183
	v_sub_nc_u16 v179, v183, v179
	v_sub_nc_u16 v47, v47, v188
	;; [unrolled: 1-line block ×3, first 2 shown]
	v_lshrrev_b16 v188, 8, v180
	v_lshrrev_b32_e32 v186, 16, v180
	v_lshlrev_b16 v47, 8, v47
	v_lshlrev_b16 v183, 8, v183
	v_or_b32_sdwa v179, v179, v183 dst_sel:DWORD dst_unused:UNUSED_PAD src0_sel:BYTE_0 src1_sel:DWORD
	v_sub_nc_u16 v183, v185, v187
	v_lshrrev_b32_e32 v187, 24, v180
	v_or_b32_sdwa v47, v183, v47 dst_sel:WORD_1 dst_unused:UNUSED_PAD src0_sel:BYTE_0 src1_sel:DWORD
	v_or_b32_sdwa v185, v179, v47 dst_sel:DWORD dst_unused:UNUSED_PAD src0_sel:WORD_0 src1_sel:DWORD
	v_ashrrev_i32_e32 v47, s16, v48
	v_dot4c_i32_i8 v207, v185, v40
	v_and_b32_e32 v48, 0x3030303, v47
	v_bfe_u32 v47, v47, 24, 2
	v_lshrrev_b16 v183, 8, v48
	v_lshrrev_b32_e32 v179, 16, v48
	v_sub_nc_u16 v48, v48, v180
	v_sub_nc_u16 v47, v47, v187
	;; [unrolled: 1-line block ×4, first 2 shown]
	v_lshlrev_b16 v47, 8, v47
	v_lshlrev_b16 v180, 8, v180
	v_or_b32_sdwa v47, v179, v47 dst_sel:WORD_1 dst_unused:UNUSED_PAD src0_sel:BYTE_0 src1_sel:DWORD
	v_or_b32_sdwa v48, v48, v180 dst_sel:DWORD dst_unused:UNUSED_PAD src0_sel:BYTE_0 src1_sel:DWORD
	ds_read2_b32 v[179:180], v184 offset0:4 offset1:5
	v_or_b32_sdwa v187, v48, v47 dst_sel:DWORD dst_unused:UNUSED_PAD src0_sel:WORD_0 src1_sel:DWORD
	v_add_nc_u32_e32 v47, 0x1090, v197
	v_dot4c_i32_i8 v207, v187, v41
	ds_read2_b32 v[47:48], v47 offset1:1
	s_waitcnt lgkmcnt(1)
	v_ashrrev_i32_e32 v179, s1, v179
	v_ashrrev_i32_e32 v180, s1, v180
	v_lshlrev_b32_e32 v179, 2, v179
	v_lshlrev_b32_e32 v180, 2, v180
	s_waitcnt lgkmcnt(0)
	v_ashrrev_i32_e32 v47, s16, v47
	v_and_b32_e32 v179, 0x4040404, v179
	v_and_b32_e32 v180, 0x4040404, v180
	;; [unrolled: 1-line block ×3, first 2 shown]
	v_bfe_u32 v47, v47, 24, 2
	v_lshrrev_b16 v191, 8, v179
	v_lshrrev_b32_e32 v189, 16, v179
	v_lshrrev_b32_e32 v190, 24, v179
	v_lshrrev_b16 v188, 8, v183
	v_lshrrev_b32_e32 v186, 16, v183
	v_sub_nc_u16 v179, v183, v179
	v_sub_nc_u16 v47, v47, v190
	;; [unrolled: 1-line block ×3, first 2 shown]
	v_lshrrev_b16 v190, 8, v180
	v_lshrrev_b32_e32 v188, 16, v180
	v_lshlrev_b16 v47, 8, v47
	v_lshlrev_b16 v183, 8, v183
	v_or_b32_sdwa v179, v179, v183 dst_sel:DWORD dst_unused:UNUSED_PAD src0_sel:BYTE_0 src1_sel:DWORD
	v_sub_nc_u16 v183, v186, v189
	v_lshrrev_b32_e32 v189, 24, v180
	v_or_b32_sdwa v47, v183, v47 dst_sel:WORD_1 dst_unused:UNUSED_PAD src0_sel:BYTE_0 src1_sel:DWORD
	v_or_b32_sdwa v179, v179, v47 dst_sel:DWORD dst_unused:UNUSED_PAD src0_sel:WORD_0 src1_sel:DWORD
	v_ashrrev_i32_e32 v47, s16, v48
	v_dot4c_i32_i8 v211, v179, v34
	v_and_b32_e32 v48, 0x3030303, v47
	v_bfe_u32 v47, v47, 24, 2
	v_lshrrev_b16 v186, 8, v48
	v_lshrrev_b32_e32 v183, 16, v48
	v_sub_nc_u16 v48, v48, v180
	v_sub_nc_u16 v47, v47, v189
	;; [unrolled: 1-line block ×3, first 2 shown]
	v_lshlrev_b16 v47, 8, v47
	v_lshlrev_b16 v180, 8, v180
	v_or_b32_sdwa v48, v48, v180 dst_sel:DWORD dst_unused:UNUSED_PAD src0_sel:BYTE_0 src1_sel:DWORD
	v_sub_nc_u16 v180, v183, v188
	ds_read2_b32 v[183:184], v184 offset0:6 offset1:7
	v_or_b32_sdwa v47, v180, v47 dst_sel:WORD_1 dst_unused:UNUSED_PAD src0_sel:BYTE_0 src1_sel:DWORD
	v_or_b32_sdwa v180, v48, v47 dst_sel:DWORD dst_unused:UNUSED_PAD src0_sel:WORD_0 src1_sel:DWORD
	v_add_nc_u32_e32 v47, 0x1098, v197
	v_dot4c_i32_i8 v211, v180, v35
	ds_read2_b32 v[47:48], v47 offset1:1
	s_waitcnt lgkmcnt(1)
	v_ashrrev_i32_e32 v183, s1, v183
	v_ashrrev_i32_e32 v184, s1, v184
	v_lshlrev_b32_e32 v183, 2, v183
	v_lshlrev_b32_e32 v184, 2, v184
	v_and_b32_e32 v183, 0x4040404, v183
	v_and_b32_e32 v184, 0x4040404, v184
	s_waitcnt lgkmcnt(0)
	v_ashrrev_i32_e32 v47, s16, v47
	v_lshrrev_b16 v192, 8, v183
	v_lshrrev_b32_e32 v190, 16, v183
	v_lshrrev_b32_e32 v191, 24, v183
	v_and_b32_e32 v186, 0x3030303, v47
	v_bfe_u32 v47, v47, 24, 2
	v_lshrrev_b16 v189, 8, v186
	v_lshrrev_b32_e32 v188, 16, v186
	v_sub_nc_u16 v183, v186, v183
	v_sub_nc_u16 v47, v47, v191
	v_lshrrev_b16 v191, 8, v184
	v_sub_nc_u16 v186, v189, v192
	v_lshrrev_b32_e32 v189, 16, v184
	v_lshlrev_b16 v47, 8, v47
	v_lshlrev_b16 v186, 8, v186
	v_or_b32_sdwa v183, v183, v186 dst_sel:DWORD dst_unused:UNUSED_PAD src0_sel:BYTE_0 src1_sel:DWORD
	v_sub_nc_u16 v186, v188, v190
	v_lshrrev_b32_e32 v190, 24, v184
	v_or_b32_sdwa v47, v186, v47 dst_sel:WORD_1 dst_unused:UNUSED_PAD src0_sel:BYTE_0 src1_sel:DWORD
	v_or_b32_sdwa v183, v183, v47 dst_sel:DWORD dst_unused:UNUSED_PAD src0_sel:WORD_0 src1_sel:DWORD
	v_ashrrev_i32_e32 v47, s16, v48
	v_dot4c_i32_i8 v211, v183, v36
	v_and_b32_e32 v48, 0x3030303, v47
	v_bfe_u32 v47, v47, 24, 2
	v_lshrrev_b16 v188, 8, v48
	v_lshrrev_b32_e32 v186, 16, v48
	v_sub_nc_u16 v48, v48, v184
	v_sub_nc_u16 v47, v47, v190
	;; [unrolled: 1-line block ×3, first 2 shown]
	v_lshlrev_b16 v47, 8, v47
	v_lshlrev_b16 v184, 8, v184
	v_or_b32_sdwa v48, v48, v184 dst_sel:DWORD dst_unused:UNUSED_PAD src0_sel:BYTE_0 src1_sel:DWORD
	v_sub_nc_u16 v184, v186, v189
	ds_read2_b32 v[188:189], v194 offset1:1
	v_or_b32_sdwa v47, v184, v47 dst_sel:WORD_1 dst_unused:UNUSED_PAD src0_sel:BYTE_0 src1_sel:DWORD
	v_or_b32_sdwa v186, v48, v47 dst_sel:DWORD dst_unused:UNUSED_PAD src0_sel:WORD_0 src1_sel:DWORD
	v_add3_u32 v47, s18, v159, v120
	v_dot4c_i32_i8 v211, v186, v37
	ds_read_b32 v184, v47
	v_add_nc_u32_e32 v47, 0x2100, v197
	s_waitcnt lgkmcnt(1)
	v_ashrrev_i32_e32 v188, s1, v188
	ds_read2_b32 v[47:48], v47 offset1:1
	v_ashrrev_i32_e32 v189, s1, v189
	v_lshlrev_b32_e32 v188, 2, v188
	v_lshlrev_b32_e32 v189, 2, v189
	v_and_b32_e32 v188, 0x4040404, v188
	v_and_b32_e32 v189, 0x4040404, v189
	v_lshrrev_b16 v196, 8, v188
	v_lshrrev_b32_e32 v193, 16, v188
	v_lshrrev_b32_e32 v195, 24, v188
	s_waitcnt lgkmcnt(0)
	v_ashrrev_i32_e32 v47, s16, v47
	v_and_b32_e32 v190, 0x3030303, v47
	v_bfe_u32 v47, v47, 24, 2
	v_lshrrev_b16 v192, 8, v190
	v_lshrrev_b32_e32 v191, 16, v190
	v_sub_nc_u16 v188, v190, v188
	v_sub_nc_u16 v47, v47, v195
	v_lshrrev_b16 v195, 8, v189
	v_sub_nc_u16 v190, v192, v196
	v_lshrrev_b32_e32 v192, 16, v189
	v_lshlrev_b16 v47, 8, v47
	v_lshlrev_b16 v190, 8, v190
	v_or_b32_sdwa v188, v188, v190 dst_sel:DWORD dst_unused:UNUSED_PAD src0_sel:BYTE_0 src1_sel:DWORD
	v_sub_nc_u16 v190, v191, v193
	v_lshrrev_b32_e32 v193, 24, v189
	v_or_b32_sdwa v47, v190, v47 dst_sel:WORD_1 dst_unused:UNUSED_PAD src0_sel:BYTE_0 src1_sel:DWORD
	v_or_b32_sdwa v188, v188, v47 dst_sel:DWORD dst_unused:UNUSED_PAD src0_sel:WORD_0 src1_sel:DWORD
	v_ashrrev_i32_e32 v47, s16, v48
	v_dot4c_i32_i8 v212, v188, v38
	v_and_b32_e32 v48, 0x3030303, v47
	v_bfe_u32 v47, v47, 24, 2
	v_lshrrev_b16 v191, 8, v48
	v_lshrrev_b32_e32 v190, 16, v48
	v_sub_nc_u16 v48, v48, v189
	v_sub_nc_u16 v47, v47, v193
	v_sub_nc_u16 v189, v191, v195
	v_lshlrev_b16 v47, 8, v47
	v_lshlrev_b16 v189, 8, v189
	v_or_b32_sdwa v48, v48, v189 dst_sel:DWORD dst_unused:UNUSED_PAD src0_sel:BYTE_0 src1_sel:DWORD
	v_sub_nc_u16 v189, v190, v192
	ds_read2_b32 v[190:191], v194 offset0:2 offset1:3
	v_or_b32_sdwa v47, v189, v47 dst_sel:WORD_1 dst_unused:UNUSED_PAD src0_sel:BYTE_0 src1_sel:DWORD
	v_or_b32_sdwa v189, v48, v47 dst_sel:DWORD dst_unused:UNUSED_PAD src0_sel:WORD_0 src1_sel:DWORD
	v_add_nc_u32_e32 v47, 0x2108, v197
	v_dot4c_i32_i8 v212, v189, v39
	ds_read2_b32 v[47:48], v47 offset1:1
	s_waitcnt lgkmcnt(1)
	v_ashrrev_i32_e32 v190, s1, v190
	v_ashrrev_i32_e32 v191, s1, v191
	v_lshlrev_b32_e32 v190, 2, v190
	v_lshlrev_b32_e32 v191, 2, v191
	v_and_b32_e32 v190, 0x4040404, v190
	v_and_b32_e32 v191, 0x4040404, v191
	s_waitcnt lgkmcnt(0)
	v_ashrrev_i32_e32 v47, s16, v47
	v_lshrrev_b16 v199, 8, v190
	v_lshrrev_b32_e32 v196, 16, v190
	v_lshrrev_b32_e32 v198, 24, v190
	v_and_b32_e32 v192, 0x3030303, v47
	v_bfe_u32 v47, v47, 24, 2
	v_lshrrev_b16 v195, 8, v192
	v_lshrrev_b32_e32 v193, 16, v192
	v_sub_nc_u16 v190, v192, v190
	v_sub_nc_u16 v47, v47, v198
	v_lshrrev_b16 v198, 8, v191
	v_sub_nc_u16 v192, v195, v199
	v_lshrrev_b32_e32 v195, 16, v191
	v_lshlrev_b16 v47, 8, v47
	v_lshlrev_b16 v192, 8, v192
	v_or_b32_sdwa v190, v190, v192 dst_sel:DWORD dst_unused:UNUSED_PAD src0_sel:BYTE_0 src1_sel:DWORD
	v_sub_nc_u16 v192, v193, v196
	v_lshrrev_b32_e32 v196, 24, v191
	v_or_b32_sdwa v47, v192, v47 dst_sel:WORD_1 dst_unused:UNUSED_PAD src0_sel:BYTE_0 src1_sel:DWORD
	v_or_b32_sdwa v190, v190, v47 dst_sel:DWORD dst_unused:UNUSED_PAD src0_sel:WORD_0 src1_sel:DWORD
	v_ashrrev_i32_e32 v47, s16, v48
	v_dot4c_i32_i8 v212, v190, v40
	v_and_b32_e32 v48, 0x3030303, v47
	v_bfe_u32 v47, v47, 24, 2
	v_lshrrev_b16 v193, 8, v48
	v_lshrrev_b32_e32 v192, 16, v48
	v_sub_nc_u16 v48, v48, v191
	v_sub_nc_u16 v47, v47, v196
	v_sub_nc_u16 v191, v193, v198
	v_lshlrev_b16 v47, 8, v47
	v_lshlrev_b16 v191, 8, v191
	v_or_b32_sdwa v48, v48, v191 dst_sel:DWORD dst_unused:UNUSED_PAD src0_sel:BYTE_0 src1_sel:DWORD
	v_sub_nc_u16 v191, v192, v195
	ds_read2_b32 v[192:193], v194 offset0:4 offset1:5
	v_or_b32_sdwa v47, v191, v47 dst_sel:WORD_1 dst_unused:UNUSED_PAD src0_sel:BYTE_0 src1_sel:DWORD
	v_or_b32_sdwa v191, v48, v47 dst_sel:DWORD dst_unused:UNUSED_PAD src0_sel:WORD_0 src1_sel:DWORD
	v_add_nc_u32_e32 v47, 0x2110, v197
	v_dot4c_i32_i8 v212, v191, v41
	ds_read2_b32 v[47:48], v47 offset1:1
	s_waitcnt lgkmcnt(1)
	v_ashrrev_i32_e32 v192, s1, v192
	v_ashrrev_i32_e32 v193, s1, v193
	v_lshlrev_b32_e32 v192, 2, v192
	v_lshlrev_b32_e32 v193, 2, v193
	v_and_b32_e32 v192, 0x4040404, v192
	v_and_b32_e32 v193, 0x4040404, v193
	s_waitcnt lgkmcnt(0)
	v_ashrrev_i32_e32 v47, s16, v47
	v_lshrrev_b16 v201, 8, v192
	v_lshrrev_b32_e32 v199, 16, v192
	v_lshrrev_b32_e32 v200, 24, v192
	;; [unrolled: 47-line block ×3, first 2 shown]
	v_and_b32_e32 v196, 0x3030303, v47
	v_bfe_u32 v47, v47, 24, 2
	v_lshrrev_b16 v199, 8, v196
	v_lshrrev_b32_e32 v198, 16, v196
	v_sub_nc_u16 v194, v196, v194
	v_sub_nc_u16 v47, v47, v201
	v_lshrrev_b16 v201, 8, v195
	v_sub_nc_u16 v196, v199, v202
	v_lshrrev_b32_e32 v199, 16, v195
	v_lshlrev_b16 v47, 8, v47
	v_lshlrev_b16 v196, 8, v196
	v_or_b32_sdwa v194, v194, v196 dst_sel:DWORD dst_unused:UNUSED_PAD src0_sel:BYTE_0 src1_sel:DWORD
	v_sub_nc_u16 v196, v198, v200
	v_lshrrev_b32_e32 v200, 24, v195
	v_or_b32_sdwa v47, v196, v47 dst_sel:WORD_1 dst_unused:UNUSED_PAD src0_sel:BYTE_0 src1_sel:DWORD
	v_or_b32_sdwa v194, v194, v47 dst_sel:DWORD dst_unused:UNUSED_PAD src0_sel:WORD_0 src1_sel:DWORD
	v_ashrrev_i32_e32 v47, s16, v48
	v_dot4c_i32_i8 v214, v194, v36
	v_and_b32_e32 v48, 0x3030303, v47
	v_bfe_u32 v47, v47, 24, 2
	v_lshrrev_b16 v198, 8, v48
	v_lshrrev_b32_e32 v196, 16, v48
	v_sub_nc_u16 v48, v48, v195
	v_sub_nc_u16 v47, v47, v200
	;; [unrolled: 1-line block ×3, first 2 shown]
	v_add3_u32 v201, s19, v162, v123
	v_lshlrev_b16 v47, 8, v47
	v_lshlrev_b16 v195, 8, v195
	ds_read2_b32 v[202:203], v201 offset1:1
	v_or_b32_sdwa v48, v48, v195 dst_sel:DWORD dst_unused:UNUSED_PAD src0_sel:BYTE_0 src1_sel:DWORD
	v_sub_nc_u16 v195, v196, v199
	v_or_b32_sdwa v47, v195, v47 dst_sel:WORD_1 dst_unused:UNUSED_PAD src0_sel:BYTE_0 src1_sel:DWORD
	v_or_b32_sdwa v196, v48, v47 dst_sel:DWORD dst_unused:UNUSED_PAD src0_sel:WORD_0 src1_sel:DWORD
	v_add3_u32 v47, s18, v161, v122
	v_dot4c_i32_i8 v214, v196, v37
	ds_read_b32 v195, v47
	v_add_nc_u32_e32 v47, 0x3180, v197
	s_waitcnt lgkmcnt(1)
	v_ashrrev_i32_e32 v202, s1, v202
	ds_read2_b32 v[47:48], v47 offset1:1
	v_lshlrev_b32_e32 v202, 2, v202
	v_and_b32_e32 v202, 0x4040404, v202
	v_lshrrev_b32_e32 v205, 24, v202
	v_lshrrev_b16 v215, 8, v202
	v_lshrrev_b32_e32 v204, 16, v202
	s_waitcnt lgkmcnt(0)
	v_ashrrev_i32_e32 v198, s16, v47
	v_and_b32_e32 v199, 0x3030303, v198
	v_bfe_u32 v198, v198, 24, 2
	v_lshrrev_b16 v200, 8, v199
	v_lshrrev_b32_e32 v47, 16, v199
	v_sub_nc_u16 v198, v198, v205
	v_sub_nc_u16 v199, v199, v202
	;; [unrolled: 1-line block ×4, first 2 shown]
	v_lshlrev_b16 v198, 8, v198
	v_lshlrev_b16 v200, 8, v200
	v_or_b32_sdwa v47, v47, v198 dst_sel:WORD_1 dst_unused:UNUSED_PAD src0_sel:BYTE_0 src1_sel:DWORD
	v_or_b32_sdwa v199, v199, v200 dst_sel:DWORD dst_unused:UNUSED_PAD src0_sel:BYTE_0 src1_sel:DWORD
	v_ashrrev_i32_e32 v200, s1, v203
	v_or_b32_sdwa v202, v199, v47 dst_sel:DWORD dst_unused:UNUSED_PAD src0_sel:WORD_0 src1_sel:DWORD
	v_ashrrev_i32_e32 v47, s16, v48
	v_lshlrev_b32_e32 v200, 2, v200
	v_and_b32_e32 v48, 0x3030303, v47
	v_and_b32_e32 v200, 0x4040404, v200
	v_bfe_u32 v47, v47, 24, 2
	v_lshrrev_b16 v199, 8, v48
	v_lshrrev_b32_e32 v204, 24, v200
	v_lshrrev_b16 v205, 8, v200
	v_lshrrev_b32_e32 v198, 16, v48
	v_lshrrev_b32_e32 v203, 16, v200
	v_sub_nc_u16 v48, v48, v200
	v_sub_nc_u16 v47, v47, v204
	;; [unrolled: 1-line block ×4, first 2 shown]
	v_lshlrev_b16 v47, 8, v47
	v_lshlrev_b16 v199, 8, v199
	v_or_b32_sdwa v47, v198, v47 dst_sel:WORD_1 dst_unused:UNUSED_PAD src0_sel:BYTE_0 src1_sel:DWORD
	v_or_b32_sdwa v48, v48, v199 dst_sel:DWORD dst_unused:UNUSED_PAD src0_sel:BYTE_0 src1_sel:DWORD
	ds_read2_b32 v[198:199], v201 offset0:2 offset1:3
	v_or_b32_sdwa v203, v48, v47 dst_sel:DWORD dst_unused:UNUSED_PAD src0_sel:WORD_0 src1_sel:DWORD
	v_add_nc_u32_e32 v47, 0x3188, v197
	ds_read2_b32 v[47:48], v47 offset1:1
	s_waitcnt lgkmcnt(1)
	v_ashrrev_i32_e32 v198, s1, v198
	v_ashrrev_i32_e32 v199, s1, v199
	v_lshlrev_b32_e32 v198, 2, v198
	v_lshlrev_b32_e32 v199, 2, v199
	s_waitcnt lgkmcnt(0)
	v_ashrrev_i32_e32 v47, s16, v47
	v_and_b32_e32 v198, 0x4040404, v198
	v_and_b32_e32 v199, 0x4040404, v199
	;; [unrolled: 1-line block ×3, first 2 shown]
	v_lshrrev_b16 v217, 8, v198
	v_bfe_u32 v47, v47, 24, 2
	v_lshrrev_b32_e32 v215, 16, v198
	v_lshrrev_b32_e32 v216, 24, v198
	v_lshrrev_b16 v205, 8, v200
	v_lshrrev_b32_e32 v204, 16, v200
	v_sub_nc_u16 v198, v200, v198
	v_sub_nc_u16 v47, v47, v216
	;; [unrolled: 1-line block ×3, first 2 shown]
	v_lshrrev_b16 v216, 8, v199
	v_lshrrev_b32_e32 v205, 16, v199
	v_lshlrev_b16 v47, 8, v47
	v_lshlrev_b16 v200, 8, v200
	v_or_b32_sdwa v198, v198, v200 dst_sel:DWORD dst_unused:UNUSED_PAD src0_sel:BYTE_0 src1_sel:DWORD
	v_sub_nc_u16 v200, v204, v215
	v_lshrrev_b32_e32 v215, 24, v199
	v_or_b32_sdwa v47, v200, v47 dst_sel:WORD_1 dst_unused:UNUSED_PAD src0_sel:BYTE_0 src1_sel:DWORD
	v_or_b32_sdwa v204, v198, v47 dst_sel:DWORD dst_unused:UNUSED_PAD src0_sel:WORD_0 src1_sel:DWORD
	v_ashrrev_i32_e32 v47, s16, v48
	v_and_b32_e32 v48, 0x3030303, v47
	v_bfe_u32 v47, v47, 24, 2
	v_lshrrev_b16 v200, 8, v48
	v_lshrrev_b32_e32 v198, 16, v48
	v_sub_nc_u16 v48, v48, v199
	v_sub_nc_u16 v47, v47, v215
	v_sub_nc_u16 v199, v200, v216
	v_sub_nc_u16 v198, v198, v205
	v_lshlrev_b16 v47, 8, v47
	v_lshlrev_b16 v199, 8, v199
	v_or_b32_sdwa v47, v198, v47 dst_sel:WORD_1 dst_unused:UNUSED_PAD src0_sel:BYTE_0 src1_sel:DWORD
	v_or_b32_sdwa v48, v48, v199 dst_sel:DWORD dst_unused:UNUSED_PAD src0_sel:BYTE_0 src1_sel:DWORD
	ds_read2_b32 v[198:199], v201 offset0:4 offset1:5
	v_or_b32_sdwa v205, v48, v47 dst_sel:DWORD dst_unused:UNUSED_PAD src0_sel:WORD_0 src1_sel:DWORD
	v_add_nc_u32_e32 v47, 0x3190, v197
	ds_read2_b32 v[47:48], v47 offset1:1
	s_waitcnt lgkmcnt(1)
	v_ashrrev_i32_e32 v198, s1, v198
	v_ashrrev_i32_e32 v199, s1, v199
	v_lshlrev_b32_e32 v198, 2, v198
	v_lshlrev_b32_e32 v199, 2, v199
	s_waitcnt lgkmcnt(0)
	v_ashrrev_i32_e32 v47, s16, v47
	v_and_b32_e32 v198, 0x4040404, v198
	v_and_b32_e32 v199, 0x4040404, v199
	;; [unrolled: 1-line block ×3, first 2 shown]
	v_bfe_u32 v47, v47, 24, 2
	v_lshrrev_b16 v219, 8, v198
	v_lshrrev_b32_e32 v217, 16, v198
	v_lshrrev_b32_e32 v218, 24, v198
	v_lshrrev_b16 v216, 8, v200
	v_lshrrev_b32_e32 v215, 16, v200
	v_sub_nc_u16 v198, v200, v198
	v_sub_nc_u16 v47, v47, v218
	v_sub_nc_u16 v200, v216, v219
	v_lshrrev_b16 v218, 8, v199
	v_lshrrev_b32_e32 v216, 16, v199
	v_lshlrev_b16 v47, 8, v47
	v_lshlrev_b16 v200, 8, v200
	v_or_b32_sdwa v198, v198, v200 dst_sel:DWORD dst_unused:UNUSED_PAD src0_sel:BYTE_0 src1_sel:DWORD
	v_sub_nc_u16 v200, v215, v217
	v_lshrrev_b32_e32 v217, 24, v199
	v_or_b32_sdwa v47, v200, v47 dst_sel:WORD_1 dst_unused:UNUSED_PAD src0_sel:BYTE_0 src1_sel:DWORD
	v_or_b32_sdwa v198, v198, v47 dst_sel:DWORD dst_unused:UNUSED_PAD src0_sel:WORD_0 src1_sel:DWORD
	v_ashrrev_i32_e32 v47, s16, v48
	v_and_b32_e32 v48, 0x3030303, v47
	v_bfe_u32 v47, v47, 24, 2
	v_lshrrev_b16 v215, 8, v48
	v_lshrrev_b32_e32 v200, 16, v48
	v_sub_nc_u16 v48, v48, v199
	v_sub_nc_u16 v47, v47, v217
	;; [unrolled: 1-line block ×3, first 2 shown]
	v_lshlrev_b16 v47, 8, v47
	v_lshlrev_b16 v199, 8, v199
	v_or_b32_sdwa v48, v48, v199 dst_sel:DWORD dst_unused:UNUSED_PAD src0_sel:BYTE_0 src1_sel:DWORD
	v_sub_nc_u16 v199, v200, v216
	ds_read2_b32 v[200:201], v201 offset0:6 offset1:7
	v_or_b32_sdwa v47, v199, v47 dst_sel:WORD_1 dst_unused:UNUSED_PAD src0_sel:BYTE_0 src1_sel:DWORD
	v_or_b32_sdwa v199, v48, v47 dst_sel:DWORD dst_unused:UNUSED_PAD src0_sel:WORD_0 src1_sel:DWORD
	v_add_nc_u32_e32 v47, 0x3198, v197
	ds_read2_b32 v[47:48], v47 offset1:1
	s_waitcnt lgkmcnt(1)
	v_ashrrev_i32_e32 v200, s1, v200
	v_ashrrev_i32_e32 v201, s1, v201
	s_add_i32 s1, s1, 1
	s_cmp_lt_u32 s15, 14
	v_lshlrev_b32_e32 v200, 2, v200
	v_lshlrev_b32_e32 v201, 2, v201
	v_and_b32_e32 v200, 0x4040404, v200
	v_and_b32_e32 v201, 0x4040404, v201
	s_waitcnt lgkmcnt(0)
	v_ashrrev_i32_e32 v47, s16, v47
	v_lshrrev_b16 v219, 8, v200
	v_lshrrev_b32_e32 v217, 16, v200
	v_lshrrev_b32_e32 v218, 24, v200
	v_and_b32_e32 v197, 0x3030303, v47
	v_bfe_u32 v47, v47, 24, 2
	v_lshrrev_b16 v216, 8, v197
	v_lshrrev_b32_e32 v215, 16, v197
	v_sub_nc_u16 v197, v197, v200
	v_sub_nc_u16 v47, v47, v218
	v_lshrrev_b16 v218, 8, v201
	v_sub_nc_u16 v200, v216, v219
	v_lshrrev_b32_e32 v216, 16, v201
	v_mov_b32_e32 v219, 0
	v_lshlrev_b16 v47, 8, v47
	v_lshlrev_b16 v200, 8, v200
	v_or_b32_sdwa v197, v197, v200 dst_sel:DWORD dst_unused:UNUSED_PAD src0_sel:BYTE_0 src1_sel:DWORD
	v_sub_nc_u16 v200, v215, v217
	v_lshrrev_b32_e32 v217, 24, v201
	v_or_b32_sdwa v47, v200, v47 dst_sel:WORD_1 dst_unused:UNUSED_PAD src0_sel:BYTE_0 src1_sel:DWORD
	v_or_b32_sdwa v200, v197, v47 dst_sel:DWORD dst_unused:UNUSED_PAD src0_sel:WORD_0 src1_sel:DWORD
	v_ashrrev_i32_e32 v47, s16, v48
	v_and_b32_e32 v48, 0x3030303, v47
	v_bfe_u32 v47, v47, 24, 2
	v_lshrrev_b32_e32 v197, 16, v48
	v_lshrrev_b16 v215, 8, v48
	v_sub_nc_u16 v48, v48, v201
	v_sub_nc_u16 v47, v47, v217
	v_add_nc_u32_e32 v217, s17, v131
	v_sub_nc_u16 v197, v197, v216
	v_sub_nc_u16 v201, v215, v218
	v_mov_b32_e32 v216, 0
	v_mov_b32_e32 v218, 0
	v_lshlrev_b16 v47, 8, v47
	s_mov_b32 s17, s15
	v_lshlrev_b16 v201, 8, v201
	v_dot4c_i32_i8 v216, v202, v38
	v_dot4c_i32_i8 v218, v198, v34
	v_or_b32_sdwa v47, v197, v47 dst_sel:WORD_1 dst_unused:UNUSED_PAD src0_sel:BYTE_0 src1_sel:DWORD
	v_or_b32_sdwa v48, v48, v201 dst_sel:DWORD dst_unused:UNUSED_PAD src0_sel:BYTE_0 src1_sel:DWORD
	v_dot4c_i32_i8 v216, v203, v39
	v_dot4c_i32_i8 v218, v199, v35
	v_or_b32_sdwa v201, v48, v47 dst_sel:DWORD dst_unused:UNUSED_PAD src0_sel:WORD_0 src1_sel:DWORD
	v_add3_u32 v47, s18, v163, v124
	v_dot4c_i32_i8 v216, v204, v40
	v_dot4c_i32_i8 v218, v200, v36
	ds_read_b32 v197, v47
	v_dot4c_i32_i8 v216, v205, v41
	v_dot4c_i32_i8 v218, v201, v37
	ds_read_b128 v[34:37], v168 offset:1024
	ds_read_b128 v[38:41], v168 offset:1040
	s_waitcnt lgkmcnt(1)
	v_dot4c_i32_i8 v231, v170, v34
	s_waitcnt lgkmcnt(0)
	v_dot4c_i32_i8 v237, v174, v38
	v_dot4c_i32_i8 v226, v181, v34
	;; [unrolled: 1-line block ×31, first 2 shown]
	ds_read2_b32 v[47:48], v169 offset0:64 offset1:96
	ds_read_b128 v[34:37], v168 offset:2048
	ds_read_b128 v[38:41], v168 offset:2064
	s_waitcnt lgkmcnt(1)
	v_dot4c_i32_i8 v234, v170, v34
	s_waitcnt lgkmcnt(0)
	v_dot4c_i32_i8 v233, v174, v38
	v_dot4c_i32_i8 v229, v181, v34
	;; [unrolled: 1-line block ×31, first 2 shown]
	ds_read_b128 v[38:41], v168 offset:3072
	ds_read_b128 v[34:37], v168 offset:3088
	ds_read_u16 v215, v208 offset:33538
	s_waitcnt lgkmcnt(2)
	v_dot4c_i32_i8 v232, v170, v38
	s_waitcnt lgkmcnt(1)
	v_dot4c_i32_i8 v235, v174, v34
	s_waitcnt lgkmcnt(0)
	v_lshrrev_b16 v208, 8, v215
	v_bfe_i32 v215, v215, 0, 8
	v_dot4c_i32_i8 v232, v171, v39
	v_dot4c_i32_i8 v235, v175, v35
	v_bfe_i32 v208, v208, 0, 8
	v_mul_lo_u32 v231, v231, v215
	v_dot4c_i32_i8 v232, v172, v40
	v_dot4c_i32_i8 v235, v176, v36
	v_mul_lo_u32 v233, v233, v208
	v_mul_lo_u32 v209, v209, v208
	v_dot4c_i32_i8 v232, v173, v41
	v_dot4c_i32_i8 v235, v178, v37
	v_mul_lo_u32 v232, v232, v215
	v_mad_u64_u32 v[233:234], null, v234, v215, v[233:234]
	v_mad_u64_u32 v[234:235], null, v235, v208, v[232:233]
                                        ; kill: def $vgpr232 killed $sgpr0 killed $exec
	v_mad_u64_u32 v[235:236], null, v206, v215, v[209:210]
	v_mad_u64_u32 v[231:232], null, v237, v208, v[231:232]
	ds_read_u16 v210, v210 offset:34562
	v_mul_f32_e32 v206, v177, v46
	v_mul_f32_e32 v209, v177, v45
	;; [unrolled: 1-line block ×3, first 2 shown]
	v_cvt_f32_i32_e32 v235, v235
	v_mul_f32_e32 v232, v177, v48
	v_cvt_f32_i32_e32 v231, v231
	v_cvt_f32_i32_e32 v234, v234
	;; [unrolled: 1-line block ×3, first 2 shown]
	v_fma_f32 v3, v209, v235, v3
	v_mov_b32_e32 v235, 0
	v_fmac_f32_e32 v2, v206, v231
	v_mov_b32_e32 v206, 0
	v_mov_b32_e32 v231, 0
	v_fma_f32 v5, v236, v233, v5
	v_fma_f32 v4, v232, v234, v4
	v_mov_b32_e32 v232, 0
	v_dot4c_i32_i8 v206, v181, v38
	v_dot4c_i32_i8 v231, v179, v34
	v_mov_b32_e32 v233, 0
	s_waitcnt lgkmcnt(0)
	v_lshrrev_b16 v209, 8, v210
	v_bfe_i32 v210, v210, 0, 8
	v_dot4c_i32_i8 v206, v182, v39
	v_dot4c_i32_i8 v231, v180, v35
	v_mov_b32_e32 v234, 0
	v_bfe_i32 v209, v209, 0, 8
	v_mul_lo_u32 v226, v226, v210
	v_dot4c_i32_i8 v206, v185, v40
	v_dot4c_i32_i8 v231, v183, v36
	v_mov_b32_e32 v236, 0
	v_mul_lo_u32 v230, v230, v209
	v_mul_lo_u32 v211, v211, v209
	v_dot4c_i32_i8 v206, v187, v41
	v_dot4c_i32_i8 v231, v186, v37
	v_mad_u64_u32 v[225:226], null, v225, v209, v[226:227]
	v_mul_f32_e32 v226, v184, v48
	v_mul_lo_u32 v206, v206, v210
	v_mad_u64_u32 v[229:230], null, v229, v210, v[230:231]
	v_mov_b32_e32 v237, 0
	v_cvt_f32_i32_e32 v225, v225
	v_mad_u64_u32 v[230:231], null, v231, v209, v[206:207]
	v_mad_u64_u32 v[206:207], null, v207, v210, v[211:212]
	v_mul_f32_e32 v211, v184, v45
	v_mul_f32_e32 v207, v184, v46
	;; [unrolled: 1-line block ×3, first 2 shown]
	v_cvt_f32_i32_e32 v229, v229
	v_cvt_f32_i32_e32 v230, v230
	;; [unrolled: 1-line block ×3, first 2 shown]
	v_fmac_f32_e32 v30, v207, v225
	v_mov_b32_e32 v225, 0
	v_fma_f32 v32, v226, v230, v32
	v_mov_b32_e32 v226, 0
	v_fma_f32 v31, v211, v206, v31
	ds_read_u16 v206, v213 offset:35586
	v_dot4c_i32_i8 v225, v188, v38
	v_fma_f32 v33, v231, v229, v33
	v_dot4c_i32_i8 v226, v192, v34
	v_mov_b32_e32 v230, 0
	v_mov_b32_e32 v231, 0
	v_dot4c_i32_i8 v225, v189, v39
	v_dot4c_i32_i8 v226, v193, v35
	v_dot4c_i32_i8 v225, v190, v40
	v_dot4c_i32_i8 v226, v194, v36
	v_dot4c_i32_i8 v225, v191, v41
	v_dot4c_i32_i8 v226, v196, v37
	s_waitcnt lgkmcnt(0)
	v_lshrrev_b16 v207, 8, v206
	v_bfe_i32 v213, v206, 0, 8
	v_bfe_i32 v211, v207, 0, 8
	v_mul_lo_u32 v206, v224, v213
	v_mul_lo_u32 v224, v228, v211
	;; [unrolled: 1-line block ×4, first 2 shown]
                                        ; kill: def $vgpr225 killed $sgpr0 killed $exec
	v_mad_u64_u32 v[224:225], null, v227, v213, v[224:225]
	v_mad_u64_u32 v[225:226], null, v226, v211, v[214:215]
	;; [unrolled: 1-line block ×3, first 2 shown]
	v_mul_f32_e32 v212, v195, v45
                                        ; kill: def $vgpr207 killed $sgpr0 killed $exec
	v_mul_f32_e32 v214, v195, v48
	v_mad_u64_u32 v[206:207], null, v223, v211, v[206:207]
	v_mul_f32_e32 v207, v195, v46
	v_mul_f32_e32 v223, v195, v47
	v_cvt_f32_i32_e32 v226, v226
	v_cvt_f32_i32_e32 v225, v225
	;; [unrolled: 1-line block ×4, first 2 shown]
	v_fma_f32 v27, v212, v226, v27
	v_mov_b32_e32 v212, 0
	v_fma_f32 v28, v214, v225, v28
	v_mov_b32_e32 v225, 0
	v_fmac_f32_e32 v26, v207, v206
	v_fma_f32 v29, v223, v224, v29
	v_dot4c_i32_i8 v212, v202, v38
                                        ; kill: def $vgpr38 killed $sgpr0 killed $exec
	v_mov_b32_e32 v223, 0
	v_mov_b32_e32 v224, 0
	v_mov_b32_e32 v214, 0
	v_dot4c_i32_i8 v212, v203, v39
	v_mov_b32_e32 v39, 0
	v_dot4c_i32_i8 v212, v204, v40
	v_dot4c_i32_i8 v39, v198, v34
	ds_read_u16 v34, v217 offset:36610
	v_mov_b32_e32 v217, 0
	v_dot4c_i32_i8 v212, v205, v41
	v_dot4c_i32_i8 v39, v199, v35
	v_mul_f32_e32 v41, v197, v47
	v_mov_b32_e32 v47, 0
	v_dot4c_i32_i8 v39, v200, v36
	v_dot4c_i32_i8 v39, v201, v37
	s_waitcnt lgkmcnt(0)
	v_lshrrev_b16 v35, 8, v34
	v_bfe_i32 v207, v34, 0, 8
	v_bfe_i32 v206, v35, 0, 8
	v_mul_lo_u32 v36, v212, v207
	v_mul_lo_u32 v34, v220, v207
	v_mov_b32_e32 v212, 0
	v_mov_b32_e32 v220, 0
	v_mul_lo_u32 v37, v222, v206
	v_mul_lo_u32 v35, v218, v206
	v_mov_b32_e32 v218, 0
	v_mov_b32_e32 v222, 0
	v_mad_u64_u32 v[37:38], null, v221, v207, v[37:38]
	v_mov_b32_e32 v221, 0
	v_mad_u64_u32 v[38:39], null, v39, v206, v[36:37]
                                        ; kill: def $vgpr36 killed $sgpr0 killed $exec
	v_cvt_f32_i32_e32 v37, v37
	v_mad_u64_u32 v[35:36], null, v216, v207, v[35:36]
	v_mul_f32_e32 v36, v197, v45
	v_mov_b32_e32 v216, 0
	v_fma_f32 v25, v41, v37, v25
	v_cvt_f32_i32_e32 v38, v38
	v_mad_u64_u32 v[39:40], null, v219, v206, v[34:35]
	v_mul_f32_e32 v34, v197, v46
	v_mul_f32_e32 v40, v197, v48
	v_cvt_f32_i32_e32 v35, v35
	v_mov_b32_e32 v219, 0
	v_mov_b32_e32 v48, 0
	v_cvt_f32_i32_e32 v39, v39
	v_fma_f32 v24, v40, v38, v24
	v_fma_f32 v23, v36, v35, v23
	v_fmac_f32_e32 v22, v34, v39
	ds_read2_b32 v[45:46], v169 offset0:128 offset1:160
	ds_read_b128 v[38:41], v168 offset:4096
	ds_read_b128 v[34:37], v168 offset:4112
	s_waitcnt lgkmcnt(1)
	v_dot4c_i32_i8 v212, v170, v38
	v_dot4c_i32_i8 v218, v181, v38
	;; [unrolled: 1-line block ×4, first 2 shown]
	s_waitcnt lgkmcnt(0)
	v_dot4c_i32_i8 v225, v174, v34
	v_dot4c_i32_i8 v212, v171, v39
	;; [unrolled: 1-line block ×10, first 2 shown]
	v_mov_b32_e32 v40, 0
	v_dot4c_i32_i8 v219, v192, v34
	v_dot4c_i32_i8 v225, v175, v35
	;; [unrolled: 1-line block ×17, first 2 shown]
	v_mov_b32_e32 v41, 0
	v_dot4c_i32_i8 v40, v201, v37
	ds_read_b128 v[34:37], v168 offset:5120
	ds_read_b128 v[226:229], v168 offset:5136
	s_waitcnt lgkmcnt(1)
	v_dot4c_i32_i8 v230, v170, v34
	s_waitcnt lgkmcnt(0)
	v_dot4c_i32_i8 v231, v174, v226
	v_dot4c_i32_i8 v223, v181, v34
	;; [unrolled: 1-line block ×31, first 2 shown]
	ds_read2_b32 v[38:39], v169 offset0:192 offset1:224
	ds_read_b128 v[34:37], v168 offset:6144
	ds_read_b128 v[226:229], v168 offset:6160
	v_add_nc_u32_e32 v169, 4, v169
	v_mul_lo_u32 v41, v41, v207
	s_waitcnt lgkmcnt(1)
	v_dot4c_i32_i8 v232, v170, v34
	s_waitcnt lgkmcnt(0)
	v_dot4c_i32_i8 v233, v174, v226
	v_dot4c_i32_i8 v234, v181, v34
	;; [unrolled: 1-line block ×31, first 2 shown]
	ds_read_b128 v[226:229], v168 offset:7168
	ds_read_b128 v[34:37], v168 offset:7184
	v_add_nc_u32_e32 v168, 32, v168
	s_waitcnt lgkmcnt(1)
	v_dot4c_i32_i8 v238, v170, v226
	s_waitcnt lgkmcnt(0)
	v_dot4c_i32_i8 v239, v174, v34
                                        ; kill: def $vgpr174 killed $sgpr0 killed $exec
	v_mul_lo_u32 v170, v230, v215
	v_dot4c_i32_i8 v238, v171, v227
	v_dot4c_i32_i8 v239, v175, v35
	v_mul_lo_u32 v171, v225, v208
	v_dot4c_i32_i8 v238, v172, v228
	v_dot4c_i32_i8 v239, v176, v36
	;; [unrolled: 1-line block ×3, first 2 shown]
	v_mul_lo_u32 v173, v233, v208
	v_dot4c_i32_i8 v239, v178, v37
	v_mul_lo_u32 v172, v238, v215
	v_mad_u64_u32 v[173:174], null, v232, v215, v[173:174]
	v_mad_u64_u32 v[174:175], null, v239, v208, v[172:173]
                                        ; kill: def $vgpr172 killed $sgpr0 killed $exec
	v_cvt_f32_i32_e32 v173, v173
	v_mad_u64_u32 v[171:172], null, v212, v215, v[171:172]
	v_mul_f32_e32 v172, v177, v45
	v_cvt_f32_i32_e32 v174, v174
	v_mad_u64_u32 v[175:176], null, v231, v208, v[170:171]
	v_cvt_f32_i32_e32 v171, v171
	v_mul_f32_e32 v170, v177, v46
	v_mul_f32_e32 v176, v177, v39
	;; [unrolled: 1-line block ×3, first 2 shown]
	v_fma_f32 v19, v172, v171, v19
	v_mov_b32_e32 v172, 0
	v_cvt_f32_i32_e32 v175, v175
	v_fma_f32 v21, v177, v173, v21
	v_mul_lo_u32 v173, v235, v209
	v_fma_f32 v20, v176, v174, v20
	v_dot4c_i32_i8 v172, v181, v226
	v_fmac_f32_e32 v18, v170, v175
	v_mov_b32_e32 v175, 0
                                        ; kill: def $vgpr174 killed $sgpr0 killed $exec
	v_mul_lo_u32 v171, v220, v209
	v_mul_lo_u32 v170, v223, v210
	v_dot4c_i32_i8 v172, v182, v227
	v_mad_u64_u32 v[173:174], null, v234, v210, v[173:174]
	v_dot4c_i32_i8 v175, v179, v34
	v_mul_f32_e32 v177, v184, v38
	v_dot4c_i32_i8 v172, v185, v228
	v_dot4c_i32_i8 v175, v180, v35
	;; [unrolled: 1-line block ×4, first 2 shown]
	v_mul_lo_u32 v172, v172, v210
	v_dot4c_i32_i8 v175, v186, v37
	v_mad_u64_u32 v[174:175], null, v175, v209, v[172:173]
                                        ; kill: def $vgpr172 killed $sgpr0 killed $exec
	v_cvt_f32_i32_e32 v173, v173
	v_mad_u64_u32 v[171:172], null, v218, v210, v[171:172]
	v_mul_f32_e32 v172, v184, v45
	v_fma_f32 v17, v177, v173, v17
	v_mul_lo_u32 v173, v237, v211
	v_cvt_f32_i32_e32 v174, v174
	v_mul_f32_e32 v177, v195, v38
	v_mad_u64_u32 v[175:176], null, v224, v209, v[170:171]
	v_cvt_f32_i32_e32 v171, v171
	v_mul_f32_e32 v170, v184, v46
	v_mul_f32_e32 v176, v184, v39
	v_fma_f32 v15, v172, v171, v15
	v_mov_b32_e32 v172, 0
	v_cvt_f32_i32_e32 v175, v175
	v_fma_f32 v16, v176, v174, v16
                                        ; kill: def $vgpr174 killed $sgpr0 killed $exec
	v_mul_lo_u32 v171, v219, v211
	v_mad_u64_u32 v[173:174], null, v236, v213, v[173:174]
	v_dot4c_i32_i8 v172, v188, v226
	v_fmac_f32_e32 v14, v170, v175
	v_mov_b32_e32 v175, 0
	v_mul_lo_u32 v170, v222, v213
	v_dot4c_i32_i8 v172, v189, v227
	v_dot4c_i32_i8 v175, v192, v34
	;; [unrolled: 1-line block ×6, first 2 shown]
	v_mul_lo_u32 v172, v172, v213
	v_dot4c_i32_i8 v175, v196, v37
	v_mad_u64_u32 v[174:175], null, v175, v211, v[172:173]
                                        ; kill: def $vgpr172 killed $sgpr0 killed $exec
	v_cvt_f32_i32_e32 v173, v173
	v_mad_u64_u32 v[171:172], null, v217, v213, v[171:172]
	v_mul_f32_e32 v172, v195, v45
	v_fma_f32 v13, v177, v173, v13
	v_cvt_f32_i32_e32 v174, v174
	v_mad_u64_u32 v[175:176], null, v221, v211, v[170:171]
	v_mul_f32_e32 v170, v195, v46
	v_cvt_f32_i32_e32 v171, v171
	v_mul_f32_e32 v176, v195, v39
	v_mul_f32_e32 v39, v197, v39
	v_cvt_f32_i32_e32 v175, v175
	v_fma_f32 v11, v172, v171, v11
	v_mov_b32_e32 v171, 0
	v_fma_f32 v12, v176, v174, v12
	v_fmac_f32_e32 v10, v170, v175
	v_mov_b32_e32 v170, 0
	v_dot4c_i32_i8 v171, v198, v34
	v_mul_lo_u32 v34, v216, v206
	v_dot4c_i32_i8 v170, v202, v226
	v_dot4c_i32_i8 v171, v199, v35
                                        ; kill: def $vgpr35 killed $sgpr0 killed $exec
	v_dot4c_i32_i8 v170, v203, v227
	v_dot4c_i32_i8 v171, v200, v36
	v_mad_u64_u32 v[34:35], null, v214, v207, v[34:35]
	v_dot4c_i32_i8 v170, v204, v228
	v_dot4c_i32_i8 v171, v201, v37
	v_mul_lo_u32 v37, v40, v206
	v_mad_u64_u32 v[40:41], null, v48, v206, v[41:42]
	v_dot4c_i32_i8 v170, v205, v229
	v_mul_f32_e32 v41, v197, v45
	v_cvt_f32_i32_e32 v34, v34
	v_mul_lo_u32 v36, v170, v207
	v_cvt_f32_i32_e32 v40, v40
	v_mad_u64_u32 v[35:36], null, v171, v206, v[36:37]
	v_mad_u64_u32 v[36:37], null, v47, v207, v[37:38]
	v_mul_f32_e32 v37, v197, v46
	v_mul_f32_e32 v38, v197, v38
	v_cvt_f32_i32_e32 v35, v35
	v_fmac_f32_e32 v6, v37, v40
	v_cvt_f32_i32_e32 v36, v36
	v_fma_f32 v9, v38, v34, v9
	v_fma_f32 v8, v39, v35, v8
	;; [unrolled: 1-line block ×3, first 2 shown]
	s_cbranch_scc1 .LBB129_9
; %bb.10:                               ;   in Loop: Header=BB129_6 Depth=1
	s_or_b32 s1, s11, 1
	s_cmp_ge_i32 s1, s4
	s_barrier
	buffer_gl0_inv
	s_cbranch_scc1 .LBB129_5
; %bb.11:                               ;   in Loop: Header=BB129_6 Depth=1
	v_add_nc_u32_e32 v168, s0, v126
	v_add_nc_u32_e32 v47, 8, v167
	s_mov_b32 s1, 16
	s_mov_b32 s17, 14
	;; [unrolled: 1-line block ×3, first 2 shown]
	v_add_nc_u32_e32 v34, v168, v109
	v_add_nc_u32_e32 v36, v168, v110
	;; [unrolled: 1-line block ×5, first 2 shown]
	v_mad_u64_u32 v[47:48], null, v47, 36, s[2:3]
	v_mad_i64_i32 v[34:35], null, v34, 36, v[43:44]
	v_add_nc_u32_e32 v169, v168, v114
	v_mad_i64_i32 v[36:37], null, v36, 36, v[43:44]
	v_add_nc_u32_e32 v170, v168, v115
	;; [unrolled: 2-line block ×3, first 2 shown]
	v_mad_i64_i32 v[40:41], null, v40, 36, v[43:44]
	v_mad_i64_i32 v[45:46], null, v45, 36, v[43:44]
	;; [unrolled: 1-line block ×5, first 2 shown]
	s_clause 0x8
	global_load_dword v47, v[47:48], off
	global_load_dword v34, v[34:35], off offset:4
	global_load_dword v35, v[36:37], off offset:4
	;; [unrolled: 1-line block ×8, first 2 shown]
	v_mov_b32_e32 v168, v137
	v_mov_b32_e32 v169, v136
	s_waitcnt vmcnt(8)
	v_cvt_f32_f16_e32 v45, v47
	s_waitcnt vmcnt(7)
	ds_write_b32 v150, v34
	s_waitcnt vmcnt(6)
	ds_write_b32 v151, v35
	;; [unrolled: 2-line block ×8, first 2 shown]
	ds_write_b32 v108, v45
	s_waitcnt lgkmcnt(0)
	s_barrier
	buffer_gl0_inv
.LBB129_12:                             ;   Parent Loop BB129_6 Depth=1
                                        ; =>  This Inner Loop Header: Depth=2
	s_add_i32 s15, s17, 2
	ds_read2_b32 v[45:46], v169 offset1:32
	ds_read_b128 v[38:41], v168
	ds_read_b128 v[34:37], v168 offset:16
	s_lshr_b32 s18, s15, 4
	s_and_b32 s19, s15, 0x3ffffff8
	s_add_i32 s16, s17, -14
	v_lshl_add_u32 v197, s19, 2, v117
	s_lshl_b32 s19, s18, 5
	s_lshl_b32 s18, s18, 2
	s_addk_i32 s19, 0x4200
	s_add_i32 s18, s18, 0x9380
	v_add3_u32 v176, s19, v164, v118
	ds_read2_b32 v[47:48], v197 offset1:1
	v_add3_u32 v184, s19, v158, v119
	v_add3_u32 v194, s19, v160, v121
	v_mov_b32_e32 v206, 0
	ds_read2_b32 v[170:171], v176 offset1:1
	v_mov_b32_e32 v209, 0
	v_mov_b32_e32 v207, 0
	;; [unrolled: 1-line block ×15, first 2 shown]
	s_waitcnt lgkmcnt(1)
	v_ashrrev_i32_e32 v47, s16, v47
	v_mov_b32_e32 v230, 0
	v_mov_b32_e32 v227, 0
	;; [unrolled: 1-line block ×3, first 2 shown]
	s_waitcnt lgkmcnt(0)
	v_ashrrev_i32_e32 v170, s14, v170
	v_and_b32_e32 v172, 0x3030303, v47
	v_bfe_u32 v47, v47, 24, 2
	v_ashrrev_i32_e32 v171, s14, v171
	v_mov_b32_e32 v221, 0
	v_lshlrev_b32_e32 v170, 2, v170
	v_lshrrev_b16 v174, 8, v172
	v_lshrrev_b32_e32 v173, 16, v172
	v_lshlrev_b32_e32 v171, 2, v171
	v_mov_b32_e32 v222, 0
	v_and_b32_e32 v170, 0x4040404, v170
	s_and_b32 s20, s1, -16
	v_mov_b32_e32 v232, 0
	v_and_b32_e32 v171, 0x4040404, v171
	s_add_i32 s17, s17, s20
	v_lshrrev_b16 v178, 8, v170
	v_lshrrev_b32_e32 v175, 16, v170
	v_lshrrev_b32_e32 v177, 24, v170
	v_sub_nc_u16 v170, v172, v170
	v_add_nc_u32_e32 v208, s17, v128
	v_sub_nc_u16 v172, v174, v178
	v_lshrrev_b32_e32 v174, 16, v171
	v_sub_nc_u16 v47, v47, v177
	v_lshrrev_b16 v177, 8, v171
	v_mov_b32_e32 v235, 0
	v_lshlrev_b16 v172, 8, v172
	v_add_nc_u32_e32 v210, s17, v129
	v_lshlrev_b16 v47, 8, v47
	v_add_nc_u32_e32 v213, s17, v130
	v_mov_b32_e32 v238, 0
	v_or_b32_sdwa v170, v170, v172 dst_sel:DWORD dst_unused:UNUSED_PAD src0_sel:BYTE_0 src1_sel:DWORD
	v_sub_nc_u16 v172, v173, v175
	v_lshrrev_b32_e32 v175, 24, v171
	v_mov_b32_e32 v239, 0
	s_add_i32 s1, s1, 2
	v_or_b32_sdwa v47, v172, v47 dst_sel:WORD_1 dst_unused:UNUSED_PAD src0_sel:BYTE_0 src1_sel:DWORD
	v_or_b32_sdwa v170, v170, v47 dst_sel:DWORD dst_unused:UNUSED_PAD src0_sel:WORD_0 src1_sel:DWORD
	v_ashrrev_i32_e32 v47, s16, v48
	v_dot4c_i32_i8 v206, v170, v38
	v_and_b32_e32 v48, 0x3030303, v47
	v_bfe_u32 v47, v47, 24, 2
	v_lshrrev_b16 v173, 8, v48
	v_lshrrev_b32_e32 v172, 16, v48
	v_sub_nc_u16 v48, v48, v171
	v_sub_nc_u16 v47, v47, v175
	v_sub_nc_u16 v171, v173, v177
	v_lshlrev_b16 v47, 8, v47
	v_lshlrev_b16 v171, 8, v171
	v_or_b32_sdwa v48, v48, v171 dst_sel:DWORD dst_unused:UNUSED_PAD src0_sel:BYTE_0 src1_sel:DWORD
	v_sub_nc_u16 v171, v172, v174
	ds_read2_b32 v[172:173], v176 offset0:2 offset1:3
	v_or_b32_sdwa v47, v171, v47 dst_sel:WORD_1 dst_unused:UNUSED_PAD src0_sel:BYTE_0 src1_sel:DWORD
	v_or_b32_sdwa v171, v48, v47 dst_sel:DWORD dst_unused:UNUSED_PAD src0_sel:WORD_0 src1_sel:DWORD
	ds_read2_b32 v[47:48], v197 offset0:2 offset1:3
	v_dot4c_i32_i8 v206, v171, v39
	s_waitcnt lgkmcnt(1)
	v_ashrrev_i32_e32 v172, s14, v172
	v_ashrrev_i32_e32 v173, s14, v173
	v_lshlrev_b32_e32 v172, 2, v172
	v_lshlrev_b32_e32 v173, 2, v173
	s_waitcnt lgkmcnt(0)
	v_ashrrev_i32_e32 v47, s16, v47
	v_and_b32_e32 v172, 0x4040404, v172
	v_and_b32_e32 v173, 0x4040404, v173
	v_and_b32_e32 v174, 0x3030303, v47
	v_bfe_u32 v47, v47, 24, 2
	v_lshrrev_b16 v180, 8, v172
	v_lshrrev_b32_e32 v178, 16, v172
	v_lshrrev_b32_e32 v179, 24, v172
	v_lshrrev_b16 v177, 8, v174
	v_lshrrev_b32_e32 v175, 16, v174
	v_sub_nc_u16 v172, v174, v172
	v_sub_nc_u16 v47, v47, v179
	v_sub_nc_u16 v174, v177, v180
	v_lshrrev_b16 v179, 8, v173
	v_lshrrev_b32_e32 v177, 16, v173
	v_lshlrev_b16 v47, 8, v47
	v_lshlrev_b16 v174, 8, v174
	v_or_b32_sdwa v172, v172, v174 dst_sel:DWORD dst_unused:UNUSED_PAD src0_sel:BYTE_0 src1_sel:DWORD
	v_sub_nc_u16 v174, v175, v178
	v_lshrrev_b32_e32 v178, 24, v173
	v_or_b32_sdwa v47, v174, v47 dst_sel:WORD_1 dst_unused:UNUSED_PAD src0_sel:BYTE_0 src1_sel:DWORD
	v_or_b32_sdwa v172, v172, v47 dst_sel:DWORD dst_unused:UNUSED_PAD src0_sel:WORD_0 src1_sel:DWORD
	v_ashrrev_i32_e32 v47, s16, v48
	v_dot4c_i32_i8 v206, v172, v40
	v_and_b32_e32 v48, 0x3030303, v47
	v_bfe_u32 v47, v47, 24, 2
	v_lshrrev_b16 v175, 8, v48
	v_lshrrev_b32_e32 v174, 16, v48
	v_sub_nc_u16 v48, v48, v173
	v_sub_nc_u16 v47, v47, v178
	v_sub_nc_u16 v173, v175, v179
	v_lshlrev_b16 v47, 8, v47
	v_lshlrev_b16 v173, 8, v173
	v_or_b32_sdwa v48, v48, v173 dst_sel:DWORD dst_unused:UNUSED_PAD src0_sel:BYTE_0 src1_sel:DWORD
	v_sub_nc_u16 v173, v174, v177
	ds_read2_b32 v[174:175], v176 offset0:4 offset1:5
	v_or_b32_sdwa v47, v173, v47 dst_sel:WORD_1 dst_unused:UNUSED_PAD src0_sel:BYTE_0 src1_sel:DWORD
	v_or_b32_sdwa v173, v48, v47 dst_sel:DWORD dst_unused:UNUSED_PAD src0_sel:WORD_0 src1_sel:DWORD
	ds_read2_b32 v[47:48], v197 offset0:4 offset1:5
	v_dot4c_i32_i8 v206, v173, v41
	s_waitcnt lgkmcnt(1)
	v_ashrrev_i32_e32 v174, s14, v174
	v_ashrrev_i32_e32 v175, s14, v175
	v_lshlrev_b32_e32 v174, 2, v174
	v_lshlrev_b32_e32 v175, 2, v175
	s_waitcnt lgkmcnt(0)
	v_ashrrev_i32_e32 v47, s16, v47
	v_and_b32_e32 v174, 0x4040404, v174
	v_and_b32_e32 v175, 0x4040404, v175
	v_and_b32_e32 v177, 0x3030303, v47
	v_bfe_u32 v47, v47, 24, 2
	v_lshrrev_b16 v182, 8, v174
	v_lshrrev_b32_e32 v180, 16, v174
	v_lshrrev_b32_e32 v181, 24, v174
	v_lshrrev_b16 v179, 8, v177
	v_lshrrev_b32_e32 v178, 16, v177
	v_sub_nc_u16 v174, v177, v174
	v_sub_nc_u16 v47, v47, v181
	v_sub_nc_u16 v177, v179, v182
	v_lshrrev_b16 v181, 8, v175
	v_lshrrev_b32_e32 v179, 16, v175
	v_lshlrev_b16 v47, 8, v47
	v_lshlrev_b16 v177, 8, v177
	v_or_b32_sdwa v174, v174, v177 dst_sel:DWORD dst_unused:UNUSED_PAD src0_sel:BYTE_0 src1_sel:DWORD
	v_sub_nc_u16 v177, v178, v180
	v_lshrrev_b32_e32 v180, 24, v175
	;; [unrolled: 46-line block ×3, first 2 shown]
	v_or_b32_sdwa v47, v178, v47 dst_sel:WORD_1 dst_unused:UNUSED_PAD src0_sel:BYTE_0 src1_sel:DWORD
	v_or_b32_sdwa v176, v176, v47 dst_sel:DWORD dst_unused:UNUSED_PAD src0_sel:WORD_0 src1_sel:DWORD
	v_ashrrev_i32_e32 v47, s16, v48
	v_dot4c_i32_i8 v209, v176, v36
	v_and_b32_e32 v48, 0x3030303, v47
	v_bfe_u32 v47, v47, 24, 2
	v_lshrrev_b16 v179, 8, v48
	v_lshrrev_b32_e32 v178, 16, v48
	v_sub_nc_u16 v48, v48, v177
	v_sub_nc_u16 v47, v47, v181
	;; [unrolled: 1-line block ×3, first 2 shown]
	v_lshlrev_b16 v47, 8, v47
	v_lshlrev_b16 v177, 8, v177
	v_or_b32_sdwa v48, v48, v177 dst_sel:DWORD dst_unused:UNUSED_PAD src0_sel:BYTE_0 src1_sel:DWORD
	v_sub_nc_u16 v177, v178, v180
	ds_read2_b32 v[179:180], v184 offset1:1
	v_or_b32_sdwa v47, v177, v47 dst_sel:WORD_1 dst_unused:UNUSED_PAD src0_sel:BYTE_0 src1_sel:DWORD
	v_or_b32_sdwa v178, v48, v47 dst_sel:DWORD dst_unused:UNUSED_PAD src0_sel:WORD_0 src1_sel:DWORD
	v_add3_u32 v47, s18, v165, v166
	v_dot4c_i32_i8 v209, v178, v37
	ds_read_b32 v177, v47
	v_add_nc_u32_e32 v47, 0x1080, v197
	s_waitcnt lgkmcnt(1)
	v_ashrrev_i32_e32 v179, s14, v179
	ds_read2_b32 v[47:48], v47 offset1:1
	v_ashrrev_i32_e32 v180, s14, v180
	v_lshlrev_b32_e32 v179, 2, v179
	v_lshlrev_b32_e32 v180, 2, v180
	v_and_b32_e32 v179, 0x4040404, v179
	v_and_b32_e32 v180, 0x4040404, v180
	v_lshrrev_b16 v187, 8, v179
	v_lshrrev_b32_e32 v185, 16, v179
	v_lshrrev_b32_e32 v186, 24, v179
	s_waitcnt lgkmcnt(0)
	v_ashrrev_i32_e32 v47, s16, v47
	v_and_b32_e32 v181, 0x3030303, v47
	v_bfe_u32 v47, v47, 24, 2
	v_lshrrev_b16 v183, 8, v181
	v_lshrrev_b32_e32 v182, 16, v181
	v_sub_nc_u16 v179, v181, v179
	v_sub_nc_u16 v47, v47, v186
	v_lshrrev_b16 v186, 8, v180
	v_sub_nc_u16 v181, v183, v187
	v_lshrrev_b32_e32 v183, 16, v180
	v_lshlrev_b16 v47, 8, v47
	v_lshlrev_b16 v181, 8, v181
	v_or_b32_sdwa v179, v179, v181 dst_sel:DWORD dst_unused:UNUSED_PAD src0_sel:BYTE_0 src1_sel:DWORD
	v_sub_nc_u16 v181, v182, v185
	v_lshrrev_b32_e32 v185, 24, v180
	v_or_b32_sdwa v47, v181, v47 dst_sel:WORD_1 dst_unused:UNUSED_PAD src0_sel:BYTE_0 src1_sel:DWORD
	v_or_b32_sdwa v181, v179, v47 dst_sel:DWORD dst_unused:UNUSED_PAD src0_sel:WORD_0 src1_sel:DWORD
	v_ashrrev_i32_e32 v47, s16, v48
	v_dot4c_i32_i8 v207, v181, v38
	v_and_b32_e32 v48, 0x3030303, v47
	v_bfe_u32 v47, v47, 24, 2
	v_lshrrev_b16 v182, 8, v48
	v_lshrrev_b32_e32 v179, 16, v48
	v_sub_nc_u16 v48, v48, v180
	v_sub_nc_u16 v47, v47, v185
	;; [unrolled: 1-line block ×4, first 2 shown]
	v_lshlrev_b16 v47, 8, v47
	v_lshlrev_b16 v180, 8, v180
	v_or_b32_sdwa v47, v179, v47 dst_sel:WORD_1 dst_unused:UNUSED_PAD src0_sel:BYTE_0 src1_sel:DWORD
	v_or_b32_sdwa v48, v48, v180 dst_sel:DWORD dst_unused:UNUSED_PAD src0_sel:BYTE_0 src1_sel:DWORD
	ds_read2_b32 v[179:180], v184 offset0:2 offset1:3
	v_or_b32_sdwa v182, v48, v47 dst_sel:DWORD dst_unused:UNUSED_PAD src0_sel:WORD_0 src1_sel:DWORD
	v_add_nc_u32_e32 v47, 0x1088, v197
	v_dot4c_i32_i8 v207, v182, v39
	ds_read2_b32 v[47:48], v47 offset1:1
	s_waitcnt lgkmcnt(1)
	v_ashrrev_i32_e32 v179, s14, v179
	v_ashrrev_i32_e32 v180, s14, v180
	v_lshlrev_b32_e32 v179, 2, v179
	v_lshlrev_b32_e32 v180, 2, v180
	s_waitcnt lgkmcnt(0)
	v_ashrrev_i32_e32 v47, s16, v47
	v_and_b32_e32 v179, 0x4040404, v179
	v_and_b32_e32 v180, 0x4040404, v180
	;; [unrolled: 1-line block ×3, first 2 shown]
	v_bfe_u32 v47, v47, 24, 2
	v_lshrrev_b16 v189, 8, v179
	v_lshrrev_b32_e32 v187, 16, v179
	v_lshrrev_b32_e32 v188, 24, v179
	v_lshrrev_b16 v186, 8, v183
	v_lshrrev_b32_e32 v185, 16, v183
	v_sub_nc_u16 v179, v183, v179
	v_sub_nc_u16 v47, v47, v188
	;; [unrolled: 1-line block ×3, first 2 shown]
	v_lshrrev_b16 v188, 8, v180
	v_lshrrev_b32_e32 v186, 16, v180
	v_lshlrev_b16 v47, 8, v47
	v_lshlrev_b16 v183, 8, v183
	v_or_b32_sdwa v179, v179, v183 dst_sel:DWORD dst_unused:UNUSED_PAD src0_sel:BYTE_0 src1_sel:DWORD
	v_sub_nc_u16 v183, v185, v187
	v_lshrrev_b32_e32 v187, 24, v180
	v_or_b32_sdwa v47, v183, v47 dst_sel:WORD_1 dst_unused:UNUSED_PAD src0_sel:BYTE_0 src1_sel:DWORD
	v_or_b32_sdwa v185, v179, v47 dst_sel:DWORD dst_unused:UNUSED_PAD src0_sel:WORD_0 src1_sel:DWORD
	v_ashrrev_i32_e32 v47, s16, v48
	v_dot4c_i32_i8 v207, v185, v40
	v_and_b32_e32 v48, 0x3030303, v47
	v_bfe_u32 v47, v47, 24, 2
	v_lshrrev_b16 v183, 8, v48
	v_lshrrev_b32_e32 v179, 16, v48
	v_sub_nc_u16 v48, v48, v180
	v_sub_nc_u16 v47, v47, v187
	;; [unrolled: 1-line block ×4, first 2 shown]
	v_lshlrev_b16 v47, 8, v47
	v_lshlrev_b16 v180, 8, v180
	v_or_b32_sdwa v47, v179, v47 dst_sel:WORD_1 dst_unused:UNUSED_PAD src0_sel:BYTE_0 src1_sel:DWORD
	v_or_b32_sdwa v48, v48, v180 dst_sel:DWORD dst_unused:UNUSED_PAD src0_sel:BYTE_0 src1_sel:DWORD
	ds_read2_b32 v[179:180], v184 offset0:4 offset1:5
	v_or_b32_sdwa v187, v48, v47 dst_sel:DWORD dst_unused:UNUSED_PAD src0_sel:WORD_0 src1_sel:DWORD
	v_add_nc_u32_e32 v47, 0x1090, v197
	v_dot4c_i32_i8 v207, v187, v41
	ds_read2_b32 v[47:48], v47 offset1:1
	s_waitcnt lgkmcnt(1)
	v_ashrrev_i32_e32 v179, s14, v179
	v_ashrrev_i32_e32 v180, s14, v180
	v_lshlrev_b32_e32 v179, 2, v179
	v_lshlrev_b32_e32 v180, 2, v180
	s_waitcnt lgkmcnt(0)
	v_ashrrev_i32_e32 v47, s16, v47
	v_and_b32_e32 v179, 0x4040404, v179
	v_and_b32_e32 v180, 0x4040404, v180
	;; [unrolled: 1-line block ×3, first 2 shown]
	v_bfe_u32 v47, v47, 24, 2
	v_lshrrev_b16 v191, 8, v179
	v_lshrrev_b32_e32 v189, 16, v179
	v_lshrrev_b32_e32 v190, 24, v179
	v_lshrrev_b16 v188, 8, v183
	v_lshrrev_b32_e32 v186, 16, v183
	v_sub_nc_u16 v179, v183, v179
	v_sub_nc_u16 v47, v47, v190
	;; [unrolled: 1-line block ×3, first 2 shown]
	v_lshrrev_b16 v190, 8, v180
	v_lshrrev_b32_e32 v188, 16, v180
	v_lshlrev_b16 v47, 8, v47
	v_lshlrev_b16 v183, 8, v183
	v_or_b32_sdwa v179, v179, v183 dst_sel:DWORD dst_unused:UNUSED_PAD src0_sel:BYTE_0 src1_sel:DWORD
	v_sub_nc_u16 v183, v186, v189
	v_lshrrev_b32_e32 v189, 24, v180
	v_or_b32_sdwa v47, v183, v47 dst_sel:WORD_1 dst_unused:UNUSED_PAD src0_sel:BYTE_0 src1_sel:DWORD
	v_or_b32_sdwa v179, v179, v47 dst_sel:DWORD dst_unused:UNUSED_PAD src0_sel:WORD_0 src1_sel:DWORD
	v_ashrrev_i32_e32 v47, s16, v48
	v_dot4c_i32_i8 v211, v179, v34
	v_and_b32_e32 v48, 0x3030303, v47
	v_bfe_u32 v47, v47, 24, 2
	v_lshrrev_b16 v186, 8, v48
	v_lshrrev_b32_e32 v183, 16, v48
	v_sub_nc_u16 v48, v48, v180
	v_sub_nc_u16 v47, v47, v189
	;; [unrolled: 1-line block ×3, first 2 shown]
	v_lshlrev_b16 v47, 8, v47
	v_lshlrev_b16 v180, 8, v180
	v_or_b32_sdwa v48, v48, v180 dst_sel:DWORD dst_unused:UNUSED_PAD src0_sel:BYTE_0 src1_sel:DWORD
	v_sub_nc_u16 v180, v183, v188
	ds_read2_b32 v[183:184], v184 offset0:6 offset1:7
	v_or_b32_sdwa v47, v180, v47 dst_sel:WORD_1 dst_unused:UNUSED_PAD src0_sel:BYTE_0 src1_sel:DWORD
	v_or_b32_sdwa v180, v48, v47 dst_sel:DWORD dst_unused:UNUSED_PAD src0_sel:WORD_0 src1_sel:DWORD
	v_add_nc_u32_e32 v47, 0x1098, v197
	v_dot4c_i32_i8 v211, v180, v35
	ds_read2_b32 v[47:48], v47 offset1:1
	s_waitcnt lgkmcnt(1)
	v_ashrrev_i32_e32 v183, s14, v183
	v_ashrrev_i32_e32 v184, s14, v184
	v_lshlrev_b32_e32 v183, 2, v183
	v_lshlrev_b32_e32 v184, 2, v184
	v_and_b32_e32 v183, 0x4040404, v183
	v_and_b32_e32 v184, 0x4040404, v184
	s_waitcnt lgkmcnt(0)
	v_ashrrev_i32_e32 v47, s16, v47
	v_lshrrev_b16 v192, 8, v183
	v_lshrrev_b32_e32 v190, 16, v183
	v_lshrrev_b32_e32 v191, 24, v183
	v_and_b32_e32 v186, 0x3030303, v47
	v_bfe_u32 v47, v47, 24, 2
	v_lshrrev_b16 v189, 8, v186
	v_lshrrev_b32_e32 v188, 16, v186
	v_sub_nc_u16 v183, v186, v183
	v_sub_nc_u16 v47, v47, v191
	v_lshrrev_b16 v191, 8, v184
	v_sub_nc_u16 v186, v189, v192
	v_lshrrev_b32_e32 v189, 16, v184
	v_lshlrev_b16 v47, 8, v47
	v_lshlrev_b16 v186, 8, v186
	v_or_b32_sdwa v183, v183, v186 dst_sel:DWORD dst_unused:UNUSED_PAD src0_sel:BYTE_0 src1_sel:DWORD
	v_sub_nc_u16 v186, v188, v190
	v_lshrrev_b32_e32 v190, 24, v184
	v_or_b32_sdwa v47, v186, v47 dst_sel:WORD_1 dst_unused:UNUSED_PAD src0_sel:BYTE_0 src1_sel:DWORD
	v_or_b32_sdwa v183, v183, v47 dst_sel:DWORD dst_unused:UNUSED_PAD src0_sel:WORD_0 src1_sel:DWORD
	v_ashrrev_i32_e32 v47, s16, v48
	v_dot4c_i32_i8 v211, v183, v36
	v_and_b32_e32 v48, 0x3030303, v47
	v_bfe_u32 v47, v47, 24, 2
	v_lshrrev_b16 v188, 8, v48
	v_lshrrev_b32_e32 v186, 16, v48
	v_sub_nc_u16 v48, v48, v184
	v_sub_nc_u16 v47, v47, v190
	;; [unrolled: 1-line block ×3, first 2 shown]
	v_lshlrev_b16 v47, 8, v47
	v_lshlrev_b16 v184, 8, v184
	v_or_b32_sdwa v48, v48, v184 dst_sel:DWORD dst_unused:UNUSED_PAD src0_sel:BYTE_0 src1_sel:DWORD
	v_sub_nc_u16 v184, v186, v189
	ds_read2_b32 v[188:189], v194 offset1:1
	v_or_b32_sdwa v47, v184, v47 dst_sel:WORD_1 dst_unused:UNUSED_PAD src0_sel:BYTE_0 src1_sel:DWORD
	v_or_b32_sdwa v186, v48, v47 dst_sel:DWORD dst_unused:UNUSED_PAD src0_sel:WORD_0 src1_sel:DWORD
	v_add3_u32 v47, s18, v159, v120
	v_dot4c_i32_i8 v211, v186, v37
	ds_read_b32 v184, v47
	v_add_nc_u32_e32 v47, 0x2100, v197
	s_waitcnt lgkmcnt(1)
	v_ashrrev_i32_e32 v188, s14, v188
	ds_read2_b32 v[47:48], v47 offset1:1
	v_ashrrev_i32_e32 v189, s14, v189
	v_lshlrev_b32_e32 v188, 2, v188
	v_lshlrev_b32_e32 v189, 2, v189
	v_and_b32_e32 v188, 0x4040404, v188
	v_and_b32_e32 v189, 0x4040404, v189
	v_lshrrev_b16 v196, 8, v188
	v_lshrrev_b32_e32 v193, 16, v188
	v_lshrrev_b32_e32 v195, 24, v188
	s_waitcnt lgkmcnt(0)
	v_ashrrev_i32_e32 v47, s16, v47
	v_and_b32_e32 v190, 0x3030303, v47
	v_bfe_u32 v47, v47, 24, 2
	v_lshrrev_b16 v192, 8, v190
	v_lshrrev_b32_e32 v191, 16, v190
	v_sub_nc_u16 v188, v190, v188
	v_sub_nc_u16 v47, v47, v195
	v_lshrrev_b16 v195, 8, v189
	v_sub_nc_u16 v190, v192, v196
	v_lshrrev_b32_e32 v192, 16, v189
	v_lshlrev_b16 v47, 8, v47
	v_lshlrev_b16 v190, 8, v190
	v_or_b32_sdwa v188, v188, v190 dst_sel:DWORD dst_unused:UNUSED_PAD src0_sel:BYTE_0 src1_sel:DWORD
	v_sub_nc_u16 v190, v191, v193
	v_lshrrev_b32_e32 v193, 24, v189
	v_or_b32_sdwa v47, v190, v47 dst_sel:WORD_1 dst_unused:UNUSED_PAD src0_sel:BYTE_0 src1_sel:DWORD
	v_or_b32_sdwa v188, v188, v47 dst_sel:DWORD dst_unused:UNUSED_PAD src0_sel:WORD_0 src1_sel:DWORD
	v_ashrrev_i32_e32 v47, s16, v48
	v_dot4c_i32_i8 v212, v188, v38
	v_and_b32_e32 v48, 0x3030303, v47
	v_bfe_u32 v47, v47, 24, 2
	v_lshrrev_b16 v191, 8, v48
	v_lshrrev_b32_e32 v190, 16, v48
	v_sub_nc_u16 v48, v48, v189
	v_sub_nc_u16 v47, v47, v193
	v_sub_nc_u16 v189, v191, v195
	v_lshlrev_b16 v47, 8, v47
	v_lshlrev_b16 v189, 8, v189
	v_or_b32_sdwa v48, v48, v189 dst_sel:DWORD dst_unused:UNUSED_PAD src0_sel:BYTE_0 src1_sel:DWORD
	v_sub_nc_u16 v189, v190, v192
	ds_read2_b32 v[190:191], v194 offset0:2 offset1:3
	v_or_b32_sdwa v47, v189, v47 dst_sel:WORD_1 dst_unused:UNUSED_PAD src0_sel:BYTE_0 src1_sel:DWORD
	v_or_b32_sdwa v189, v48, v47 dst_sel:DWORD dst_unused:UNUSED_PAD src0_sel:WORD_0 src1_sel:DWORD
	v_add_nc_u32_e32 v47, 0x2108, v197
	v_dot4c_i32_i8 v212, v189, v39
	ds_read2_b32 v[47:48], v47 offset1:1
	s_waitcnt lgkmcnt(1)
	v_ashrrev_i32_e32 v190, s14, v190
	v_ashrrev_i32_e32 v191, s14, v191
	v_lshlrev_b32_e32 v190, 2, v190
	v_lshlrev_b32_e32 v191, 2, v191
	v_and_b32_e32 v190, 0x4040404, v190
	v_and_b32_e32 v191, 0x4040404, v191
	s_waitcnt lgkmcnt(0)
	v_ashrrev_i32_e32 v47, s16, v47
	v_lshrrev_b16 v199, 8, v190
	v_lshrrev_b32_e32 v196, 16, v190
	v_lshrrev_b32_e32 v198, 24, v190
	v_and_b32_e32 v192, 0x3030303, v47
	v_bfe_u32 v47, v47, 24, 2
	v_lshrrev_b16 v195, 8, v192
	v_lshrrev_b32_e32 v193, 16, v192
	v_sub_nc_u16 v190, v192, v190
	v_sub_nc_u16 v47, v47, v198
	v_lshrrev_b16 v198, 8, v191
	v_sub_nc_u16 v192, v195, v199
	v_lshrrev_b32_e32 v195, 16, v191
	v_lshlrev_b16 v47, 8, v47
	v_lshlrev_b16 v192, 8, v192
	v_or_b32_sdwa v190, v190, v192 dst_sel:DWORD dst_unused:UNUSED_PAD src0_sel:BYTE_0 src1_sel:DWORD
	v_sub_nc_u16 v192, v193, v196
	v_lshrrev_b32_e32 v196, 24, v191
	v_or_b32_sdwa v47, v192, v47 dst_sel:WORD_1 dst_unused:UNUSED_PAD src0_sel:BYTE_0 src1_sel:DWORD
	v_or_b32_sdwa v190, v190, v47 dst_sel:DWORD dst_unused:UNUSED_PAD src0_sel:WORD_0 src1_sel:DWORD
	v_ashrrev_i32_e32 v47, s16, v48
	v_dot4c_i32_i8 v212, v190, v40
	v_and_b32_e32 v48, 0x3030303, v47
	v_bfe_u32 v47, v47, 24, 2
	v_lshrrev_b16 v193, 8, v48
	v_lshrrev_b32_e32 v192, 16, v48
	v_sub_nc_u16 v48, v48, v191
	v_sub_nc_u16 v47, v47, v196
	v_sub_nc_u16 v191, v193, v198
	v_lshlrev_b16 v47, 8, v47
	v_lshlrev_b16 v191, 8, v191
	v_or_b32_sdwa v48, v48, v191 dst_sel:DWORD dst_unused:UNUSED_PAD src0_sel:BYTE_0 src1_sel:DWORD
	v_sub_nc_u16 v191, v192, v195
	ds_read2_b32 v[192:193], v194 offset0:4 offset1:5
	v_or_b32_sdwa v47, v191, v47 dst_sel:WORD_1 dst_unused:UNUSED_PAD src0_sel:BYTE_0 src1_sel:DWORD
	v_or_b32_sdwa v191, v48, v47 dst_sel:DWORD dst_unused:UNUSED_PAD src0_sel:WORD_0 src1_sel:DWORD
	v_add_nc_u32_e32 v47, 0x2110, v197
	v_dot4c_i32_i8 v212, v191, v41
	ds_read2_b32 v[47:48], v47 offset1:1
	s_waitcnt lgkmcnt(1)
	v_ashrrev_i32_e32 v192, s14, v192
	v_ashrrev_i32_e32 v193, s14, v193
	v_lshlrev_b32_e32 v192, 2, v192
	v_lshlrev_b32_e32 v193, 2, v193
	v_and_b32_e32 v192, 0x4040404, v192
	v_and_b32_e32 v193, 0x4040404, v193
	s_waitcnt lgkmcnt(0)
	v_ashrrev_i32_e32 v47, s16, v47
	v_lshrrev_b16 v201, 8, v192
	v_lshrrev_b32_e32 v199, 16, v192
	v_lshrrev_b32_e32 v200, 24, v192
	;; [unrolled: 47-line block ×3, first 2 shown]
	v_and_b32_e32 v196, 0x3030303, v47
	v_bfe_u32 v47, v47, 24, 2
	v_lshrrev_b16 v199, 8, v196
	v_lshrrev_b32_e32 v198, 16, v196
	v_sub_nc_u16 v194, v196, v194
	v_sub_nc_u16 v47, v47, v201
	v_lshrrev_b16 v201, 8, v195
	v_sub_nc_u16 v196, v199, v202
	v_lshrrev_b32_e32 v199, 16, v195
	v_lshlrev_b16 v47, 8, v47
	v_lshlrev_b16 v196, 8, v196
	v_or_b32_sdwa v194, v194, v196 dst_sel:DWORD dst_unused:UNUSED_PAD src0_sel:BYTE_0 src1_sel:DWORD
	v_sub_nc_u16 v196, v198, v200
	v_lshrrev_b32_e32 v200, 24, v195
	v_or_b32_sdwa v47, v196, v47 dst_sel:WORD_1 dst_unused:UNUSED_PAD src0_sel:BYTE_0 src1_sel:DWORD
	v_or_b32_sdwa v194, v194, v47 dst_sel:DWORD dst_unused:UNUSED_PAD src0_sel:WORD_0 src1_sel:DWORD
	v_ashrrev_i32_e32 v47, s16, v48
	v_dot4c_i32_i8 v214, v194, v36
	v_and_b32_e32 v48, 0x3030303, v47
	v_bfe_u32 v47, v47, 24, 2
	v_lshrrev_b16 v198, 8, v48
	v_lshrrev_b32_e32 v196, 16, v48
	v_sub_nc_u16 v48, v48, v195
	v_sub_nc_u16 v47, v47, v200
	;; [unrolled: 1-line block ×3, first 2 shown]
	v_add3_u32 v201, s19, v162, v123
	v_lshlrev_b16 v47, 8, v47
	v_lshlrev_b16 v195, 8, v195
	ds_read2_b32 v[202:203], v201 offset1:1
	v_or_b32_sdwa v48, v48, v195 dst_sel:DWORD dst_unused:UNUSED_PAD src0_sel:BYTE_0 src1_sel:DWORD
	v_sub_nc_u16 v195, v196, v199
	v_or_b32_sdwa v47, v195, v47 dst_sel:WORD_1 dst_unused:UNUSED_PAD src0_sel:BYTE_0 src1_sel:DWORD
	v_or_b32_sdwa v196, v48, v47 dst_sel:DWORD dst_unused:UNUSED_PAD src0_sel:WORD_0 src1_sel:DWORD
	v_add3_u32 v47, s18, v161, v122
	v_dot4c_i32_i8 v214, v196, v37
	ds_read_b32 v195, v47
	v_add_nc_u32_e32 v47, 0x3180, v197
	s_waitcnt lgkmcnt(1)
	v_ashrrev_i32_e32 v202, s14, v202
	ds_read2_b32 v[47:48], v47 offset1:1
	v_lshlrev_b32_e32 v202, 2, v202
	v_and_b32_e32 v202, 0x4040404, v202
	v_lshrrev_b32_e32 v205, 24, v202
	v_lshrrev_b16 v215, 8, v202
	v_lshrrev_b32_e32 v204, 16, v202
	s_waitcnt lgkmcnt(0)
	v_ashrrev_i32_e32 v198, s16, v47
	v_and_b32_e32 v199, 0x3030303, v198
	v_bfe_u32 v198, v198, 24, 2
	v_lshrrev_b16 v200, 8, v199
	v_lshrrev_b32_e32 v47, 16, v199
	v_sub_nc_u16 v198, v198, v205
	v_sub_nc_u16 v199, v199, v202
	;; [unrolled: 1-line block ×4, first 2 shown]
	v_lshlrev_b16 v198, 8, v198
	v_lshlrev_b16 v200, 8, v200
	v_or_b32_sdwa v47, v47, v198 dst_sel:WORD_1 dst_unused:UNUSED_PAD src0_sel:BYTE_0 src1_sel:DWORD
	v_or_b32_sdwa v199, v199, v200 dst_sel:DWORD dst_unused:UNUSED_PAD src0_sel:BYTE_0 src1_sel:DWORD
	v_ashrrev_i32_e32 v200, s14, v203
	v_or_b32_sdwa v202, v199, v47 dst_sel:DWORD dst_unused:UNUSED_PAD src0_sel:WORD_0 src1_sel:DWORD
	v_ashrrev_i32_e32 v47, s16, v48
	v_lshlrev_b32_e32 v200, 2, v200
	v_and_b32_e32 v48, 0x3030303, v47
	v_and_b32_e32 v200, 0x4040404, v200
	v_bfe_u32 v47, v47, 24, 2
	v_lshrrev_b16 v199, 8, v48
	v_lshrrev_b32_e32 v204, 24, v200
	v_lshrrev_b16 v205, 8, v200
	v_lshrrev_b32_e32 v198, 16, v48
	v_lshrrev_b32_e32 v203, 16, v200
	v_sub_nc_u16 v48, v48, v200
	v_sub_nc_u16 v47, v47, v204
	v_sub_nc_u16 v199, v199, v205
	v_sub_nc_u16 v198, v198, v203
	v_lshlrev_b16 v47, 8, v47
	v_lshlrev_b16 v199, 8, v199
	v_or_b32_sdwa v47, v198, v47 dst_sel:WORD_1 dst_unused:UNUSED_PAD src0_sel:BYTE_0 src1_sel:DWORD
	v_or_b32_sdwa v48, v48, v199 dst_sel:DWORD dst_unused:UNUSED_PAD src0_sel:BYTE_0 src1_sel:DWORD
	ds_read2_b32 v[198:199], v201 offset0:2 offset1:3
	v_or_b32_sdwa v203, v48, v47 dst_sel:DWORD dst_unused:UNUSED_PAD src0_sel:WORD_0 src1_sel:DWORD
	v_add_nc_u32_e32 v47, 0x3188, v197
	ds_read2_b32 v[47:48], v47 offset1:1
	s_waitcnt lgkmcnt(1)
	v_ashrrev_i32_e32 v198, s14, v198
	v_ashrrev_i32_e32 v199, s14, v199
	v_lshlrev_b32_e32 v198, 2, v198
	v_lshlrev_b32_e32 v199, 2, v199
	s_waitcnt lgkmcnt(0)
	v_ashrrev_i32_e32 v47, s16, v47
	v_and_b32_e32 v198, 0x4040404, v198
	v_and_b32_e32 v199, 0x4040404, v199
	;; [unrolled: 1-line block ×3, first 2 shown]
	v_lshrrev_b16 v217, 8, v198
	v_bfe_u32 v47, v47, 24, 2
	v_lshrrev_b32_e32 v215, 16, v198
	v_lshrrev_b32_e32 v216, 24, v198
	v_lshrrev_b16 v205, 8, v200
	v_lshrrev_b32_e32 v204, 16, v200
	v_sub_nc_u16 v198, v200, v198
	v_sub_nc_u16 v47, v47, v216
	;; [unrolled: 1-line block ×3, first 2 shown]
	v_lshrrev_b16 v216, 8, v199
	v_lshrrev_b32_e32 v205, 16, v199
	v_lshlrev_b16 v47, 8, v47
	v_lshlrev_b16 v200, 8, v200
	v_or_b32_sdwa v198, v198, v200 dst_sel:DWORD dst_unused:UNUSED_PAD src0_sel:BYTE_0 src1_sel:DWORD
	v_sub_nc_u16 v200, v204, v215
	v_lshrrev_b32_e32 v215, 24, v199
	v_or_b32_sdwa v47, v200, v47 dst_sel:WORD_1 dst_unused:UNUSED_PAD src0_sel:BYTE_0 src1_sel:DWORD
	v_or_b32_sdwa v204, v198, v47 dst_sel:DWORD dst_unused:UNUSED_PAD src0_sel:WORD_0 src1_sel:DWORD
	v_ashrrev_i32_e32 v47, s16, v48
	v_and_b32_e32 v48, 0x3030303, v47
	v_bfe_u32 v47, v47, 24, 2
	v_lshrrev_b16 v200, 8, v48
	v_lshrrev_b32_e32 v198, 16, v48
	v_sub_nc_u16 v48, v48, v199
	v_sub_nc_u16 v47, v47, v215
	;; [unrolled: 1-line block ×4, first 2 shown]
	v_lshlrev_b16 v47, 8, v47
	v_lshlrev_b16 v199, 8, v199
	v_or_b32_sdwa v47, v198, v47 dst_sel:WORD_1 dst_unused:UNUSED_PAD src0_sel:BYTE_0 src1_sel:DWORD
	v_or_b32_sdwa v48, v48, v199 dst_sel:DWORD dst_unused:UNUSED_PAD src0_sel:BYTE_0 src1_sel:DWORD
	ds_read2_b32 v[198:199], v201 offset0:4 offset1:5
	v_or_b32_sdwa v205, v48, v47 dst_sel:DWORD dst_unused:UNUSED_PAD src0_sel:WORD_0 src1_sel:DWORD
	v_add_nc_u32_e32 v47, 0x3190, v197
	ds_read2_b32 v[47:48], v47 offset1:1
	s_waitcnt lgkmcnt(1)
	v_ashrrev_i32_e32 v198, s14, v198
	v_ashrrev_i32_e32 v199, s14, v199
	v_lshlrev_b32_e32 v198, 2, v198
	v_lshlrev_b32_e32 v199, 2, v199
	s_waitcnt lgkmcnt(0)
	v_ashrrev_i32_e32 v47, s16, v47
	v_and_b32_e32 v198, 0x4040404, v198
	v_and_b32_e32 v199, 0x4040404, v199
	v_and_b32_e32 v200, 0x3030303, v47
	v_bfe_u32 v47, v47, 24, 2
	v_lshrrev_b16 v219, 8, v198
	v_lshrrev_b32_e32 v217, 16, v198
	v_lshrrev_b32_e32 v218, 24, v198
	v_lshrrev_b16 v216, 8, v200
	v_lshrrev_b32_e32 v215, 16, v200
	v_sub_nc_u16 v198, v200, v198
	v_sub_nc_u16 v47, v47, v218
	v_sub_nc_u16 v200, v216, v219
	v_lshrrev_b16 v218, 8, v199
	v_lshrrev_b32_e32 v216, 16, v199
	v_lshlrev_b16 v47, 8, v47
	v_lshlrev_b16 v200, 8, v200
	v_or_b32_sdwa v198, v198, v200 dst_sel:DWORD dst_unused:UNUSED_PAD src0_sel:BYTE_0 src1_sel:DWORD
	v_sub_nc_u16 v200, v215, v217
	v_lshrrev_b32_e32 v217, 24, v199
	v_or_b32_sdwa v47, v200, v47 dst_sel:WORD_1 dst_unused:UNUSED_PAD src0_sel:BYTE_0 src1_sel:DWORD
	v_or_b32_sdwa v198, v198, v47 dst_sel:DWORD dst_unused:UNUSED_PAD src0_sel:WORD_0 src1_sel:DWORD
	v_ashrrev_i32_e32 v47, s16, v48
	v_and_b32_e32 v48, 0x3030303, v47
	v_bfe_u32 v47, v47, 24, 2
	v_lshrrev_b16 v215, 8, v48
	v_lshrrev_b32_e32 v200, 16, v48
	v_sub_nc_u16 v48, v48, v199
	v_sub_nc_u16 v47, v47, v217
	v_sub_nc_u16 v199, v215, v218
	v_lshlrev_b16 v47, 8, v47
	v_lshlrev_b16 v199, 8, v199
	v_or_b32_sdwa v48, v48, v199 dst_sel:DWORD dst_unused:UNUSED_PAD src0_sel:BYTE_0 src1_sel:DWORD
	v_sub_nc_u16 v199, v200, v216
	ds_read2_b32 v[200:201], v201 offset0:6 offset1:7
	v_or_b32_sdwa v47, v199, v47 dst_sel:WORD_1 dst_unused:UNUSED_PAD src0_sel:BYTE_0 src1_sel:DWORD
	v_or_b32_sdwa v199, v48, v47 dst_sel:DWORD dst_unused:UNUSED_PAD src0_sel:WORD_0 src1_sel:DWORD
	v_add_nc_u32_e32 v47, 0x3198, v197
	ds_read2_b32 v[47:48], v47 offset1:1
	s_waitcnt lgkmcnt(1)
	v_ashrrev_i32_e32 v200, s14, v200
	v_ashrrev_i32_e32 v201, s14, v201
	s_add_i32 s14, s14, 1
	s_cmp_lt_u32 s15, 22
	v_lshlrev_b32_e32 v200, 2, v200
	v_lshlrev_b32_e32 v201, 2, v201
	v_and_b32_e32 v200, 0x4040404, v200
	v_and_b32_e32 v201, 0x4040404, v201
	s_waitcnt lgkmcnt(0)
	v_ashrrev_i32_e32 v47, s16, v47
	v_lshrrev_b16 v219, 8, v200
	v_lshrrev_b32_e32 v217, 16, v200
	v_lshrrev_b32_e32 v218, 24, v200
	v_and_b32_e32 v197, 0x3030303, v47
	v_bfe_u32 v47, v47, 24, 2
	v_lshrrev_b16 v216, 8, v197
	v_lshrrev_b32_e32 v215, 16, v197
	v_sub_nc_u16 v197, v197, v200
	v_sub_nc_u16 v47, v47, v218
	v_lshrrev_b16 v218, 8, v201
	v_sub_nc_u16 v200, v216, v219
	v_lshrrev_b32_e32 v216, 16, v201
	v_mov_b32_e32 v219, 0
	v_lshlrev_b16 v47, 8, v47
	v_lshlrev_b16 v200, 8, v200
	v_or_b32_sdwa v197, v197, v200 dst_sel:DWORD dst_unused:UNUSED_PAD src0_sel:BYTE_0 src1_sel:DWORD
	v_sub_nc_u16 v200, v215, v217
	v_lshrrev_b32_e32 v217, 24, v201
	v_or_b32_sdwa v47, v200, v47 dst_sel:WORD_1 dst_unused:UNUSED_PAD src0_sel:BYTE_0 src1_sel:DWORD
	v_or_b32_sdwa v200, v197, v47 dst_sel:DWORD dst_unused:UNUSED_PAD src0_sel:WORD_0 src1_sel:DWORD
	v_ashrrev_i32_e32 v47, s16, v48
	v_and_b32_e32 v48, 0x3030303, v47
	v_bfe_u32 v47, v47, 24, 2
	v_lshrrev_b32_e32 v197, 16, v48
	v_lshrrev_b16 v215, 8, v48
	v_sub_nc_u16 v48, v48, v201
	v_sub_nc_u16 v47, v47, v217
	v_add_nc_u32_e32 v217, s17, v131
	v_sub_nc_u16 v197, v197, v216
	v_sub_nc_u16 v201, v215, v218
	v_mov_b32_e32 v216, 0
	v_mov_b32_e32 v218, 0
	v_lshlrev_b16 v47, 8, v47
	s_mov_b32 s17, s15
	v_lshlrev_b16 v201, 8, v201
	v_dot4c_i32_i8 v216, v202, v38
	v_dot4c_i32_i8 v218, v198, v34
	v_or_b32_sdwa v47, v197, v47 dst_sel:WORD_1 dst_unused:UNUSED_PAD src0_sel:BYTE_0 src1_sel:DWORD
	v_or_b32_sdwa v48, v48, v201 dst_sel:DWORD dst_unused:UNUSED_PAD src0_sel:BYTE_0 src1_sel:DWORD
	v_dot4c_i32_i8 v216, v203, v39
	v_dot4c_i32_i8 v218, v199, v35
	v_or_b32_sdwa v201, v48, v47 dst_sel:DWORD dst_unused:UNUSED_PAD src0_sel:WORD_0 src1_sel:DWORD
	v_add3_u32 v47, s18, v163, v124
	v_dot4c_i32_i8 v216, v204, v40
	v_dot4c_i32_i8 v218, v200, v36
	ds_read_b32 v197, v47
	v_dot4c_i32_i8 v216, v205, v41
	v_dot4c_i32_i8 v218, v201, v37
	ds_read_b128 v[34:37], v168 offset:1024
	ds_read_b128 v[38:41], v168 offset:1040
	s_waitcnt lgkmcnt(1)
	v_dot4c_i32_i8 v231, v170, v34
	s_waitcnt lgkmcnt(0)
	v_dot4c_i32_i8 v237, v174, v38
	v_dot4c_i32_i8 v226, v181, v34
	;; [unrolled: 1-line block ×31, first 2 shown]
	ds_read2_b32 v[47:48], v169 offset0:64 offset1:96
	ds_read_b128 v[34:37], v168 offset:2048
	ds_read_b128 v[38:41], v168 offset:2064
	s_waitcnt lgkmcnt(1)
	v_dot4c_i32_i8 v234, v170, v34
	s_waitcnt lgkmcnt(0)
	v_dot4c_i32_i8 v233, v174, v38
	v_dot4c_i32_i8 v229, v181, v34
	;; [unrolled: 1-line block ×31, first 2 shown]
	ds_read_b128 v[38:41], v168 offset:3072
	ds_read_b128 v[34:37], v168 offset:3088
	ds_read_u16 v215, v208 offset:33522
	s_waitcnt lgkmcnt(2)
	v_dot4c_i32_i8 v232, v170, v38
	s_waitcnt lgkmcnt(1)
	v_dot4c_i32_i8 v235, v174, v34
	s_waitcnt lgkmcnt(0)
	v_lshrrev_b16 v208, 8, v215
	v_bfe_i32 v215, v215, 0, 8
	v_dot4c_i32_i8 v232, v171, v39
	v_dot4c_i32_i8 v235, v175, v35
	v_bfe_i32 v208, v208, 0, 8
	v_mul_lo_u32 v231, v231, v215
	v_dot4c_i32_i8 v232, v172, v40
	v_dot4c_i32_i8 v235, v176, v36
	v_mul_lo_u32 v233, v233, v208
	v_mul_lo_u32 v209, v209, v208
	v_dot4c_i32_i8 v232, v173, v41
	v_dot4c_i32_i8 v235, v178, v37
	v_mul_lo_u32 v232, v232, v215
	v_mad_u64_u32 v[233:234], null, v234, v215, v[233:234]
	v_mad_u64_u32 v[234:235], null, v235, v208, v[232:233]
                                        ; kill: def $vgpr232 killed $sgpr0 killed $exec
	v_mad_u64_u32 v[235:236], null, v206, v215, v[209:210]
	v_mad_u64_u32 v[231:232], null, v237, v208, v[231:232]
	ds_read_u16 v210, v210 offset:34546
	v_mul_f32_e32 v206, v177, v46
	v_mul_f32_e32 v209, v177, v45
	;; [unrolled: 1-line block ×3, first 2 shown]
	v_cvt_f32_i32_e32 v235, v235
	v_mul_f32_e32 v232, v177, v48
	v_cvt_f32_i32_e32 v231, v231
	v_cvt_f32_i32_e32 v234, v234
	;; [unrolled: 1-line block ×3, first 2 shown]
	v_fma_f32 v3, v209, v235, v3
	v_mov_b32_e32 v235, 0
	v_fmac_f32_e32 v2, v206, v231
	v_mov_b32_e32 v206, 0
	v_mov_b32_e32 v231, 0
	v_fma_f32 v5, v236, v233, v5
	v_fma_f32 v4, v232, v234, v4
	v_mov_b32_e32 v232, 0
	v_dot4c_i32_i8 v206, v181, v38
	v_dot4c_i32_i8 v231, v179, v34
	v_mov_b32_e32 v233, 0
	s_waitcnt lgkmcnt(0)
	v_lshrrev_b16 v209, 8, v210
	v_bfe_i32 v210, v210, 0, 8
	v_dot4c_i32_i8 v206, v182, v39
	v_dot4c_i32_i8 v231, v180, v35
	v_mov_b32_e32 v234, 0
	v_bfe_i32 v209, v209, 0, 8
	v_mul_lo_u32 v226, v226, v210
	v_dot4c_i32_i8 v206, v185, v40
	v_dot4c_i32_i8 v231, v183, v36
	v_mov_b32_e32 v236, 0
	v_mul_lo_u32 v230, v230, v209
	v_mul_lo_u32 v211, v211, v209
	v_dot4c_i32_i8 v206, v187, v41
	v_dot4c_i32_i8 v231, v186, v37
	v_mad_u64_u32 v[225:226], null, v225, v209, v[226:227]
	v_mul_f32_e32 v226, v184, v48
	v_mul_lo_u32 v206, v206, v210
	v_mad_u64_u32 v[229:230], null, v229, v210, v[230:231]
	v_mov_b32_e32 v237, 0
	v_cvt_f32_i32_e32 v225, v225
	v_mad_u64_u32 v[230:231], null, v231, v209, v[206:207]
	v_mad_u64_u32 v[206:207], null, v207, v210, v[211:212]
	v_mul_f32_e32 v211, v184, v45
	v_mul_f32_e32 v207, v184, v46
	v_mul_f32_e32 v231, v184, v47
	v_cvt_f32_i32_e32 v229, v229
	v_cvt_f32_i32_e32 v230, v230
	;; [unrolled: 1-line block ×3, first 2 shown]
	v_fmac_f32_e32 v30, v207, v225
	v_mov_b32_e32 v225, 0
	v_fma_f32 v32, v226, v230, v32
	v_mov_b32_e32 v226, 0
	v_fma_f32 v31, v211, v206, v31
	ds_read_u16 v206, v213 offset:35570
	v_dot4c_i32_i8 v225, v188, v38
	v_fma_f32 v33, v231, v229, v33
	v_dot4c_i32_i8 v226, v192, v34
	v_mov_b32_e32 v230, 0
	v_mov_b32_e32 v231, 0
	v_dot4c_i32_i8 v225, v189, v39
	v_dot4c_i32_i8 v226, v193, v35
	;; [unrolled: 1-line block ×6, first 2 shown]
	s_waitcnt lgkmcnt(0)
	v_lshrrev_b16 v207, 8, v206
	v_bfe_i32 v213, v206, 0, 8
	v_bfe_i32 v211, v207, 0, 8
	v_mul_lo_u32 v206, v224, v213
	v_mul_lo_u32 v224, v228, v211
	;; [unrolled: 1-line block ×4, first 2 shown]
                                        ; kill: def $vgpr225 killed $sgpr0 killed $exec
	v_mad_u64_u32 v[224:225], null, v227, v213, v[224:225]
	v_mad_u64_u32 v[225:226], null, v226, v211, v[214:215]
	v_mad_u64_u32 v[226:227], null, v212, v213, v[207:208]
	v_mul_f32_e32 v212, v195, v45
                                        ; kill: def $vgpr207 killed $sgpr0 killed $exec
	v_mul_f32_e32 v214, v195, v48
	v_mad_u64_u32 v[206:207], null, v223, v211, v[206:207]
	v_mul_f32_e32 v207, v195, v46
	v_mul_f32_e32 v223, v195, v47
	v_cvt_f32_i32_e32 v226, v226
	v_cvt_f32_i32_e32 v225, v225
	;; [unrolled: 1-line block ×4, first 2 shown]
	v_fma_f32 v27, v212, v226, v27
	v_mov_b32_e32 v212, 0
	v_fma_f32 v28, v214, v225, v28
	v_mov_b32_e32 v225, 0
	v_fmac_f32_e32 v26, v207, v206
	v_fma_f32 v29, v223, v224, v29
	v_dot4c_i32_i8 v212, v202, v38
                                        ; kill: def $vgpr38 killed $sgpr0 killed $exec
	v_mov_b32_e32 v223, 0
	v_mov_b32_e32 v224, 0
	;; [unrolled: 1-line block ×3, first 2 shown]
	v_dot4c_i32_i8 v212, v203, v39
	v_mov_b32_e32 v39, 0
	v_dot4c_i32_i8 v212, v204, v40
	v_dot4c_i32_i8 v39, v198, v34
	ds_read_u16 v34, v217 offset:36594
	v_mov_b32_e32 v217, 0
	v_dot4c_i32_i8 v212, v205, v41
	v_dot4c_i32_i8 v39, v199, v35
	v_mul_f32_e32 v41, v197, v47
	v_mov_b32_e32 v47, 0
	v_dot4c_i32_i8 v39, v200, v36
	v_dot4c_i32_i8 v39, v201, v37
	s_waitcnt lgkmcnt(0)
	v_lshrrev_b16 v35, 8, v34
	v_bfe_i32 v207, v34, 0, 8
	v_bfe_i32 v206, v35, 0, 8
	v_mul_lo_u32 v36, v212, v207
	v_mul_lo_u32 v34, v220, v207
	v_mov_b32_e32 v212, 0
	v_mov_b32_e32 v220, 0
	v_mul_lo_u32 v37, v222, v206
	v_mul_lo_u32 v35, v218, v206
	v_mov_b32_e32 v218, 0
	v_mov_b32_e32 v222, 0
	v_mad_u64_u32 v[37:38], null, v221, v207, v[37:38]
	v_mov_b32_e32 v221, 0
	v_mad_u64_u32 v[38:39], null, v39, v206, v[36:37]
                                        ; kill: def $vgpr36 killed $sgpr0 killed $exec
	v_cvt_f32_i32_e32 v37, v37
	v_mad_u64_u32 v[35:36], null, v216, v207, v[35:36]
	v_mul_f32_e32 v36, v197, v45
	v_mov_b32_e32 v216, 0
	v_fma_f32 v25, v41, v37, v25
	v_cvt_f32_i32_e32 v38, v38
	v_mad_u64_u32 v[39:40], null, v219, v206, v[34:35]
	v_mul_f32_e32 v34, v197, v46
	v_mul_f32_e32 v40, v197, v48
	v_cvt_f32_i32_e32 v35, v35
	v_mov_b32_e32 v219, 0
	v_mov_b32_e32 v48, 0
	v_cvt_f32_i32_e32 v39, v39
	v_fma_f32 v24, v40, v38, v24
	v_fma_f32 v23, v36, v35, v23
	v_fmac_f32_e32 v22, v34, v39
	ds_read2_b32 v[45:46], v169 offset0:128 offset1:160
	ds_read_b128 v[38:41], v168 offset:4096
	ds_read_b128 v[34:37], v168 offset:4112
	s_waitcnt lgkmcnt(1)
	v_dot4c_i32_i8 v212, v170, v38
	v_dot4c_i32_i8 v218, v181, v38
	;; [unrolled: 1-line block ×4, first 2 shown]
	s_waitcnt lgkmcnt(0)
	v_dot4c_i32_i8 v225, v174, v34
	v_dot4c_i32_i8 v212, v171, v39
	;; [unrolled: 1-line block ×10, first 2 shown]
	v_mov_b32_e32 v40, 0
	v_dot4c_i32_i8 v219, v192, v34
	v_dot4c_i32_i8 v225, v175, v35
	v_dot4c_i32_i8 v220, v180, v35
	v_dot4c_i32_i8 v212, v173, v41
	v_dot4c_i32_i8 v40, v198, v34
	v_dot4c_i32_i8 v219, v193, v35
	v_dot4c_i32_i8 v225, v176, v36
	v_dot4c_i32_i8 v220, v183, v36
	v_dot4c_i32_i8 v218, v187, v41
	v_dot4c_i32_i8 v40, v199, v35
	v_dot4c_i32_i8 v219, v194, v36
	v_dot4c_i32_i8 v225, v178, v37
	v_dot4c_i32_i8 v220, v186, v37
	v_dot4c_i32_i8 v217, v191, v41
	v_dot4c_i32_i8 v40, v200, v36
	v_dot4c_i32_i8 v219, v196, v37
	v_dot4c_i32_i8 v47, v205, v41
	v_mov_b32_e32 v41, 0
	v_dot4c_i32_i8 v40, v201, v37
	ds_read_b128 v[34:37], v168 offset:5120
	ds_read_b128 v[226:229], v168 offset:5136
	s_waitcnt lgkmcnt(1)
	v_dot4c_i32_i8 v230, v170, v34
	s_waitcnt lgkmcnt(0)
	v_dot4c_i32_i8 v231, v174, v226
	v_dot4c_i32_i8 v223, v181, v34
	;; [unrolled: 1-line block ×31, first 2 shown]
	ds_read2_b32 v[38:39], v169 offset0:192 offset1:224
	ds_read_b128 v[34:37], v168 offset:6144
	ds_read_b128 v[226:229], v168 offset:6160
	v_add_nc_u32_e32 v169, 4, v169
	v_mul_lo_u32 v41, v41, v207
	s_waitcnt lgkmcnt(1)
	v_dot4c_i32_i8 v232, v170, v34
	s_waitcnt lgkmcnt(0)
	v_dot4c_i32_i8 v233, v174, v226
	v_dot4c_i32_i8 v234, v181, v34
	;; [unrolled: 1-line block ×31, first 2 shown]
	ds_read_b128 v[226:229], v168 offset:7168
	ds_read_b128 v[34:37], v168 offset:7184
	v_add_nc_u32_e32 v168, 32, v168
	s_waitcnt lgkmcnt(1)
	v_dot4c_i32_i8 v238, v170, v226
	s_waitcnt lgkmcnt(0)
	v_dot4c_i32_i8 v239, v174, v34
                                        ; kill: def $vgpr174 killed $sgpr0 killed $exec
	v_mul_lo_u32 v170, v230, v215
	v_dot4c_i32_i8 v238, v171, v227
	v_dot4c_i32_i8 v239, v175, v35
	v_mul_lo_u32 v171, v225, v208
	v_dot4c_i32_i8 v238, v172, v228
	v_dot4c_i32_i8 v239, v176, v36
	;; [unrolled: 1-line block ×3, first 2 shown]
	v_mul_lo_u32 v173, v233, v208
	v_dot4c_i32_i8 v239, v178, v37
	v_mul_lo_u32 v172, v238, v215
	v_mad_u64_u32 v[173:174], null, v232, v215, v[173:174]
	v_mad_u64_u32 v[174:175], null, v239, v208, v[172:173]
                                        ; kill: def $vgpr172 killed $sgpr0 killed $exec
	v_cvt_f32_i32_e32 v173, v173
	v_mad_u64_u32 v[171:172], null, v212, v215, v[171:172]
	v_mul_f32_e32 v172, v177, v45
	v_cvt_f32_i32_e32 v174, v174
	v_mad_u64_u32 v[175:176], null, v231, v208, v[170:171]
	v_cvt_f32_i32_e32 v171, v171
	v_mul_f32_e32 v170, v177, v46
	v_mul_f32_e32 v176, v177, v39
	;; [unrolled: 1-line block ×3, first 2 shown]
	v_fma_f32 v19, v172, v171, v19
	v_mov_b32_e32 v172, 0
	v_cvt_f32_i32_e32 v175, v175
	v_fma_f32 v21, v177, v173, v21
	v_mul_lo_u32 v173, v235, v209
	v_fma_f32 v20, v176, v174, v20
	v_dot4c_i32_i8 v172, v181, v226
	v_fmac_f32_e32 v18, v170, v175
	v_mov_b32_e32 v175, 0
                                        ; kill: def $vgpr174 killed $sgpr0 killed $exec
	v_mul_lo_u32 v171, v220, v209
	v_mul_lo_u32 v170, v223, v210
	v_dot4c_i32_i8 v172, v182, v227
	v_mad_u64_u32 v[173:174], null, v234, v210, v[173:174]
	v_dot4c_i32_i8 v175, v179, v34
	v_mul_f32_e32 v177, v184, v38
	v_dot4c_i32_i8 v172, v185, v228
	v_dot4c_i32_i8 v175, v180, v35
	;; [unrolled: 1-line block ×4, first 2 shown]
	v_mul_lo_u32 v172, v172, v210
	v_dot4c_i32_i8 v175, v186, v37
	v_mad_u64_u32 v[174:175], null, v175, v209, v[172:173]
                                        ; kill: def $vgpr172 killed $sgpr0 killed $exec
	v_cvt_f32_i32_e32 v173, v173
	v_mad_u64_u32 v[171:172], null, v218, v210, v[171:172]
	v_mul_f32_e32 v172, v184, v45
	v_fma_f32 v17, v177, v173, v17
	v_mul_lo_u32 v173, v237, v211
	v_cvt_f32_i32_e32 v174, v174
	v_mul_f32_e32 v177, v195, v38
	v_mad_u64_u32 v[175:176], null, v224, v209, v[170:171]
	v_cvt_f32_i32_e32 v171, v171
	v_mul_f32_e32 v170, v184, v46
	v_mul_f32_e32 v176, v184, v39
	v_fma_f32 v15, v172, v171, v15
	v_mov_b32_e32 v172, 0
	v_cvt_f32_i32_e32 v175, v175
	v_fma_f32 v16, v176, v174, v16
                                        ; kill: def $vgpr174 killed $sgpr0 killed $exec
	v_mul_lo_u32 v171, v219, v211
	v_mad_u64_u32 v[173:174], null, v236, v213, v[173:174]
	v_dot4c_i32_i8 v172, v188, v226
	v_fmac_f32_e32 v14, v170, v175
	v_mov_b32_e32 v175, 0
	v_mul_lo_u32 v170, v222, v213
	v_dot4c_i32_i8 v172, v189, v227
	v_dot4c_i32_i8 v175, v192, v34
	;; [unrolled: 1-line block ×6, first 2 shown]
	v_mul_lo_u32 v172, v172, v213
	v_dot4c_i32_i8 v175, v196, v37
	v_mad_u64_u32 v[174:175], null, v175, v211, v[172:173]
                                        ; kill: def $vgpr172 killed $sgpr0 killed $exec
	v_cvt_f32_i32_e32 v173, v173
	v_mad_u64_u32 v[171:172], null, v217, v213, v[171:172]
	v_mul_f32_e32 v172, v195, v45
	v_fma_f32 v13, v177, v173, v13
	v_cvt_f32_i32_e32 v174, v174
	v_mad_u64_u32 v[175:176], null, v221, v211, v[170:171]
	v_mul_f32_e32 v170, v195, v46
	v_cvt_f32_i32_e32 v171, v171
	v_mul_f32_e32 v176, v195, v39
	v_mul_f32_e32 v39, v197, v39
	v_cvt_f32_i32_e32 v175, v175
	v_fma_f32 v11, v172, v171, v11
	v_mov_b32_e32 v171, 0
	v_fma_f32 v12, v176, v174, v12
	v_fmac_f32_e32 v10, v170, v175
	v_mov_b32_e32 v170, 0
	v_dot4c_i32_i8 v171, v198, v34
	v_mul_lo_u32 v34, v216, v206
	v_dot4c_i32_i8 v170, v202, v226
	v_dot4c_i32_i8 v171, v199, v35
                                        ; kill: def $vgpr35 killed $sgpr0 killed $exec
	v_dot4c_i32_i8 v170, v203, v227
	v_dot4c_i32_i8 v171, v200, v36
	v_mad_u64_u32 v[34:35], null, v214, v207, v[34:35]
	v_dot4c_i32_i8 v170, v204, v228
	v_dot4c_i32_i8 v171, v201, v37
	v_mul_lo_u32 v37, v40, v206
	v_mad_u64_u32 v[40:41], null, v48, v206, v[41:42]
	v_dot4c_i32_i8 v170, v205, v229
	v_mul_f32_e32 v41, v197, v45
	v_cvt_f32_i32_e32 v34, v34
	v_mul_lo_u32 v36, v170, v207
	v_cvt_f32_i32_e32 v40, v40
	v_mad_u64_u32 v[35:36], null, v171, v206, v[36:37]
	v_mad_u64_u32 v[36:37], null, v47, v207, v[37:38]
	v_mul_f32_e32 v37, v197, v46
	v_mul_f32_e32 v38, v197, v38
	v_cvt_f32_i32_e32 v35, v35
	v_fmac_f32_e32 v6, v37, v40
	v_cvt_f32_i32_e32 v36, v36
	v_fma_f32 v9, v38, v34, v9
	v_fma_f32 v8, v39, v35, v8
	;; [unrolled: 1-line block ×3, first 2 shown]
	s_cbranch_scc1 .LBB129_12
; %bb.13:                               ;   in Loop: Header=BB129_6 Depth=1
	v_add_nc_u32_e32 v168, s0, v127
	v_add_nc_u32_e32 v47, 12, v167
	s_barrier
	buffer_gl0_inv
	v_add_nc_u32_e32 v34, v168, v109
	v_add_nc_u32_e32 v36, v168, v110
	;; [unrolled: 1-line block ×5, first 2 shown]
	v_mad_u64_u32 v[47:48], null, v47, 36, s[2:3]
	v_mad_i64_i32 v[34:35], null, v34, 36, v[43:44]
	v_add_nc_u32_e32 v167, v168, v114
	v_mad_i64_i32 v[36:37], null, v36, 36, v[43:44]
	v_add_nc_u32_e32 v169, v168, v115
	;; [unrolled: 2-line block ×3, first 2 shown]
	v_mad_i64_i32 v[40:41], null, v40, 36, v[43:44]
	v_mad_i64_i32 v[45:46], null, v45, 36, v[43:44]
	v_mad_i64_i32 v[167:168], null, v167, 36, v[43:44]
	v_mad_i64_i32 v[169:170], null, v169, 36, v[43:44]
	v_mad_i64_i32 v[171:172], null, v171, 36, v[43:44]
	s_clause 0x8
	global_load_dword v47, v[47:48], off
	global_load_dword v34, v[34:35], off offset:4
	global_load_dword v35, v[36:37], off offset:4
	;; [unrolled: 1-line block ×8, first 2 shown]
	v_mov_b32_e32 v167, v137
	v_mov_b32_e32 v168, v136
	s_mov_b32 s0, 24
	s_mov_b32 s16, 22
	;; [unrolled: 1-line block ×3, first 2 shown]
	s_waitcnt vmcnt(8)
	v_cvt_f32_f16_e32 v45, v47
	s_waitcnt vmcnt(7)
	ds_write_b32 v150, v34
	s_waitcnt vmcnt(6)
	ds_write_b32 v151, v35
	;; [unrolled: 2-line block ×8, first 2 shown]
	ds_write_b32 v108, v45
	s_waitcnt lgkmcnt(0)
	s_barrier
	buffer_gl0_inv
.LBB129_14:                             ;   Parent Loop BB129_6 Depth=1
                                        ; =>  This Inner Loop Header: Depth=2
	s_add_i32 s14, s16, 2
	ds_read2_b32 v[45:46], v168 offset1:32
	ds_read_b128 v[38:41], v167
	ds_read_b128 v[34:37], v167 offset:16
	s_lshr_b32 s17, s14, 4
	s_and_b32 s18, s14, 0x3ffffff8
	s_sub_i32 s15, s16, 22
	v_lshl_add_u32 v196, s18, 2, v117
	s_lshl_b32 s18, s17, 5
	s_lshl_b32 s17, s17, 2
	s_addk_i32 s18, 0x4200
	s_add_i32 s17, s17, 0x9380
	v_add3_u32 v175, s18, v164, v118
	ds_read2_b32 v[47:48], v196 offset1:1
	v_add3_u32 v183, s18, v158, v119
	v_add3_u32 v193, s18, v160, v121
	v_mov_b32_e32 v205, 0
	ds_read2_b32 v[169:170], v175 offset1:1
	v_mov_b32_e32 v208, 0
	v_mov_b32_e32 v206, 0
	;; [unrolled: 1-line block ×15, first 2 shown]
	s_waitcnt lgkmcnt(1)
	v_ashrrev_i32_e32 v47, s15, v47
	v_mov_b32_e32 v229, 0
	v_mov_b32_e32 v226, 0
	;; [unrolled: 1-line block ×3, first 2 shown]
	s_waitcnt lgkmcnt(0)
	v_ashrrev_i32_e32 v169, s1, v169
	v_and_b32_e32 v171, 0x3030303, v47
	v_bfe_u32 v47, v47, 24, 2
	v_ashrrev_i32_e32 v170, s1, v170
	v_mov_b32_e32 v220, 0
	v_lshlrev_b32_e32 v169, 2, v169
	v_lshrrev_b16 v173, 8, v171
	v_lshrrev_b32_e32 v172, 16, v171
	v_lshlrev_b32_e32 v170, 2, v170
	v_mov_b32_e32 v221, 0
	v_and_b32_e32 v169, 0x4040404, v169
	s_and_b32 s19, s0, -16
	v_mov_b32_e32 v231, 0
	v_and_b32_e32 v170, 0x4040404, v170
	s_add_i32 s16, s16, s19
	v_lshrrev_b16 v177, 8, v169
	v_lshrrev_b32_e32 v174, 16, v169
	v_lshrrev_b32_e32 v176, 24, v169
	v_sub_nc_u16 v169, v171, v169
	v_add_nc_u32_e32 v207, s16, v128
	v_sub_nc_u16 v171, v173, v177
	v_lshrrev_b32_e32 v173, 16, v170
	v_sub_nc_u16 v47, v47, v176
	v_lshrrev_b16 v176, 8, v170
	v_mov_b32_e32 v234, 0
	v_lshlrev_b16 v171, 8, v171
	v_add_nc_u32_e32 v209, s16, v129
	v_lshlrev_b16 v47, 8, v47
	v_add_nc_u32_e32 v212, s16, v130
	v_mov_b32_e32 v237, 0
	v_or_b32_sdwa v169, v169, v171 dst_sel:DWORD dst_unused:UNUSED_PAD src0_sel:BYTE_0 src1_sel:DWORD
	v_sub_nc_u16 v171, v172, v174
	v_lshrrev_b32_e32 v174, 24, v170
	v_mov_b32_e32 v238, 0
	v_or_b32_sdwa v47, v171, v47 dst_sel:WORD_1 dst_unused:UNUSED_PAD src0_sel:BYTE_0 src1_sel:DWORD
	v_or_b32_sdwa v169, v169, v47 dst_sel:DWORD dst_unused:UNUSED_PAD src0_sel:WORD_0 src1_sel:DWORD
	v_ashrrev_i32_e32 v47, s15, v48
	v_dot4c_i32_i8 v205, v169, v38
	v_and_b32_e32 v48, 0x3030303, v47
	v_bfe_u32 v47, v47, 24, 2
	v_lshrrev_b16 v172, 8, v48
	v_lshrrev_b32_e32 v171, 16, v48
	v_sub_nc_u16 v48, v48, v170
	v_sub_nc_u16 v47, v47, v174
	v_sub_nc_u16 v170, v172, v176
	v_lshlrev_b16 v47, 8, v47
	v_lshlrev_b16 v170, 8, v170
	v_or_b32_sdwa v48, v48, v170 dst_sel:DWORD dst_unused:UNUSED_PAD src0_sel:BYTE_0 src1_sel:DWORD
	v_sub_nc_u16 v170, v171, v173
	ds_read2_b32 v[171:172], v175 offset0:2 offset1:3
	v_or_b32_sdwa v47, v170, v47 dst_sel:WORD_1 dst_unused:UNUSED_PAD src0_sel:BYTE_0 src1_sel:DWORD
	v_or_b32_sdwa v170, v48, v47 dst_sel:DWORD dst_unused:UNUSED_PAD src0_sel:WORD_0 src1_sel:DWORD
	ds_read2_b32 v[47:48], v196 offset0:2 offset1:3
	v_dot4c_i32_i8 v205, v170, v39
	s_waitcnt lgkmcnt(1)
	v_ashrrev_i32_e32 v171, s1, v171
	v_ashrrev_i32_e32 v172, s1, v172
	v_lshlrev_b32_e32 v171, 2, v171
	v_lshlrev_b32_e32 v172, 2, v172
	s_waitcnt lgkmcnt(0)
	v_ashrrev_i32_e32 v47, s15, v47
	v_and_b32_e32 v171, 0x4040404, v171
	v_and_b32_e32 v172, 0x4040404, v172
	v_and_b32_e32 v173, 0x3030303, v47
	v_bfe_u32 v47, v47, 24, 2
	v_lshrrev_b16 v179, 8, v171
	v_lshrrev_b32_e32 v177, 16, v171
	v_lshrrev_b32_e32 v178, 24, v171
	v_lshrrev_b16 v176, 8, v173
	v_lshrrev_b32_e32 v174, 16, v173
	v_sub_nc_u16 v171, v173, v171
	v_sub_nc_u16 v47, v47, v178
	v_sub_nc_u16 v173, v176, v179
	v_lshrrev_b16 v178, 8, v172
	v_lshrrev_b32_e32 v176, 16, v172
	v_lshlrev_b16 v47, 8, v47
	v_lshlrev_b16 v173, 8, v173
	v_or_b32_sdwa v171, v171, v173 dst_sel:DWORD dst_unused:UNUSED_PAD src0_sel:BYTE_0 src1_sel:DWORD
	v_sub_nc_u16 v173, v174, v177
	v_lshrrev_b32_e32 v177, 24, v172
	v_or_b32_sdwa v47, v173, v47 dst_sel:WORD_1 dst_unused:UNUSED_PAD src0_sel:BYTE_0 src1_sel:DWORD
	v_or_b32_sdwa v171, v171, v47 dst_sel:DWORD dst_unused:UNUSED_PAD src0_sel:WORD_0 src1_sel:DWORD
	v_ashrrev_i32_e32 v47, s15, v48
	v_dot4c_i32_i8 v205, v171, v40
	v_and_b32_e32 v48, 0x3030303, v47
	v_bfe_u32 v47, v47, 24, 2
	v_lshrrev_b16 v174, 8, v48
	v_lshrrev_b32_e32 v173, 16, v48
	v_sub_nc_u16 v48, v48, v172
	v_sub_nc_u16 v47, v47, v177
	v_sub_nc_u16 v172, v174, v178
	v_lshlrev_b16 v47, 8, v47
	v_lshlrev_b16 v172, 8, v172
	v_or_b32_sdwa v48, v48, v172 dst_sel:DWORD dst_unused:UNUSED_PAD src0_sel:BYTE_0 src1_sel:DWORD
	v_sub_nc_u16 v172, v173, v176
	ds_read2_b32 v[173:174], v175 offset0:4 offset1:5
	v_or_b32_sdwa v47, v172, v47 dst_sel:WORD_1 dst_unused:UNUSED_PAD src0_sel:BYTE_0 src1_sel:DWORD
	v_or_b32_sdwa v172, v48, v47 dst_sel:DWORD dst_unused:UNUSED_PAD src0_sel:WORD_0 src1_sel:DWORD
	ds_read2_b32 v[47:48], v196 offset0:4 offset1:5
	v_dot4c_i32_i8 v205, v172, v41
	s_waitcnt lgkmcnt(1)
	v_ashrrev_i32_e32 v173, s1, v173
	v_ashrrev_i32_e32 v174, s1, v174
	v_lshlrev_b32_e32 v173, 2, v173
	v_lshlrev_b32_e32 v174, 2, v174
	s_waitcnt lgkmcnt(0)
	v_ashrrev_i32_e32 v47, s15, v47
	v_and_b32_e32 v173, 0x4040404, v173
	v_and_b32_e32 v174, 0x4040404, v174
	v_and_b32_e32 v176, 0x3030303, v47
	v_bfe_u32 v47, v47, 24, 2
	v_lshrrev_b16 v181, 8, v173
	v_lshrrev_b32_e32 v179, 16, v173
	v_lshrrev_b32_e32 v180, 24, v173
	v_lshrrev_b16 v178, 8, v176
	v_lshrrev_b32_e32 v177, 16, v176
	v_sub_nc_u16 v173, v176, v173
	v_sub_nc_u16 v47, v47, v180
	v_sub_nc_u16 v176, v178, v181
	v_lshrrev_b16 v180, 8, v174
	v_lshrrev_b32_e32 v178, 16, v174
	v_lshlrev_b16 v47, 8, v47
	v_lshlrev_b16 v176, 8, v176
	v_or_b32_sdwa v173, v173, v176 dst_sel:DWORD dst_unused:UNUSED_PAD src0_sel:BYTE_0 src1_sel:DWORD
	v_sub_nc_u16 v176, v177, v179
	v_lshrrev_b32_e32 v179, 24, v174
	v_or_b32_sdwa v47, v176, v47 dst_sel:WORD_1 dst_unused:UNUSED_PAD src0_sel:BYTE_0 src1_sel:DWORD
	v_or_b32_sdwa v173, v173, v47 dst_sel:DWORD dst_unused:UNUSED_PAD src0_sel:WORD_0 src1_sel:DWORD
	v_ashrrev_i32_e32 v47, s15, v48
	v_dot4c_i32_i8 v208, v173, v34
	v_and_b32_e32 v48, 0x3030303, v47
	v_bfe_u32 v47, v47, 24, 2
	v_lshrrev_b16 v177, 8, v48
	v_lshrrev_b32_e32 v176, 16, v48
	v_sub_nc_u16 v48, v48, v174
	v_sub_nc_u16 v47, v47, v179
	v_sub_nc_u16 v174, v177, v180
	v_lshlrev_b16 v47, 8, v47
	v_lshlrev_b16 v174, 8, v174
	v_or_b32_sdwa v48, v48, v174 dst_sel:DWORD dst_unused:UNUSED_PAD src0_sel:BYTE_0 src1_sel:DWORD
	v_sub_nc_u16 v174, v176, v178
	ds_read2_b32 v[175:176], v175 offset0:6 offset1:7
	v_or_b32_sdwa v47, v174, v47 dst_sel:WORD_1 dst_unused:UNUSED_PAD src0_sel:BYTE_0 src1_sel:DWORD
	v_or_b32_sdwa v174, v48, v47 dst_sel:DWORD dst_unused:UNUSED_PAD src0_sel:WORD_0 src1_sel:DWORD
	ds_read2_b32 v[47:48], v196 offset0:6 offset1:7
	v_dot4c_i32_i8 v208, v174, v35
	s_waitcnt lgkmcnt(1)
	v_ashrrev_i32_e32 v175, s1, v175
	v_ashrrev_i32_e32 v176, s1, v176
	v_lshlrev_b32_e32 v175, 2, v175
	v_lshlrev_b32_e32 v176, 2, v176
	s_waitcnt lgkmcnt(0)
	v_ashrrev_i32_e32 v47, s15, v47
	v_and_b32_e32 v175, 0x4040404, v175
	v_and_b32_e32 v176, 0x4040404, v176
	v_and_b32_e32 v177, 0x3030303, v47
	v_bfe_u32 v47, v47, 24, 2
	v_lshrrev_b16 v182, 8, v175
	v_lshrrev_b32_e32 v180, 16, v175
	v_lshrrev_b32_e32 v181, 24, v175
	v_lshrrev_b16 v179, 8, v177
	v_lshrrev_b32_e32 v178, 16, v177
	v_sub_nc_u16 v175, v177, v175
	v_sub_nc_u16 v47, v47, v181
	v_sub_nc_u16 v177, v179, v182
	v_lshrrev_b16 v181, 8, v176
	v_lshrrev_b32_e32 v179, 16, v176
	v_lshlrev_b16 v47, 8, v47
	v_lshlrev_b16 v177, 8, v177
	v_or_b32_sdwa v175, v175, v177 dst_sel:DWORD dst_unused:UNUSED_PAD src0_sel:BYTE_0 src1_sel:DWORD
	v_sub_nc_u16 v177, v178, v180
	v_lshrrev_b32_e32 v180, 24, v176
	v_or_b32_sdwa v47, v177, v47 dst_sel:WORD_1 dst_unused:UNUSED_PAD src0_sel:BYTE_0 src1_sel:DWORD
	v_or_b32_sdwa v175, v175, v47 dst_sel:DWORD dst_unused:UNUSED_PAD src0_sel:WORD_0 src1_sel:DWORD
	v_ashrrev_i32_e32 v47, s15, v48
	v_dot4c_i32_i8 v208, v175, v36
	v_and_b32_e32 v48, 0x3030303, v47
	v_bfe_u32 v47, v47, 24, 2
	v_lshrrev_b16 v178, 8, v48
	v_lshrrev_b32_e32 v177, 16, v48
	v_sub_nc_u16 v48, v48, v176
	v_sub_nc_u16 v47, v47, v180
	;; [unrolled: 1-line block ×3, first 2 shown]
	v_lshlrev_b16 v47, 8, v47
	v_lshlrev_b16 v176, 8, v176
	v_or_b32_sdwa v48, v48, v176 dst_sel:DWORD dst_unused:UNUSED_PAD src0_sel:BYTE_0 src1_sel:DWORD
	v_sub_nc_u16 v176, v177, v179
	ds_read2_b32 v[178:179], v183 offset1:1
	v_or_b32_sdwa v47, v176, v47 dst_sel:WORD_1 dst_unused:UNUSED_PAD src0_sel:BYTE_0 src1_sel:DWORD
	v_or_b32_sdwa v177, v48, v47 dst_sel:DWORD dst_unused:UNUSED_PAD src0_sel:WORD_0 src1_sel:DWORD
	v_add3_u32 v47, s17, v165, v166
	v_dot4c_i32_i8 v208, v177, v37
	ds_read_b32 v176, v47
	v_add_nc_u32_e32 v47, 0x1080, v196
	s_waitcnt lgkmcnt(1)
	v_ashrrev_i32_e32 v178, s1, v178
	ds_read2_b32 v[47:48], v47 offset1:1
	v_ashrrev_i32_e32 v179, s1, v179
	v_lshlrev_b32_e32 v178, 2, v178
	v_lshlrev_b32_e32 v179, 2, v179
	v_and_b32_e32 v178, 0x4040404, v178
	v_and_b32_e32 v179, 0x4040404, v179
	v_lshrrev_b16 v186, 8, v178
	v_lshrrev_b32_e32 v184, 16, v178
	v_lshrrev_b32_e32 v185, 24, v178
	s_waitcnt lgkmcnt(0)
	v_ashrrev_i32_e32 v47, s15, v47
	v_and_b32_e32 v180, 0x3030303, v47
	v_bfe_u32 v47, v47, 24, 2
	v_lshrrev_b16 v182, 8, v180
	v_lshrrev_b32_e32 v181, 16, v180
	v_sub_nc_u16 v178, v180, v178
	v_sub_nc_u16 v47, v47, v185
	v_lshrrev_b16 v185, 8, v179
	v_sub_nc_u16 v180, v182, v186
	v_lshrrev_b32_e32 v182, 16, v179
	v_lshlrev_b16 v47, 8, v47
	v_lshlrev_b16 v180, 8, v180
	v_or_b32_sdwa v178, v178, v180 dst_sel:DWORD dst_unused:UNUSED_PAD src0_sel:BYTE_0 src1_sel:DWORD
	v_sub_nc_u16 v180, v181, v184
	v_lshrrev_b32_e32 v184, 24, v179
	v_or_b32_sdwa v47, v180, v47 dst_sel:WORD_1 dst_unused:UNUSED_PAD src0_sel:BYTE_0 src1_sel:DWORD
	v_or_b32_sdwa v180, v178, v47 dst_sel:DWORD dst_unused:UNUSED_PAD src0_sel:WORD_0 src1_sel:DWORD
	v_ashrrev_i32_e32 v47, s15, v48
	v_dot4c_i32_i8 v206, v180, v38
	v_and_b32_e32 v48, 0x3030303, v47
	v_bfe_u32 v47, v47, 24, 2
	v_lshrrev_b16 v181, 8, v48
	v_lshrrev_b32_e32 v178, 16, v48
	v_sub_nc_u16 v48, v48, v179
	v_sub_nc_u16 v47, v47, v184
	;; [unrolled: 1-line block ×4, first 2 shown]
	v_lshlrev_b16 v47, 8, v47
	v_lshlrev_b16 v179, 8, v179
	v_or_b32_sdwa v47, v178, v47 dst_sel:WORD_1 dst_unused:UNUSED_PAD src0_sel:BYTE_0 src1_sel:DWORD
	v_or_b32_sdwa v48, v48, v179 dst_sel:DWORD dst_unused:UNUSED_PAD src0_sel:BYTE_0 src1_sel:DWORD
	ds_read2_b32 v[178:179], v183 offset0:2 offset1:3
	v_or_b32_sdwa v181, v48, v47 dst_sel:DWORD dst_unused:UNUSED_PAD src0_sel:WORD_0 src1_sel:DWORD
	v_add_nc_u32_e32 v47, 0x1088, v196
	v_dot4c_i32_i8 v206, v181, v39
	ds_read2_b32 v[47:48], v47 offset1:1
	s_waitcnt lgkmcnt(1)
	v_ashrrev_i32_e32 v178, s1, v178
	v_ashrrev_i32_e32 v179, s1, v179
	v_lshlrev_b32_e32 v178, 2, v178
	v_lshlrev_b32_e32 v179, 2, v179
	s_waitcnt lgkmcnt(0)
	v_ashrrev_i32_e32 v47, s15, v47
	v_and_b32_e32 v178, 0x4040404, v178
	v_and_b32_e32 v179, 0x4040404, v179
	;; [unrolled: 1-line block ×3, first 2 shown]
	v_bfe_u32 v47, v47, 24, 2
	v_lshrrev_b16 v188, 8, v178
	v_lshrrev_b32_e32 v186, 16, v178
	v_lshrrev_b32_e32 v187, 24, v178
	v_lshrrev_b16 v185, 8, v182
	v_lshrrev_b32_e32 v184, 16, v182
	v_sub_nc_u16 v178, v182, v178
	v_sub_nc_u16 v47, v47, v187
	;; [unrolled: 1-line block ×3, first 2 shown]
	v_lshrrev_b16 v187, 8, v179
	v_lshrrev_b32_e32 v185, 16, v179
	v_lshlrev_b16 v47, 8, v47
	v_lshlrev_b16 v182, 8, v182
	v_or_b32_sdwa v178, v178, v182 dst_sel:DWORD dst_unused:UNUSED_PAD src0_sel:BYTE_0 src1_sel:DWORD
	v_sub_nc_u16 v182, v184, v186
	v_lshrrev_b32_e32 v186, 24, v179
	v_or_b32_sdwa v47, v182, v47 dst_sel:WORD_1 dst_unused:UNUSED_PAD src0_sel:BYTE_0 src1_sel:DWORD
	v_or_b32_sdwa v184, v178, v47 dst_sel:DWORD dst_unused:UNUSED_PAD src0_sel:WORD_0 src1_sel:DWORD
	v_ashrrev_i32_e32 v47, s15, v48
	v_dot4c_i32_i8 v206, v184, v40
	v_and_b32_e32 v48, 0x3030303, v47
	v_bfe_u32 v47, v47, 24, 2
	v_lshrrev_b16 v182, 8, v48
	v_lshrrev_b32_e32 v178, 16, v48
	v_sub_nc_u16 v48, v48, v179
	v_sub_nc_u16 v47, v47, v186
	;; [unrolled: 1-line block ×4, first 2 shown]
	v_lshlrev_b16 v47, 8, v47
	v_lshlrev_b16 v179, 8, v179
	v_or_b32_sdwa v47, v178, v47 dst_sel:WORD_1 dst_unused:UNUSED_PAD src0_sel:BYTE_0 src1_sel:DWORD
	v_or_b32_sdwa v48, v48, v179 dst_sel:DWORD dst_unused:UNUSED_PAD src0_sel:BYTE_0 src1_sel:DWORD
	ds_read2_b32 v[178:179], v183 offset0:4 offset1:5
	v_or_b32_sdwa v186, v48, v47 dst_sel:DWORD dst_unused:UNUSED_PAD src0_sel:WORD_0 src1_sel:DWORD
	v_add_nc_u32_e32 v47, 0x1090, v196
	v_dot4c_i32_i8 v206, v186, v41
	ds_read2_b32 v[47:48], v47 offset1:1
	s_waitcnt lgkmcnt(1)
	v_ashrrev_i32_e32 v178, s1, v178
	v_ashrrev_i32_e32 v179, s1, v179
	v_lshlrev_b32_e32 v178, 2, v178
	v_lshlrev_b32_e32 v179, 2, v179
	s_waitcnt lgkmcnt(0)
	v_ashrrev_i32_e32 v47, s15, v47
	v_and_b32_e32 v178, 0x4040404, v178
	v_and_b32_e32 v179, 0x4040404, v179
	;; [unrolled: 1-line block ×3, first 2 shown]
	v_bfe_u32 v47, v47, 24, 2
	v_lshrrev_b16 v190, 8, v178
	v_lshrrev_b32_e32 v188, 16, v178
	v_lshrrev_b32_e32 v189, 24, v178
	v_lshrrev_b16 v187, 8, v182
	v_lshrrev_b32_e32 v185, 16, v182
	v_sub_nc_u16 v178, v182, v178
	v_sub_nc_u16 v47, v47, v189
	;; [unrolled: 1-line block ×3, first 2 shown]
	v_lshrrev_b16 v189, 8, v179
	v_lshrrev_b32_e32 v187, 16, v179
	v_lshlrev_b16 v47, 8, v47
	v_lshlrev_b16 v182, 8, v182
	v_or_b32_sdwa v178, v178, v182 dst_sel:DWORD dst_unused:UNUSED_PAD src0_sel:BYTE_0 src1_sel:DWORD
	v_sub_nc_u16 v182, v185, v188
	v_lshrrev_b32_e32 v188, 24, v179
	v_or_b32_sdwa v47, v182, v47 dst_sel:WORD_1 dst_unused:UNUSED_PAD src0_sel:BYTE_0 src1_sel:DWORD
	v_or_b32_sdwa v178, v178, v47 dst_sel:DWORD dst_unused:UNUSED_PAD src0_sel:WORD_0 src1_sel:DWORD
	v_ashrrev_i32_e32 v47, s15, v48
	v_dot4c_i32_i8 v210, v178, v34
	v_and_b32_e32 v48, 0x3030303, v47
	v_bfe_u32 v47, v47, 24, 2
	v_lshrrev_b16 v185, 8, v48
	v_lshrrev_b32_e32 v182, 16, v48
	v_sub_nc_u16 v48, v48, v179
	v_sub_nc_u16 v47, v47, v188
	;; [unrolled: 1-line block ×3, first 2 shown]
	v_lshlrev_b16 v47, 8, v47
	v_lshlrev_b16 v179, 8, v179
	v_or_b32_sdwa v48, v48, v179 dst_sel:DWORD dst_unused:UNUSED_PAD src0_sel:BYTE_0 src1_sel:DWORD
	v_sub_nc_u16 v179, v182, v187
	ds_read2_b32 v[182:183], v183 offset0:6 offset1:7
	v_or_b32_sdwa v47, v179, v47 dst_sel:WORD_1 dst_unused:UNUSED_PAD src0_sel:BYTE_0 src1_sel:DWORD
	v_or_b32_sdwa v179, v48, v47 dst_sel:DWORD dst_unused:UNUSED_PAD src0_sel:WORD_0 src1_sel:DWORD
	v_add_nc_u32_e32 v47, 0x1098, v196
	v_dot4c_i32_i8 v210, v179, v35
	ds_read2_b32 v[47:48], v47 offset1:1
	s_waitcnt lgkmcnt(1)
	v_ashrrev_i32_e32 v182, s1, v182
	v_ashrrev_i32_e32 v183, s1, v183
	v_lshlrev_b32_e32 v182, 2, v182
	v_lshlrev_b32_e32 v183, 2, v183
	v_and_b32_e32 v182, 0x4040404, v182
	v_and_b32_e32 v183, 0x4040404, v183
	s_waitcnt lgkmcnt(0)
	v_ashrrev_i32_e32 v47, s15, v47
	v_lshrrev_b16 v191, 8, v182
	v_lshrrev_b32_e32 v189, 16, v182
	v_lshrrev_b32_e32 v190, 24, v182
	v_and_b32_e32 v185, 0x3030303, v47
	v_bfe_u32 v47, v47, 24, 2
	v_lshrrev_b16 v188, 8, v185
	v_lshrrev_b32_e32 v187, 16, v185
	v_sub_nc_u16 v182, v185, v182
	v_sub_nc_u16 v47, v47, v190
	v_lshrrev_b16 v190, 8, v183
	v_sub_nc_u16 v185, v188, v191
	v_lshrrev_b32_e32 v188, 16, v183
	v_lshlrev_b16 v47, 8, v47
	v_lshlrev_b16 v185, 8, v185
	v_or_b32_sdwa v182, v182, v185 dst_sel:DWORD dst_unused:UNUSED_PAD src0_sel:BYTE_0 src1_sel:DWORD
	v_sub_nc_u16 v185, v187, v189
	v_lshrrev_b32_e32 v189, 24, v183
	v_or_b32_sdwa v47, v185, v47 dst_sel:WORD_1 dst_unused:UNUSED_PAD src0_sel:BYTE_0 src1_sel:DWORD
	v_or_b32_sdwa v182, v182, v47 dst_sel:DWORD dst_unused:UNUSED_PAD src0_sel:WORD_0 src1_sel:DWORD
	v_ashrrev_i32_e32 v47, s15, v48
	v_dot4c_i32_i8 v210, v182, v36
	v_and_b32_e32 v48, 0x3030303, v47
	v_bfe_u32 v47, v47, 24, 2
	v_lshrrev_b16 v187, 8, v48
	v_lshrrev_b32_e32 v185, 16, v48
	v_sub_nc_u16 v48, v48, v183
	v_sub_nc_u16 v47, v47, v189
	;; [unrolled: 1-line block ×3, first 2 shown]
	v_lshlrev_b16 v47, 8, v47
	v_lshlrev_b16 v183, 8, v183
	v_or_b32_sdwa v48, v48, v183 dst_sel:DWORD dst_unused:UNUSED_PAD src0_sel:BYTE_0 src1_sel:DWORD
	v_sub_nc_u16 v183, v185, v188
	ds_read2_b32 v[187:188], v193 offset1:1
	v_or_b32_sdwa v47, v183, v47 dst_sel:WORD_1 dst_unused:UNUSED_PAD src0_sel:BYTE_0 src1_sel:DWORD
	v_or_b32_sdwa v185, v48, v47 dst_sel:DWORD dst_unused:UNUSED_PAD src0_sel:WORD_0 src1_sel:DWORD
	v_add3_u32 v47, s17, v159, v120
	v_dot4c_i32_i8 v210, v185, v37
	ds_read_b32 v183, v47
	v_add_nc_u32_e32 v47, 0x2100, v196
	s_waitcnt lgkmcnt(1)
	v_ashrrev_i32_e32 v187, s1, v187
	ds_read2_b32 v[47:48], v47 offset1:1
	v_ashrrev_i32_e32 v188, s1, v188
	v_lshlrev_b32_e32 v187, 2, v187
	v_lshlrev_b32_e32 v188, 2, v188
	v_and_b32_e32 v187, 0x4040404, v187
	v_and_b32_e32 v188, 0x4040404, v188
	v_lshrrev_b16 v195, 8, v187
	v_lshrrev_b32_e32 v192, 16, v187
	v_lshrrev_b32_e32 v194, 24, v187
	s_waitcnt lgkmcnt(0)
	v_ashrrev_i32_e32 v47, s15, v47
	v_and_b32_e32 v189, 0x3030303, v47
	v_bfe_u32 v47, v47, 24, 2
	v_lshrrev_b16 v191, 8, v189
	v_lshrrev_b32_e32 v190, 16, v189
	v_sub_nc_u16 v187, v189, v187
	v_sub_nc_u16 v47, v47, v194
	v_lshrrev_b16 v194, 8, v188
	v_sub_nc_u16 v189, v191, v195
	v_lshrrev_b32_e32 v191, 16, v188
	v_lshlrev_b16 v47, 8, v47
	v_lshlrev_b16 v189, 8, v189
	v_or_b32_sdwa v187, v187, v189 dst_sel:DWORD dst_unused:UNUSED_PAD src0_sel:BYTE_0 src1_sel:DWORD
	v_sub_nc_u16 v189, v190, v192
	v_lshrrev_b32_e32 v192, 24, v188
	v_or_b32_sdwa v47, v189, v47 dst_sel:WORD_1 dst_unused:UNUSED_PAD src0_sel:BYTE_0 src1_sel:DWORD
	v_or_b32_sdwa v187, v187, v47 dst_sel:DWORD dst_unused:UNUSED_PAD src0_sel:WORD_0 src1_sel:DWORD
	v_ashrrev_i32_e32 v47, s15, v48
	v_dot4c_i32_i8 v211, v187, v38
	v_and_b32_e32 v48, 0x3030303, v47
	v_bfe_u32 v47, v47, 24, 2
	v_lshrrev_b16 v190, 8, v48
	v_lshrrev_b32_e32 v189, 16, v48
	v_sub_nc_u16 v48, v48, v188
	v_sub_nc_u16 v47, v47, v192
	v_sub_nc_u16 v188, v190, v194
	v_lshlrev_b16 v47, 8, v47
	v_lshlrev_b16 v188, 8, v188
	v_or_b32_sdwa v48, v48, v188 dst_sel:DWORD dst_unused:UNUSED_PAD src0_sel:BYTE_0 src1_sel:DWORD
	v_sub_nc_u16 v188, v189, v191
	ds_read2_b32 v[189:190], v193 offset0:2 offset1:3
	v_or_b32_sdwa v47, v188, v47 dst_sel:WORD_1 dst_unused:UNUSED_PAD src0_sel:BYTE_0 src1_sel:DWORD
	v_or_b32_sdwa v188, v48, v47 dst_sel:DWORD dst_unused:UNUSED_PAD src0_sel:WORD_0 src1_sel:DWORD
	v_add_nc_u32_e32 v47, 0x2108, v196
	v_dot4c_i32_i8 v211, v188, v39
	ds_read2_b32 v[47:48], v47 offset1:1
	s_waitcnt lgkmcnt(1)
	v_ashrrev_i32_e32 v189, s1, v189
	v_ashrrev_i32_e32 v190, s1, v190
	v_lshlrev_b32_e32 v189, 2, v189
	v_lshlrev_b32_e32 v190, 2, v190
	v_and_b32_e32 v189, 0x4040404, v189
	v_and_b32_e32 v190, 0x4040404, v190
	s_waitcnt lgkmcnt(0)
	v_ashrrev_i32_e32 v47, s15, v47
	v_lshrrev_b16 v198, 8, v189
	v_lshrrev_b32_e32 v195, 16, v189
	v_lshrrev_b32_e32 v197, 24, v189
	v_and_b32_e32 v191, 0x3030303, v47
	v_bfe_u32 v47, v47, 24, 2
	v_lshrrev_b16 v194, 8, v191
	v_lshrrev_b32_e32 v192, 16, v191
	v_sub_nc_u16 v189, v191, v189
	v_sub_nc_u16 v47, v47, v197
	v_lshrrev_b16 v197, 8, v190
	v_sub_nc_u16 v191, v194, v198
	v_lshrrev_b32_e32 v194, 16, v190
	v_lshlrev_b16 v47, 8, v47
	v_lshlrev_b16 v191, 8, v191
	v_or_b32_sdwa v189, v189, v191 dst_sel:DWORD dst_unused:UNUSED_PAD src0_sel:BYTE_0 src1_sel:DWORD
	v_sub_nc_u16 v191, v192, v195
	v_lshrrev_b32_e32 v195, 24, v190
	v_or_b32_sdwa v47, v191, v47 dst_sel:WORD_1 dst_unused:UNUSED_PAD src0_sel:BYTE_0 src1_sel:DWORD
	v_or_b32_sdwa v189, v189, v47 dst_sel:DWORD dst_unused:UNUSED_PAD src0_sel:WORD_0 src1_sel:DWORD
	v_ashrrev_i32_e32 v47, s15, v48
	v_dot4c_i32_i8 v211, v189, v40
	v_and_b32_e32 v48, 0x3030303, v47
	v_bfe_u32 v47, v47, 24, 2
	v_lshrrev_b16 v192, 8, v48
	v_lshrrev_b32_e32 v191, 16, v48
	v_sub_nc_u16 v48, v48, v190
	v_sub_nc_u16 v47, v47, v195
	v_sub_nc_u16 v190, v192, v197
	v_lshlrev_b16 v47, 8, v47
	v_lshlrev_b16 v190, 8, v190
	v_or_b32_sdwa v48, v48, v190 dst_sel:DWORD dst_unused:UNUSED_PAD src0_sel:BYTE_0 src1_sel:DWORD
	v_sub_nc_u16 v190, v191, v194
	ds_read2_b32 v[191:192], v193 offset0:4 offset1:5
	v_or_b32_sdwa v47, v190, v47 dst_sel:WORD_1 dst_unused:UNUSED_PAD src0_sel:BYTE_0 src1_sel:DWORD
	v_or_b32_sdwa v190, v48, v47 dst_sel:DWORD dst_unused:UNUSED_PAD src0_sel:WORD_0 src1_sel:DWORD
	v_add_nc_u32_e32 v47, 0x2110, v196
	v_dot4c_i32_i8 v211, v190, v41
	ds_read2_b32 v[47:48], v47 offset1:1
	s_waitcnt lgkmcnt(1)
	v_ashrrev_i32_e32 v191, s1, v191
	v_ashrrev_i32_e32 v192, s1, v192
	v_lshlrev_b32_e32 v191, 2, v191
	v_lshlrev_b32_e32 v192, 2, v192
	v_and_b32_e32 v191, 0x4040404, v191
	v_and_b32_e32 v192, 0x4040404, v192
	s_waitcnt lgkmcnt(0)
	v_ashrrev_i32_e32 v47, s15, v47
	v_lshrrev_b16 v200, 8, v191
	v_lshrrev_b32_e32 v198, 16, v191
	v_lshrrev_b32_e32 v199, 24, v191
	;; [unrolled: 47-line block ×3, first 2 shown]
	v_and_b32_e32 v195, 0x3030303, v47
	v_bfe_u32 v47, v47, 24, 2
	v_lshrrev_b16 v198, 8, v195
	v_lshrrev_b32_e32 v197, 16, v195
	v_sub_nc_u16 v193, v195, v193
	v_sub_nc_u16 v47, v47, v200
	v_lshrrev_b16 v200, 8, v194
	v_sub_nc_u16 v195, v198, v201
	v_lshrrev_b32_e32 v198, 16, v194
	v_lshlrev_b16 v47, 8, v47
	v_lshlrev_b16 v195, 8, v195
	v_or_b32_sdwa v193, v193, v195 dst_sel:DWORD dst_unused:UNUSED_PAD src0_sel:BYTE_0 src1_sel:DWORD
	v_sub_nc_u16 v195, v197, v199
	v_lshrrev_b32_e32 v199, 24, v194
	v_or_b32_sdwa v47, v195, v47 dst_sel:WORD_1 dst_unused:UNUSED_PAD src0_sel:BYTE_0 src1_sel:DWORD
	v_or_b32_sdwa v193, v193, v47 dst_sel:DWORD dst_unused:UNUSED_PAD src0_sel:WORD_0 src1_sel:DWORD
	v_ashrrev_i32_e32 v47, s15, v48
	v_dot4c_i32_i8 v213, v193, v36
	v_and_b32_e32 v48, 0x3030303, v47
	v_bfe_u32 v47, v47, 24, 2
	v_lshrrev_b16 v197, 8, v48
	v_lshrrev_b32_e32 v195, 16, v48
	v_sub_nc_u16 v48, v48, v194
	v_sub_nc_u16 v47, v47, v199
	;; [unrolled: 1-line block ×3, first 2 shown]
	v_add3_u32 v200, s18, v162, v123
	v_lshlrev_b16 v47, 8, v47
	v_lshlrev_b16 v194, 8, v194
	ds_read2_b32 v[201:202], v200 offset1:1
	v_or_b32_sdwa v48, v48, v194 dst_sel:DWORD dst_unused:UNUSED_PAD src0_sel:BYTE_0 src1_sel:DWORD
	v_sub_nc_u16 v194, v195, v198
	v_or_b32_sdwa v47, v194, v47 dst_sel:WORD_1 dst_unused:UNUSED_PAD src0_sel:BYTE_0 src1_sel:DWORD
	v_or_b32_sdwa v195, v48, v47 dst_sel:DWORD dst_unused:UNUSED_PAD src0_sel:WORD_0 src1_sel:DWORD
	v_add3_u32 v47, s17, v161, v122
	v_dot4c_i32_i8 v213, v195, v37
	ds_read_b32 v194, v47
	v_add_nc_u32_e32 v47, 0x3180, v196
	s_waitcnt lgkmcnt(1)
	v_ashrrev_i32_e32 v201, s1, v201
	ds_read2_b32 v[47:48], v47 offset1:1
	v_lshlrev_b32_e32 v201, 2, v201
	v_and_b32_e32 v201, 0x4040404, v201
	v_lshrrev_b32_e32 v204, 24, v201
	v_lshrrev_b16 v214, 8, v201
	v_lshrrev_b32_e32 v203, 16, v201
	s_waitcnt lgkmcnt(0)
	v_ashrrev_i32_e32 v197, s15, v47
	v_and_b32_e32 v198, 0x3030303, v197
	v_bfe_u32 v197, v197, 24, 2
	v_lshrrev_b16 v199, 8, v198
	v_lshrrev_b32_e32 v47, 16, v198
	v_sub_nc_u16 v197, v197, v204
	v_sub_nc_u16 v198, v198, v201
	;; [unrolled: 1-line block ×4, first 2 shown]
	v_lshlrev_b16 v197, 8, v197
	v_lshlrev_b16 v199, 8, v199
	v_or_b32_sdwa v47, v47, v197 dst_sel:WORD_1 dst_unused:UNUSED_PAD src0_sel:BYTE_0 src1_sel:DWORD
	v_or_b32_sdwa v198, v198, v199 dst_sel:DWORD dst_unused:UNUSED_PAD src0_sel:BYTE_0 src1_sel:DWORD
	v_ashrrev_i32_e32 v199, s1, v202
	v_or_b32_sdwa v201, v198, v47 dst_sel:DWORD dst_unused:UNUSED_PAD src0_sel:WORD_0 src1_sel:DWORD
	v_ashrrev_i32_e32 v47, s15, v48
	v_lshlrev_b32_e32 v199, 2, v199
	v_and_b32_e32 v48, 0x3030303, v47
	v_and_b32_e32 v199, 0x4040404, v199
	v_bfe_u32 v47, v47, 24, 2
	v_lshrrev_b16 v198, 8, v48
	v_lshrrev_b32_e32 v203, 24, v199
	v_lshrrev_b16 v204, 8, v199
	v_lshrrev_b32_e32 v197, 16, v48
	v_lshrrev_b32_e32 v202, 16, v199
	v_sub_nc_u16 v48, v48, v199
	v_sub_nc_u16 v47, v47, v203
	;; [unrolled: 1-line block ×4, first 2 shown]
	v_lshlrev_b16 v47, 8, v47
	v_lshlrev_b16 v198, 8, v198
	v_or_b32_sdwa v47, v197, v47 dst_sel:WORD_1 dst_unused:UNUSED_PAD src0_sel:BYTE_0 src1_sel:DWORD
	v_or_b32_sdwa v48, v48, v198 dst_sel:DWORD dst_unused:UNUSED_PAD src0_sel:BYTE_0 src1_sel:DWORD
	ds_read2_b32 v[197:198], v200 offset0:2 offset1:3
	v_or_b32_sdwa v202, v48, v47 dst_sel:DWORD dst_unused:UNUSED_PAD src0_sel:WORD_0 src1_sel:DWORD
	v_add_nc_u32_e32 v47, 0x3188, v196
	ds_read2_b32 v[47:48], v47 offset1:1
	s_waitcnt lgkmcnt(1)
	v_ashrrev_i32_e32 v197, s1, v197
	v_ashrrev_i32_e32 v198, s1, v198
	v_lshlrev_b32_e32 v197, 2, v197
	v_lshlrev_b32_e32 v198, 2, v198
	s_waitcnt lgkmcnt(0)
	v_ashrrev_i32_e32 v47, s15, v47
	v_and_b32_e32 v197, 0x4040404, v197
	v_and_b32_e32 v198, 0x4040404, v198
	v_and_b32_e32 v199, 0x3030303, v47
	v_lshrrev_b16 v216, 8, v197
	v_bfe_u32 v47, v47, 24, 2
	v_lshrrev_b32_e32 v214, 16, v197
	v_lshrrev_b32_e32 v215, 24, v197
	v_lshrrev_b16 v204, 8, v199
	v_lshrrev_b32_e32 v203, 16, v199
	v_sub_nc_u16 v197, v199, v197
	v_sub_nc_u16 v47, v47, v215
	;; [unrolled: 1-line block ×3, first 2 shown]
	v_lshrrev_b16 v215, 8, v198
	v_lshrrev_b32_e32 v204, 16, v198
	v_lshlrev_b16 v47, 8, v47
	v_lshlrev_b16 v199, 8, v199
	v_or_b32_sdwa v197, v197, v199 dst_sel:DWORD dst_unused:UNUSED_PAD src0_sel:BYTE_0 src1_sel:DWORD
	v_sub_nc_u16 v199, v203, v214
	v_lshrrev_b32_e32 v214, 24, v198
	v_or_b32_sdwa v47, v199, v47 dst_sel:WORD_1 dst_unused:UNUSED_PAD src0_sel:BYTE_0 src1_sel:DWORD
	v_or_b32_sdwa v203, v197, v47 dst_sel:DWORD dst_unused:UNUSED_PAD src0_sel:WORD_0 src1_sel:DWORD
	v_ashrrev_i32_e32 v47, s15, v48
	v_and_b32_e32 v48, 0x3030303, v47
	v_bfe_u32 v47, v47, 24, 2
	v_lshrrev_b16 v199, 8, v48
	v_lshrrev_b32_e32 v197, 16, v48
	v_sub_nc_u16 v48, v48, v198
	v_sub_nc_u16 v47, v47, v214
	;; [unrolled: 1-line block ×4, first 2 shown]
	v_lshlrev_b16 v47, 8, v47
	v_lshlrev_b16 v198, 8, v198
	v_or_b32_sdwa v47, v197, v47 dst_sel:WORD_1 dst_unused:UNUSED_PAD src0_sel:BYTE_0 src1_sel:DWORD
	v_or_b32_sdwa v48, v48, v198 dst_sel:DWORD dst_unused:UNUSED_PAD src0_sel:BYTE_0 src1_sel:DWORD
	ds_read2_b32 v[197:198], v200 offset0:4 offset1:5
	v_or_b32_sdwa v204, v48, v47 dst_sel:DWORD dst_unused:UNUSED_PAD src0_sel:WORD_0 src1_sel:DWORD
	v_add_nc_u32_e32 v47, 0x3190, v196
	ds_read2_b32 v[47:48], v47 offset1:1
	s_waitcnt lgkmcnt(1)
	v_ashrrev_i32_e32 v197, s1, v197
	v_ashrrev_i32_e32 v198, s1, v198
	v_lshlrev_b32_e32 v197, 2, v197
	v_lshlrev_b32_e32 v198, 2, v198
	s_waitcnt lgkmcnt(0)
	v_ashrrev_i32_e32 v47, s15, v47
	v_and_b32_e32 v197, 0x4040404, v197
	v_and_b32_e32 v198, 0x4040404, v198
	;; [unrolled: 1-line block ×3, first 2 shown]
	v_bfe_u32 v47, v47, 24, 2
	v_lshrrev_b16 v218, 8, v197
	v_lshrrev_b32_e32 v216, 16, v197
	v_lshrrev_b32_e32 v217, 24, v197
	v_lshrrev_b16 v215, 8, v199
	v_lshrrev_b32_e32 v214, 16, v199
	v_sub_nc_u16 v197, v199, v197
	v_sub_nc_u16 v47, v47, v217
	;; [unrolled: 1-line block ×3, first 2 shown]
	v_lshrrev_b16 v217, 8, v198
	v_lshrrev_b32_e32 v215, 16, v198
	v_lshlrev_b16 v47, 8, v47
	v_lshlrev_b16 v199, 8, v199
	v_or_b32_sdwa v197, v197, v199 dst_sel:DWORD dst_unused:UNUSED_PAD src0_sel:BYTE_0 src1_sel:DWORD
	v_sub_nc_u16 v199, v214, v216
	v_lshrrev_b32_e32 v216, 24, v198
	v_or_b32_sdwa v47, v199, v47 dst_sel:WORD_1 dst_unused:UNUSED_PAD src0_sel:BYTE_0 src1_sel:DWORD
	v_or_b32_sdwa v197, v197, v47 dst_sel:DWORD dst_unused:UNUSED_PAD src0_sel:WORD_0 src1_sel:DWORD
	v_ashrrev_i32_e32 v47, s15, v48
	v_and_b32_e32 v48, 0x3030303, v47
	v_bfe_u32 v47, v47, 24, 2
	v_lshrrev_b16 v214, 8, v48
	v_lshrrev_b32_e32 v199, 16, v48
	v_sub_nc_u16 v48, v48, v198
	v_sub_nc_u16 v47, v47, v216
	;; [unrolled: 1-line block ×3, first 2 shown]
	v_lshlrev_b16 v47, 8, v47
	v_lshlrev_b16 v198, 8, v198
	v_or_b32_sdwa v48, v48, v198 dst_sel:DWORD dst_unused:UNUSED_PAD src0_sel:BYTE_0 src1_sel:DWORD
	v_sub_nc_u16 v198, v199, v215
	ds_read2_b32 v[199:200], v200 offset0:6 offset1:7
	v_or_b32_sdwa v47, v198, v47 dst_sel:WORD_1 dst_unused:UNUSED_PAD src0_sel:BYTE_0 src1_sel:DWORD
	v_or_b32_sdwa v198, v48, v47 dst_sel:DWORD dst_unused:UNUSED_PAD src0_sel:WORD_0 src1_sel:DWORD
	v_add_nc_u32_e32 v47, 0x3198, v196
	ds_read2_b32 v[47:48], v47 offset1:1
	s_waitcnt lgkmcnt(1)
	v_ashrrev_i32_e32 v199, s1, v199
	v_ashrrev_i32_e32 v200, s1, v200
	s_add_i32 s1, s1, 1
	v_lshlrev_b32_e32 v199, 2, v199
	v_lshlrev_b32_e32 v200, 2, v200
	v_and_b32_e32 v199, 0x4040404, v199
	v_and_b32_e32 v200, 0x4040404, v200
	s_waitcnt lgkmcnt(0)
	v_ashrrev_i32_e32 v47, s15, v47
	v_lshrrev_b16 v218, 8, v199
	v_lshrrev_b32_e32 v216, 16, v199
	v_lshrrev_b32_e32 v217, 24, v199
	v_and_b32_e32 v196, 0x3030303, v47
	v_bfe_u32 v47, v47, 24, 2
	v_lshrrev_b16 v215, 8, v196
	v_lshrrev_b32_e32 v214, 16, v196
	v_sub_nc_u16 v196, v196, v199
	v_sub_nc_u16 v47, v47, v217
	v_lshrrev_b16 v217, 8, v200
	v_sub_nc_u16 v199, v215, v218
	v_lshrrev_b32_e32 v215, 16, v200
	v_mov_b32_e32 v218, 0
	v_lshlrev_b16 v47, 8, v47
	v_lshlrev_b16 v199, 8, v199
	v_or_b32_sdwa v196, v196, v199 dst_sel:DWORD dst_unused:UNUSED_PAD src0_sel:BYTE_0 src1_sel:DWORD
	v_sub_nc_u16 v199, v214, v216
	v_lshrrev_b32_e32 v216, 24, v200
	v_or_b32_sdwa v47, v199, v47 dst_sel:WORD_1 dst_unused:UNUSED_PAD src0_sel:BYTE_0 src1_sel:DWORD
	v_or_b32_sdwa v199, v196, v47 dst_sel:DWORD dst_unused:UNUSED_PAD src0_sel:WORD_0 src1_sel:DWORD
	v_ashrrev_i32_e32 v47, s15, v48
	v_and_b32_e32 v48, 0x3030303, v47
	v_bfe_u32 v47, v47, 24, 2
	v_lshrrev_b32_e32 v196, 16, v48
	v_lshrrev_b16 v214, 8, v48
	v_sub_nc_u16 v48, v48, v200
	v_sub_nc_u16 v47, v47, v216
	v_add_nc_u32_e32 v216, s16, v131
	v_sub_nc_u16 v196, v196, v215
	v_sub_nc_u16 v200, v214, v217
	v_mov_b32_e32 v215, 0
	v_mov_b32_e32 v217, 0
	v_lshlrev_b16 v47, 8, v47
	s_mov_b32 s16, s14
	v_lshlrev_b16 v200, 8, v200
	v_dot4c_i32_i8 v215, v201, v38
	v_dot4c_i32_i8 v217, v197, v34
	v_or_b32_sdwa v47, v196, v47 dst_sel:WORD_1 dst_unused:UNUSED_PAD src0_sel:BYTE_0 src1_sel:DWORD
	v_or_b32_sdwa v48, v48, v200 dst_sel:DWORD dst_unused:UNUSED_PAD src0_sel:BYTE_0 src1_sel:DWORD
	v_dot4c_i32_i8 v215, v202, v39
	v_dot4c_i32_i8 v217, v198, v35
	v_or_b32_sdwa v200, v48, v47 dst_sel:DWORD dst_unused:UNUSED_PAD src0_sel:WORD_0 src1_sel:DWORD
	v_add3_u32 v47, s17, v163, v124
	v_dot4c_i32_i8 v215, v203, v40
	v_dot4c_i32_i8 v217, v199, v36
	ds_read_b32 v196, v47
	v_dot4c_i32_i8 v215, v204, v41
	v_dot4c_i32_i8 v217, v200, v37
	ds_read_b128 v[34:37], v167 offset:1024
	ds_read_b128 v[38:41], v167 offset:1040
	s_waitcnt lgkmcnt(1)
	v_dot4c_i32_i8 v230, v169, v34
	s_waitcnt lgkmcnt(0)
	v_dot4c_i32_i8 v236, v173, v38
	v_dot4c_i32_i8 v225, v180, v34
	;; [unrolled: 1-line block ×31, first 2 shown]
	ds_read2_b32 v[47:48], v168 offset0:64 offset1:96
	ds_read_b128 v[34:37], v167 offset:2048
	ds_read_b128 v[38:41], v167 offset:2064
	s_waitcnt lgkmcnt(1)
	v_dot4c_i32_i8 v233, v169, v34
	s_waitcnt lgkmcnt(0)
	v_dot4c_i32_i8 v232, v173, v38
	v_dot4c_i32_i8 v228, v180, v34
	;; [unrolled: 1-line block ×31, first 2 shown]
	ds_read_b128 v[38:41], v167 offset:3072
	ds_read_b128 v[34:37], v167 offset:3088
	ds_read_u16 v214, v207 offset:33522
	s_waitcnt lgkmcnt(2)
	v_dot4c_i32_i8 v231, v169, v38
	s_waitcnt lgkmcnt(1)
	v_dot4c_i32_i8 v234, v173, v34
	s_waitcnt lgkmcnt(0)
	v_lshrrev_b16 v207, 8, v214
	v_bfe_i32 v214, v214, 0, 8
	v_dot4c_i32_i8 v231, v170, v39
	v_dot4c_i32_i8 v234, v174, v35
	v_bfe_i32 v207, v207, 0, 8
	v_mul_lo_u32 v230, v230, v214
	v_dot4c_i32_i8 v231, v171, v40
	v_dot4c_i32_i8 v234, v175, v36
	v_mul_lo_u32 v232, v232, v207
	v_mul_lo_u32 v208, v208, v207
	v_dot4c_i32_i8 v231, v172, v41
	v_dot4c_i32_i8 v234, v177, v37
	v_mul_lo_u32 v231, v231, v214
	v_mad_u64_u32 v[232:233], null, v233, v214, v[232:233]
	v_mad_u64_u32 v[233:234], null, v234, v207, v[231:232]
                                        ; kill: def $vgpr231 killed $sgpr0 killed $exec
	v_mad_u64_u32 v[234:235], null, v205, v214, v[208:209]
	v_mad_u64_u32 v[230:231], null, v236, v207, v[230:231]
	ds_read_u16 v209, v209 offset:34546
	v_mul_f32_e32 v205, v176, v46
	v_mul_f32_e32 v208, v176, v45
	;; [unrolled: 1-line block ×3, first 2 shown]
	v_cvt_f32_i32_e32 v234, v234
	v_mul_f32_e32 v231, v176, v48
	v_cvt_f32_i32_e32 v230, v230
	v_cvt_f32_i32_e32 v233, v233
	;; [unrolled: 1-line block ×3, first 2 shown]
	v_fma_f32 v3, v208, v234, v3
	v_mov_b32_e32 v234, 0
	v_fmac_f32_e32 v2, v205, v230
	v_mov_b32_e32 v205, 0
	v_mov_b32_e32 v230, 0
	v_fma_f32 v5, v235, v232, v5
	v_fma_f32 v4, v231, v233, v4
	v_mov_b32_e32 v231, 0
	v_dot4c_i32_i8 v205, v180, v38
	v_dot4c_i32_i8 v230, v178, v34
	v_mov_b32_e32 v232, 0
	s_waitcnt lgkmcnt(0)
	v_lshrrev_b16 v208, 8, v209
	v_bfe_i32 v209, v209, 0, 8
	v_dot4c_i32_i8 v205, v181, v39
	v_dot4c_i32_i8 v230, v179, v35
	v_mov_b32_e32 v233, 0
	v_bfe_i32 v208, v208, 0, 8
	v_mul_lo_u32 v225, v225, v209
	v_dot4c_i32_i8 v205, v184, v40
	v_dot4c_i32_i8 v230, v182, v36
	v_mov_b32_e32 v235, 0
	v_mul_lo_u32 v229, v229, v208
	v_mul_lo_u32 v210, v210, v208
	v_dot4c_i32_i8 v205, v186, v41
	v_dot4c_i32_i8 v230, v185, v37
	v_mad_u64_u32 v[224:225], null, v224, v208, v[225:226]
	v_mul_f32_e32 v225, v183, v48
	v_mul_lo_u32 v205, v205, v209
	v_mad_u64_u32 v[228:229], null, v228, v209, v[229:230]
	v_mov_b32_e32 v236, 0
	v_cvt_f32_i32_e32 v224, v224
	v_mad_u64_u32 v[229:230], null, v230, v208, v[205:206]
	v_mad_u64_u32 v[205:206], null, v206, v209, v[210:211]
	v_mul_f32_e32 v210, v183, v45
	v_mul_f32_e32 v206, v183, v46
	;; [unrolled: 1-line block ×3, first 2 shown]
	v_cvt_f32_i32_e32 v228, v228
	v_cvt_f32_i32_e32 v229, v229
	;; [unrolled: 1-line block ×3, first 2 shown]
	v_fmac_f32_e32 v30, v206, v224
	v_mov_b32_e32 v224, 0
	v_fma_f32 v32, v225, v229, v32
	v_mov_b32_e32 v225, 0
	v_fma_f32 v31, v210, v205, v31
	ds_read_u16 v205, v212 offset:35570
	v_dot4c_i32_i8 v224, v187, v38
	v_fma_f32 v33, v230, v228, v33
	v_dot4c_i32_i8 v225, v191, v34
	v_mov_b32_e32 v229, 0
	v_mov_b32_e32 v230, 0
	v_dot4c_i32_i8 v224, v188, v39
	v_dot4c_i32_i8 v225, v192, v35
	v_dot4c_i32_i8 v224, v189, v40
	v_dot4c_i32_i8 v225, v193, v36
	v_dot4c_i32_i8 v224, v190, v41
	v_dot4c_i32_i8 v225, v195, v37
	s_waitcnt lgkmcnt(0)
	v_lshrrev_b16 v206, 8, v205
	v_bfe_i32 v212, v205, 0, 8
	v_bfe_i32 v210, v206, 0, 8
	v_mul_lo_u32 v205, v223, v212
	v_mul_lo_u32 v223, v227, v210
	v_mul_lo_u32 v206, v213, v210
	v_mul_lo_u32 v213, v224, v212
                                        ; kill: def $vgpr224 killed $sgpr0 killed $exec
	v_mad_u64_u32 v[223:224], null, v226, v212, v[223:224]
	v_mad_u64_u32 v[224:225], null, v225, v210, v[213:214]
	;; [unrolled: 1-line block ×3, first 2 shown]
	v_mul_f32_e32 v211, v194, v45
                                        ; kill: def $vgpr206 killed $sgpr0 killed $exec
	v_mul_f32_e32 v213, v194, v48
	v_mad_u64_u32 v[205:206], null, v222, v210, v[205:206]
	v_mul_f32_e32 v206, v194, v46
	v_mul_f32_e32 v222, v194, v47
	v_cvt_f32_i32_e32 v225, v225
	v_cvt_f32_i32_e32 v224, v224
	;; [unrolled: 1-line block ×4, first 2 shown]
	v_fma_f32 v27, v211, v225, v27
	v_mov_b32_e32 v211, 0
	v_fma_f32 v28, v213, v224, v28
	v_mov_b32_e32 v224, 0
	v_fmac_f32_e32 v26, v206, v205
	v_fma_f32 v29, v222, v223, v29
	v_dot4c_i32_i8 v211, v201, v38
                                        ; kill: def $vgpr38 killed $sgpr0 killed $exec
	v_mov_b32_e32 v222, 0
	v_mov_b32_e32 v223, 0
	;; [unrolled: 1-line block ×3, first 2 shown]
	v_dot4c_i32_i8 v211, v202, v39
	v_mov_b32_e32 v39, 0
	v_dot4c_i32_i8 v211, v203, v40
	v_dot4c_i32_i8 v39, v197, v34
	ds_read_u16 v34, v216 offset:36594
	v_mov_b32_e32 v216, 0
	v_dot4c_i32_i8 v211, v204, v41
	v_dot4c_i32_i8 v39, v198, v35
	v_mul_f32_e32 v41, v196, v47
	v_mov_b32_e32 v47, 0
	v_dot4c_i32_i8 v39, v199, v36
	v_dot4c_i32_i8 v39, v200, v37
	s_waitcnt lgkmcnt(0)
	v_lshrrev_b16 v35, 8, v34
	v_bfe_i32 v206, v34, 0, 8
	v_bfe_i32 v205, v35, 0, 8
	v_mul_lo_u32 v36, v211, v206
	v_mul_lo_u32 v34, v219, v206
	v_mov_b32_e32 v211, 0
	v_mov_b32_e32 v219, 0
	v_mul_lo_u32 v37, v221, v205
	v_mul_lo_u32 v35, v217, v205
	v_mov_b32_e32 v217, 0
	v_mov_b32_e32 v221, 0
	v_mad_u64_u32 v[37:38], null, v220, v206, v[37:38]
	v_mov_b32_e32 v220, 0
	v_mad_u64_u32 v[38:39], null, v39, v205, v[36:37]
                                        ; kill: def $vgpr36 killed $sgpr0 killed $exec
	v_cvt_f32_i32_e32 v37, v37
	v_mad_u64_u32 v[35:36], null, v215, v206, v[35:36]
	v_mul_f32_e32 v36, v196, v45
	v_mov_b32_e32 v215, 0
	v_fma_f32 v25, v41, v37, v25
	v_cvt_f32_i32_e32 v38, v38
	v_mad_u64_u32 v[39:40], null, v218, v205, v[34:35]
	v_mul_f32_e32 v34, v196, v46
	v_mul_f32_e32 v40, v196, v48
	v_cvt_f32_i32_e32 v35, v35
	v_mov_b32_e32 v218, 0
	v_mov_b32_e32 v48, 0
	v_cvt_f32_i32_e32 v39, v39
	v_fma_f32 v24, v40, v38, v24
	v_fma_f32 v23, v36, v35, v23
	v_fmac_f32_e32 v22, v34, v39
	ds_read2_b32 v[45:46], v168 offset0:128 offset1:160
	ds_read_b128 v[38:41], v167 offset:4096
	ds_read_b128 v[34:37], v167 offset:4112
	s_waitcnt lgkmcnt(1)
	v_dot4c_i32_i8 v211, v169, v38
	v_dot4c_i32_i8 v217, v180, v38
	;; [unrolled: 1-line block ×4, first 2 shown]
	s_waitcnt lgkmcnt(0)
	v_dot4c_i32_i8 v224, v173, v34
	v_dot4c_i32_i8 v211, v170, v39
	;; [unrolled: 1-line block ×10, first 2 shown]
	v_mov_b32_e32 v40, 0
	v_dot4c_i32_i8 v218, v191, v34
	v_dot4c_i32_i8 v224, v174, v35
	;; [unrolled: 1-line block ×17, first 2 shown]
	v_mov_b32_e32 v41, 0
	v_dot4c_i32_i8 v40, v200, v37
	ds_read_b128 v[34:37], v167 offset:5120
	ds_read_b128 v[225:228], v167 offset:5136
	s_waitcnt lgkmcnt(1)
	v_dot4c_i32_i8 v229, v169, v34
	s_waitcnt lgkmcnt(0)
	v_dot4c_i32_i8 v230, v173, v225
	v_dot4c_i32_i8 v222, v180, v34
	;; [unrolled: 1-line block ×31, first 2 shown]
	ds_read2_b32 v[38:39], v168 offset0:192 offset1:224
	ds_read_b128 v[34:37], v167 offset:6144
	ds_read_b128 v[225:228], v167 offset:6160
	v_add_nc_u32_e32 v168, 4, v168
	v_mul_lo_u32 v41, v41, v206
	s_waitcnt lgkmcnt(1)
	v_dot4c_i32_i8 v231, v169, v34
	s_waitcnt lgkmcnt(0)
	v_dot4c_i32_i8 v232, v173, v225
	v_dot4c_i32_i8 v233, v180, v34
	;; [unrolled: 1-line block ×31, first 2 shown]
	ds_read_b128 v[225:228], v167 offset:7168
	ds_read_b128 v[34:37], v167 offset:7184
	v_add_nc_u32_e32 v167, 32, v167
	s_waitcnt lgkmcnt(1)
	v_dot4c_i32_i8 v237, v169, v225
	s_waitcnt lgkmcnt(0)
	v_dot4c_i32_i8 v238, v173, v34
                                        ; kill: def $vgpr173 killed $sgpr0 killed $exec
	v_mul_lo_u32 v169, v229, v214
	v_dot4c_i32_i8 v237, v170, v226
	v_dot4c_i32_i8 v238, v174, v35
	v_mul_lo_u32 v170, v224, v207
	v_dot4c_i32_i8 v237, v171, v227
	v_dot4c_i32_i8 v238, v175, v36
	;; [unrolled: 1-line block ×3, first 2 shown]
	v_mul_lo_u32 v172, v232, v207
	v_dot4c_i32_i8 v238, v177, v37
	v_mul_lo_u32 v171, v237, v214
	v_mad_u64_u32 v[172:173], null, v231, v214, v[172:173]
	v_mad_u64_u32 v[173:174], null, v238, v207, v[171:172]
                                        ; kill: def $vgpr171 killed $sgpr0 killed $exec
	v_cvt_f32_i32_e32 v172, v172
	v_mad_u64_u32 v[170:171], null, v211, v214, v[170:171]
	v_mul_f32_e32 v171, v176, v45
	v_cvt_f32_i32_e32 v173, v173
	v_mad_u64_u32 v[174:175], null, v230, v207, v[169:170]
	v_cvt_f32_i32_e32 v170, v170
	v_mul_f32_e32 v169, v176, v46
	v_mul_f32_e32 v175, v176, v39
	;; [unrolled: 1-line block ×3, first 2 shown]
	v_fma_f32 v19, v171, v170, v19
	v_mov_b32_e32 v171, 0
	v_cvt_f32_i32_e32 v174, v174
	v_fma_f32 v21, v176, v172, v21
	v_mul_lo_u32 v172, v234, v208
	v_fma_f32 v20, v175, v173, v20
	v_dot4c_i32_i8 v171, v180, v225
	v_fmac_f32_e32 v18, v169, v174
	v_mov_b32_e32 v174, 0
                                        ; kill: def $vgpr173 killed $sgpr0 killed $exec
	v_mul_lo_u32 v170, v219, v208
	v_mul_lo_u32 v169, v222, v209
	v_dot4c_i32_i8 v171, v181, v226
	v_mad_u64_u32 v[172:173], null, v233, v209, v[172:173]
	v_dot4c_i32_i8 v174, v178, v34
	v_mul_f32_e32 v176, v183, v38
	v_dot4c_i32_i8 v171, v184, v227
	v_dot4c_i32_i8 v174, v179, v35
	;; [unrolled: 1-line block ×4, first 2 shown]
	v_mul_lo_u32 v171, v171, v209
	v_dot4c_i32_i8 v174, v185, v37
	v_mad_u64_u32 v[173:174], null, v174, v208, v[171:172]
                                        ; kill: def $vgpr171 killed $sgpr0 killed $exec
	v_cvt_f32_i32_e32 v172, v172
	v_mad_u64_u32 v[170:171], null, v217, v209, v[170:171]
	v_mul_f32_e32 v171, v183, v45
	v_fma_f32 v17, v176, v172, v17
	v_mul_lo_u32 v172, v236, v210
	v_cvt_f32_i32_e32 v173, v173
	v_mul_f32_e32 v176, v194, v38
	v_mad_u64_u32 v[174:175], null, v223, v208, v[169:170]
	v_cvt_f32_i32_e32 v170, v170
	v_mul_f32_e32 v169, v183, v46
	v_mul_f32_e32 v175, v183, v39
	v_fma_f32 v15, v171, v170, v15
	v_mov_b32_e32 v171, 0
	v_cvt_f32_i32_e32 v174, v174
	v_fma_f32 v16, v175, v173, v16
                                        ; kill: def $vgpr173 killed $sgpr0 killed $exec
	v_mul_lo_u32 v170, v218, v210
	v_mad_u64_u32 v[172:173], null, v235, v212, v[172:173]
	v_dot4c_i32_i8 v171, v187, v225
	v_fmac_f32_e32 v14, v169, v174
	v_mov_b32_e32 v174, 0
	v_mul_lo_u32 v169, v221, v212
	v_dot4c_i32_i8 v171, v188, v226
	v_dot4c_i32_i8 v174, v191, v34
	v_dot4c_i32_i8 v171, v189, v227
	v_dot4c_i32_i8 v174, v192, v35
	v_dot4c_i32_i8 v171, v190, v228
	v_dot4c_i32_i8 v174, v193, v36
	v_mul_lo_u32 v171, v171, v212
	v_dot4c_i32_i8 v174, v195, v37
	v_mad_u64_u32 v[173:174], null, v174, v210, v[171:172]
                                        ; kill: def $vgpr171 killed $sgpr0 killed $exec
	v_cvt_f32_i32_e32 v172, v172
	v_mad_u64_u32 v[170:171], null, v216, v212, v[170:171]
	v_mul_f32_e32 v171, v194, v45
	v_fma_f32 v13, v176, v172, v13
	v_cvt_f32_i32_e32 v173, v173
	v_mad_u64_u32 v[174:175], null, v220, v210, v[169:170]
	v_mul_f32_e32 v169, v194, v46
	v_cvt_f32_i32_e32 v170, v170
	v_mul_f32_e32 v175, v194, v39
	v_mul_f32_e32 v39, v196, v39
	v_cvt_f32_i32_e32 v174, v174
	v_fma_f32 v11, v171, v170, v11
	v_mov_b32_e32 v170, 0
	v_fma_f32 v12, v175, v173, v12
	v_fmac_f32_e32 v10, v169, v174
	v_mov_b32_e32 v169, 0
	v_dot4c_i32_i8 v170, v197, v34
	v_mul_lo_u32 v34, v215, v205
	v_dot4c_i32_i8 v169, v201, v225
	v_dot4c_i32_i8 v170, v198, v35
                                        ; kill: def $vgpr35 killed $sgpr0 killed $exec
	s_add_i32 s0, s0, 2
	s_cmp_lt_u32 s14, 30
	v_dot4c_i32_i8 v169, v202, v226
	v_dot4c_i32_i8 v170, v199, v36
	v_mad_u64_u32 v[34:35], null, v213, v206, v[34:35]
	v_dot4c_i32_i8 v169, v203, v227
	v_dot4c_i32_i8 v170, v200, v37
	v_mul_lo_u32 v37, v40, v205
	v_mad_u64_u32 v[40:41], null, v48, v205, v[41:42]
	v_dot4c_i32_i8 v169, v204, v228
	v_mul_f32_e32 v41, v196, v45
	v_cvt_f32_i32_e32 v34, v34
	v_mul_lo_u32 v36, v169, v206
	v_cvt_f32_i32_e32 v40, v40
	v_mad_u64_u32 v[35:36], null, v170, v205, v[36:37]
	v_mad_u64_u32 v[36:37], null, v47, v206, v[37:38]
	v_mul_f32_e32 v37, v196, v46
	v_mul_f32_e32 v38, v196, v38
	v_cvt_f32_i32_e32 v35, v35
	v_fmac_f32_e32 v6, v37, v40
	v_cvt_f32_i32_e32 v36, v36
	v_fma_f32 v9, v38, v34, v9
	v_fma_f32 v8, v39, v35, v8
	;; [unrolled: 1-line block ×3, first 2 shown]
	s_cbranch_scc1 .LBB129_14
; %bb.15:                               ;   in Loop: Header=BB129_6 Depth=1
	s_barrier
	buffer_gl0_inv
	s_branch .LBB129_5
.LBB129_16:
	v_mov_b32_e32 v6, 0
	v_mov_b32_e32 v9, v6
	;; [unrolled: 1-line block ×32, first 2 shown]
	s_mov_b32 s0, exec_lo
	v_cmpx_gt_u32_e64 s8, v34
	s_cbranch_execnz .LBB129_19
.LBB129_17:
	s_endpgm
.LBB129_18:
	v_mov_b32_e32 v34, v49
	s_mov_b32 s0, exec_lo
	v_cmpx_gt_u32_e64 s8, v34
	s_cbranch_execz .LBB129_17
.LBB129_19:
	v_add_nc_u32_e32 v0, s6, v0
	v_mul_lo_u32 v34, v34, s10
	v_cmp_gt_u32_e32 vcc_lo, s10, v0
	s_and_saveexec_b32 s1, vcc_lo
	s_cbranch_execz .LBB129_21
; %bb.20:
	v_add_nc_u32_e32 v35, v0, v34
	v_mov_b32_e32 v36, 0
	v_lshlrev_b64 v[35:36], 2, v[35:36]
	s_waitcnt lgkmcnt(0)
	v_add_co_u32 v35, s0, s12, v35
	v_add_co_ci_u32_e64 v36, null, s13, v36, s0
	global_store_dword v[35:36], v3, off
.LBB129_21:
	s_or_b32 exec_lo, exec_lo, s1
	v_add_nc_u32_e32 v3, 32, v0
	v_cmp_gt_u32_e64 s0, s10, v3
	s_and_saveexec_b32 s2, s0
	s_cbranch_execz .LBB129_23
; %bb.22:
	v_add_nc_u32_e32 v35, v3, v34
	v_mov_b32_e32 v36, 0
	v_lshlrev_b64 v[35:36], 2, v[35:36]
	s_waitcnt lgkmcnt(0)
	v_add_co_u32 v35, s1, s12, v35
	v_add_co_ci_u32_e64 v36, null, s13, v36, s1
	global_store_dword v[35:36], v31, off
.LBB129_23:
	s_or_b32 exec_lo, exec_lo, s2
	v_add_nc_u32_e32 v31, 64, v0
	v_cmp_gt_u32_e64 s1, s10, v31
	s_and_saveexec_b32 s3, s1
	;; [unrolled: 14-line block ×3, first 2 shown]
	s_cbranch_execz .LBB129_27
; %bb.26:
	v_add_nc_u32_e32 v34, v27, v34
	v_mov_b32_e32 v35, 0
	v_lshlrev_b64 v[34:35], 2, v[34:35]
	s_waitcnt lgkmcnt(0)
	v_add_co_u32 v34, s3, s12, v34
	v_add_co_ci_u32_e64 v35, null, s13, v35, s3
	global_store_dword v[34:35], v23, off
.LBB129_27:
	s_or_b32 exec_lo, exec_lo, s4
	v_add3_u32 v23, v1, s7, 8
	v_cmp_gt_u32_e64 s3, s8, v23
	s_and_b32 exec_lo, exec_lo, s3
	s_cbranch_execz .LBB129_17
; %bb.28:
	v_mul_lo_u32 v23, v23, s10
	s_and_saveexec_b32 s4, vcc_lo
	s_cbranch_execnz .LBB129_68
; %bb.29:
	s_or_b32 exec_lo, exec_lo, s4
	s_and_saveexec_b32 s4, s0
	s_cbranch_execnz .LBB129_69
.LBB129_30:
	s_or_b32 exec_lo, exec_lo, s4
	s_and_saveexec_b32 s4, s1
	s_cbranch_execnz .LBB129_70
.LBB129_31:
	s_or_b32 exec_lo, exec_lo, s4
	s_and_saveexec_b32 s4, s2
	s_cbranch_execz .LBB129_33
.LBB129_32:
	v_add_nc_u32_e32 v34, v23, v27
	v_mov_b32_e32 v35, 0
	v_lshlrev_b64 v[34:35], 2, v[34:35]
	s_waitcnt lgkmcnt(0)
	v_add_co_u32 v34, s3, s12, v34
	v_add_co_ci_u32_e64 v35, null, s13, v35, s3
	global_store_dword v[34:35], v22, off
.LBB129_33:
	s_or_b32 exec_lo, exec_lo, s4
	v_add3_u32 v2, v1, s7, 16
	v_cmp_gt_u32_e64 s3, s8, v2
	s_and_b32 exec_lo, exec_lo, s3
	s_cbranch_execz .LBB129_17
; %bb.34:
	v_mul_lo_u32 v2, v2, s10
	s_and_saveexec_b32 s4, vcc_lo
	s_cbranch_execnz .LBB129_71
; %bb.35:
	s_or_b32 exec_lo, exec_lo, s4
	s_and_saveexec_b32 s4, s0
	s_cbranch_execnz .LBB129_72
.LBB129_36:
	s_or_b32 exec_lo, exec_lo, s4
	s_and_saveexec_b32 s4, s1
	s_cbranch_execnz .LBB129_73
.LBB129_37:
	s_or_b32 exec_lo, exec_lo, s4
	s_and_saveexec_b32 s4, s2
	s_cbranch_execz .LBB129_39
.LBB129_38:
	v_add_nc_u32_e32 v22, v2, v27
	v_mov_b32_e32 v23, 0
	v_lshlrev_b64 v[22:23], 2, v[22:23]
	s_waitcnt lgkmcnt(0)
	v_add_co_u32 v22, s3, s12, v22
	v_add_co_ci_u32_e64 v23, null, s13, v23, s3
	global_store_dword v[22:23], v25, off
.LBB129_39:
	s_or_b32 exec_lo, exec_lo, s4
	v_add3_u32 v2, v1, s7, 24
	v_cmp_gt_u32_e64 s3, s8, v2
	s_and_b32 exec_lo, exec_lo, s3
	s_cbranch_execz .LBB129_17
; %bb.40:
	v_mul_lo_u32 v2, v2, s10
	s_and_saveexec_b32 s4, vcc_lo
	s_cbranch_execnz .LBB129_74
; %bb.41:
	s_or_b32 exec_lo, exec_lo, s4
	s_and_saveexec_b32 s4, s0
	s_cbranch_execnz .LBB129_75
.LBB129_42:
	s_or_b32 exec_lo, exec_lo, s4
	s_and_saveexec_b32 s4, s1
	s_cbranch_execnz .LBB129_76
.LBB129_43:
	s_or_b32 exec_lo, exec_lo, s4
	s_and_saveexec_b32 s4, s2
	s_cbranch_execz .LBB129_45
.LBB129_44:
	v_add_nc_u32_e32 v4, v2, v27
	v_mov_b32_e32 v5, 0
	v_lshlrev_b64 v[4:5], 2, v[4:5]
	s_waitcnt lgkmcnt(0)
	v_add_co_u32 v4, s3, s12, v4
	v_add_co_ci_u32_e64 v5, null, s13, v5, s3
	global_store_dword v[4:5], v24, off
.LBB129_45:
	s_or_b32 exec_lo, exec_lo, s4
	v_add3_u32 v2, v1, s7, 32
	v_cmp_gt_u32_e64 s3, s8, v2
	s_and_b32 exec_lo, exec_lo, s3
	s_cbranch_execz .LBB129_17
; %bb.46:
	v_mul_lo_u32 v2, v2, s10
	s_and_saveexec_b32 s4, vcc_lo
	s_cbranch_execnz .LBB129_77
; %bb.47:
	s_or_b32 exec_lo, exec_lo, s4
	s_and_saveexec_b32 s4, s0
	s_cbranch_execnz .LBB129_78
.LBB129_48:
	s_or_b32 exec_lo, exec_lo, s4
	s_and_saveexec_b32 s4, s1
	s_cbranch_execnz .LBB129_79
.LBB129_49:
	s_or_b32 exec_lo, exec_lo, s4
	s_and_saveexec_b32 s4, s2
	s_cbranch_execz .LBB129_51
.LBB129_50:
	v_add_nc_u32_e32 v4, v2, v27
	v_mov_b32_e32 v5, 0
	v_lshlrev_b64 v[4:5], 2, v[4:5]
	s_waitcnt lgkmcnt(0)
	v_add_co_u32 v4, s3, s12, v4
	v_add_co_ci_u32_e64 v5, null, s13, v5, s3
	global_store_dword v[4:5], v7, off
.LBB129_51:
	s_or_b32 exec_lo, exec_lo, s4
	v_add3_u32 v2, v1, s7, 40
	v_cmp_gt_u32_e64 s3, s8, v2
	s_and_b32 exec_lo, exec_lo, s3
	s_cbranch_execz .LBB129_17
; %bb.52:
	v_mul_lo_u32 v2, v2, s10
	s_and_saveexec_b32 s4, vcc_lo
	s_cbranch_execnz .LBB129_80
; %bb.53:
	s_or_b32 exec_lo, exec_lo, s4
	s_and_saveexec_b32 s4, s0
	s_cbranch_execnz .LBB129_81
.LBB129_54:
	s_or_b32 exec_lo, exec_lo, s4
	s_and_saveexec_b32 s4, s1
	s_cbranch_execnz .LBB129_82
.LBB129_55:
	s_or_b32 exec_lo, exec_lo, s4
	s_and_saveexec_b32 s4, s2
	s_cbranch_execz .LBB129_57
.LBB129_56:
	v_add_nc_u32_e32 v4, v2, v27
	v_mov_b32_e32 v5, 0
	v_lshlrev_b64 v[4:5], 2, v[4:5]
	s_waitcnt lgkmcnt(0)
	v_add_co_u32 v4, s3, s12, v4
	v_add_co_ci_u32_e64 v5, null, s13, v5, s3
	global_store_dword v[4:5], v6, off
.LBB129_57:
	s_or_b32 exec_lo, exec_lo, s4
	v_add3_u32 v2, v1, s7, 48
	v_cmp_gt_u32_e64 s3, s8, v2
	s_and_b32 exec_lo, exec_lo, s3
	s_cbranch_execz .LBB129_17
; %bb.58:
	v_mul_lo_u32 v2, v2, s10
	s_and_saveexec_b32 s4, vcc_lo
	s_cbranch_execnz .LBB129_83
; %bb.59:
	s_or_b32 exec_lo, exec_lo, s4
	s_and_saveexec_b32 s4, s0
	s_cbranch_execnz .LBB129_84
.LBB129_60:
	s_or_b32 exec_lo, exec_lo, s4
	s_and_saveexec_b32 s4, s1
	s_cbranch_execnz .LBB129_85
.LBB129_61:
	s_or_b32 exec_lo, exec_lo, s4
	s_and_saveexec_b32 s4, s2
	s_cbranch_execz .LBB129_63
.LBB129_62:
	v_add_nc_u32_e32 v4, v2, v27
	v_mov_b32_e32 v5, 0
	v_lshlrev_b64 v[4:5], 2, v[4:5]
	s_waitcnt lgkmcnt(0)
	v_add_co_u32 v4, s3, s12, v4
	v_add_co_ci_u32_e64 v5, null, s13, v5, s3
	global_store_dword v[4:5], v9, off
.LBB129_63:
	s_or_b32 exec_lo, exec_lo, s4
	v_add3_u32 v1, v1, s7, 56
	v_cmp_gt_u32_e64 s3, s8, v1
	s_and_b32 exec_lo, exec_lo, s3
	s_cbranch_execz .LBB129_17
; %bb.64:
	v_mul_lo_u32 v1, v1, s10
	s_and_saveexec_b32 s3, vcc_lo
	s_cbranch_execnz .LBB129_86
; %bb.65:
	s_or_b32 exec_lo, exec_lo, s3
	s_and_saveexec_b32 s3, s0
	s_cbranch_execnz .LBB129_87
.LBB129_66:
	s_or_b32 exec_lo, exec_lo, s3
	s_and_saveexec_b32 s0, s1
	s_cbranch_execnz .LBB129_88
.LBB129_67:
	s_or_b32 exec_lo, exec_lo, s0
	s_and_b32 exec_lo, exec_lo, s2
	s_cbranch_execz .LBB129_17
	s_branch .LBB129_89
.LBB129_68:
	v_add_nc_u32_e32 v34, v23, v0
	v_mov_b32_e32 v35, 0
	v_lshlrev_b64 v[34:35], 2, v[34:35]
	s_waitcnt lgkmcnt(0)
	v_add_co_u32 v34, s3, s12, v34
	v_add_co_ci_u32_e64 v35, null, s13, v35, s3
	global_store_dword v[34:35], v2, off
	s_or_b32 exec_lo, exec_lo, s4
	s_and_saveexec_b32 s4, s0
	s_cbranch_execz .LBB129_30
.LBB129_69:
	v_add_nc_u32_e32 v34, v23, v3
	v_mov_b32_e32 v35, 0
	v_lshlrev_b64 v[34:35], 2, v[34:35]
	s_waitcnt lgkmcnt(0)
	v_add_co_u32 v34, s3, s12, v34
	v_add_co_ci_u32_e64 v35, null, s13, v35, s3
	global_store_dword v[34:35], v30, off
	s_or_b32 exec_lo, exec_lo, s4
	s_and_saveexec_b32 s4, s1
	s_cbranch_execz .LBB129_31
.LBB129_70:
	v_add_nc_u32_e32 v34, v23, v31
	v_mov_b32_e32 v35, 0
	v_lshlrev_b64 v[34:35], 2, v[34:35]
	s_waitcnt lgkmcnt(0)
	v_add_co_u32 v34, s3, s12, v34
	v_add_co_ci_u32_e64 v35, null, s13, v35, s3
	global_store_dword v[34:35], v26, off
	s_or_b32 exec_lo, exec_lo, s4
	s_and_saveexec_b32 s4, s2
	s_cbranch_execnz .LBB129_32
	s_branch .LBB129_33
.LBB129_71:
	v_add_nc_u32_e32 v22, v2, v0
	v_mov_b32_e32 v23, 0
	v_lshlrev_b64 v[22:23], 2, v[22:23]
	s_waitcnt lgkmcnt(0)
	v_add_co_u32 v22, s3, s12, v22
	v_add_co_ci_u32_e64 v23, null, s13, v23, s3
	global_store_dword v[22:23], v5, off
	s_or_b32 exec_lo, exec_lo, s4
	s_and_saveexec_b32 s4, s0
	s_cbranch_execz .LBB129_36
.LBB129_72:
	v_add_nc_u32_e32 v22, v2, v3
	v_mov_b32_e32 v23, 0
	v_lshlrev_b64 v[22:23], 2, v[22:23]
	s_waitcnt lgkmcnt(0)
	v_add_co_u32 v22, s3, s12, v22
	v_add_co_ci_u32_e64 v23, null, s13, v23, s3
	global_store_dword v[22:23], v33, off
	s_or_b32 exec_lo, exec_lo, s4
	s_and_saveexec_b32 s4, s1
	s_cbranch_execz .LBB129_37
.LBB129_73:
	v_add_nc_u32_e32 v22, v2, v31
	v_mov_b32_e32 v23, 0
	v_lshlrev_b64 v[22:23], 2, v[22:23]
	s_waitcnt lgkmcnt(0)
	v_add_co_u32 v22, s3, s12, v22
	v_add_co_ci_u32_e64 v23, null, s13, v23, s3
	global_store_dword v[22:23], v29, off
	s_or_b32 exec_lo, exec_lo, s4
	s_and_saveexec_b32 s4, s2
	s_cbranch_execnz .LBB129_38
	s_branch .LBB129_39
.LBB129_74:
	v_add_nc_u32_e32 v22, v2, v0
	v_mov_b32_e32 v23, 0
	v_lshlrev_b64 v[22:23], 2, v[22:23]
	s_waitcnt lgkmcnt(0)
	v_add_co_u32 v22, s3, s12, v22
	v_add_co_ci_u32_e64 v23, null, s13, v23, s3
	global_store_dword v[22:23], v4, off
	s_or_b32 exec_lo, exec_lo, s4
	s_and_saveexec_b32 s4, s0
	s_cbranch_execz .LBB129_42
.LBB129_75:
	v_add_nc_u32_e32 v4, v2, v3
	v_mov_b32_e32 v5, 0
	v_lshlrev_b64 v[4:5], 2, v[4:5]
	s_waitcnt lgkmcnt(0)
	v_add_co_u32 v4, s3, s12, v4
	v_add_co_ci_u32_e64 v5, null, s13, v5, s3
	global_store_dword v[4:5], v32, off
	s_or_b32 exec_lo, exec_lo, s4
	s_and_saveexec_b32 s4, s1
	s_cbranch_execz .LBB129_43
.LBB129_76:
	v_add_nc_u32_e32 v4, v2, v31
	v_mov_b32_e32 v5, 0
	v_lshlrev_b64 v[4:5], 2, v[4:5]
	s_waitcnt lgkmcnt(0)
	v_add_co_u32 v4, s3, s12, v4
	v_add_co_ci_u32_e64 v5, null, s13, v5, s3
	global_store_dword v[4:5], v28, off
	s_or_b32 exec_lo, exec_lo, s4
	s_and_saveexec_b32 s4, s2
	s_cbranch_execnz .LBB129_44
	s_branch .LBB129_45
.LBB129_77:
	v_add_nc_u32_e32 v4, v2, v0
	v_mov_b32_e32 v5, 0
	v_lshlrev_b64 v[4:5], 2, v[4:5]
	s_waitcnt lgkmcnt(0)
	v_add_co_u32 v4, s3, s12, v4
	v_add_co_ci_u32_e64 v5, null, s13, v5, s3
	global_store_dword v[4:5], v19, off
	s_or_b32 exec_lo, exec_lo, s4
	s_and_saveexec_b32 s4, s0
	s_cbranch_execz .LBB129_48
.LBB129_78:
	v_add_nc_u32_e32 v4, v2, v3
	v_mov_b32_e32 v5, 0
	v_lshlrev_b64 v[4:5], 2, v[4:5]
	s_waitcnt lgkmcnt(0)
	v_add_co_u32 v4, s3, s12, v4
	v_add_co_ci_u32_e64 v5, null, s13, v5, s3
	global_store_dword v[4:5], v15, off
	s_or_b32 exec_lo, exec_lo, s4
	s_and_saveexec_b32 s4, s1
	s_cbranch_execz .LBB129_49
.LBB129_79:
	v_add_nc_u32_e32 v4, v2, v31
	v_mov_b32_e32 v5, 0
	v_lshlrev_b64 v[4:5], 2, v[4:5]
	s_waitcnt lgkmcnt(0)
	v_add_co_u32 v4, s3, s12, v4
	v_add_co_ci_u32_e64 v5, null, s13, v5, s3
	global_store_dword v[4:5], v11, off
	s_or_b32 exec_lo, exec_lo, s4
	s_and_saveexec_b32 s4, s2
	s_cbranch_execnz .LBB129_50
	s_branch .LBB129_51
.LBB129_80:
	v_add_nc_u32_e32 v4, v2, v0
	v_mov_b32_e32 v5, 0
	v_lshlrev_b64 v[4:5], 2, v[4:5]
	s_waitcnt lgkmcnt(0)
	v_add_co_u32 v4, s3, s12, v4
	v_add_co_ci_u32_e64 v5, null, s13, v5, s3
	global_store_dword v[4:5], v18, off
	s_or_b32 exec_lo, exec_lo, s4
	s_and_saveexec_b32 s4, s0
	s_cbranch_execz .LBB129_54
.LBB129_81:
	v_add_nc_u32_e32 v4, v2, v3
	v_mov_b32_e32 v5, 0
	v_lshlrev_b64 v[4:5], 2, v[4:5]
	s_waitcnt lgkmcnt(0)
	v_add_co_u32 v4, s3, s12, v4
	v_add_co_ci_u32_e64 v5, null, s13, v5, s3
	global_store_dword v[4:5], v14, off
	s_or_b32 exec_lo, exec_lo, s4
	s_and_saveexec_b32 s4, s1
	s_cbranch_execz .LBB129_55
.LBB129_82:
	v_add_nc_u32_e32 v4, v2, v31
	v_mov_b32_e32 v5, 0
	v_lshlrev_b64 v[4:5], 2, v[4:5]
	s_waitcnt lgkmcnt(0)
	v_add_co_u32 v4, s3, s12, v4
	v_add_co_ci_u32_e64 v5, null, s13, v5, s3
	global_store_dword v[4:5], v10, off
	s_or_b32 exec_lo, exec_lo, s4
	s_and_saveexec_b32 s4, s2
	s_cbranch_execnz .LBB129_56
	s_branch .LBB129_57
.LBB129_83:
	v_add_nc_u32_e32 v4, v2, v0
	v_mov_b32_e32 v5, 0
	v_lshlrev_b64 v[4:5], 2, v[4:5]
	s_waitcnt lgkmcnt(0)
	v_add_co_u32 v4, s3, s12, v4
	v_add_co_ci_u32_e64 v5, null, s13, v5, s3
	global_store_dword v[4:5], v21, off
	s_or_b32 exec_lo, exec_lo, s4
	s_and_saveexec_b32 s4, s0
	s_cbranch_execz .LBB129_60
.LBB129_84:
	v_add_nc_u32_e32 v4, v2, v3
	v_mov_b32_e32 v5, 0
	v_lshlrev_b64 v[4:5], 2, v[4:5]
	s_waitcnt lgkmcnt(0)
	v_add_co_u32 v4, s3, s12, v4
	v_add_co_ci_u32_e64 v5, null, s13, v5, s3
	global_store_dword v[4:5], v17, off
	s_or_b32 exec_lo, exec_lo, s4
	s_and_saveexec_b32 s4, s1
	s_cbranch_execz .LBB129_61
.LBB129_85:
	v_add_nc_u32_e32 v4, v2, v31
	v_mov_b32_e32 v5, 0
	v_lshlrev_b64 v[4:5], 2, v[4:5]
	s_waitcnt lgkmcnt(0)
	v_add_co_u32 v4, s3, s12, v4
	v_add_co_ci_u32_e64 v5, null, s13, v5, s3
	global_store_dword v[4:5], v13, off
	s_or_b32 exec_lo, exec_lo, s4
	s_and_saveexec_b32 s4, s2
	s_cbranch_execnz .LBB129_62
	s_branch .LBB129_63
.LBB129_86:
	v_add_nc_u32_e32 v4, v1, v0
	v_mov_b32_e32 v5, 0
	v_lshlrev_b64 v[4:5], 2, v[4:5]
	s_waitcnt lgkmcnt(0)
	v_add_co_u32 v4, vcc_lo, s12, v4
	v_add_co_ci_u32_e64 v5, null, s13, v5, vcc_lo
	global_store_dword v[4:5], v20, off
	s_or_b32 exec_lo, exec_lo, s3
	s_and_saveexec_b32 s3, s0
	s_cbranch_execz .LBB129_66
.LBB129_87:
	v_add_nc_u32_e32 v2, v1, v3
	v_mov_b32_e32 v3, 0
	v_lshlrev_b64 v[2:3], 2, v[2:3]
	s_waitcnt lgkmcnt(0)
	v_add_co_u32 v2, vcc_lo, s12, v2
	v_add_co_ci_u32_e64 v3, null, s13, v3, vcc_lo
	global_store_dword v[2:3], v16, off
	s_or_b32 exec_lo, exec_lo, s3
	s_and_saveexec_b32 s0, s1
	s_cbranch_execz .LBB129_67
.LBB129_88:
	v_add_nc_u32_e32 v2, v1, v31
	v_mov_b32_e32 v3, 0
	v_lshlrev_b64 v[2:3], 2, v[2:3]
	s_waitcnt lgkmcnt(0)
	v_add_co_u32 v2, vcc_lo, s12, v2
	v_add_co_ci_u32_e64 v3, null, s13, v3, vcc_lo
	global_store_dword v[2:3], v12, off
	s_or_b32 exec_lo, exec_lo, s0
	s_and_b32 exec_lo, exec_lo, s2
	s_cbranch_execz .LBB129_17
.LBB129_89:
	v_add_nc_u32_e32 v0, v1, v27
	v_mov_b32_e32 v1, 0
	v_lshlrev_b64 v[0:1], 2, v[0:1]
	s_waitcnt lgkmcnt(0)
	v_add_co_u32 v0, vcc_lo, s12, v0
	v_add_co_ci_u32_e64 v1, null, s13, v1, vcc_lo
	global_store_dword v[0:1], v8, off
	s_endpgm
	.section	.rodata,"a",@progbits
	.p2align	6, 0x0
	.amdhsa_kernel _ZL12mul_mat_q3_KIfLb0EEvPKvS1_PT_iiiii
		.amdhsa_group_segment_fixed_size 39840
		.amdhsa_private_segment_fixed_size 0
		.amdhsa_kernarg_size 44
		.amdhsa_user_sgpr_count 6
		.amdhsa_user_sgpr_private_segment_buffer 1
		.amdhsa_user_sgpr_dispatch_ptr 0
		.amdhsa_user_sgpr_queue_ptr 0
		.amdhsa_user_sgpr_kernarg_segment_ptr 1
		.amdhsa_user_sgpr_dispatch_id 0
		.amdhsa_user_sgpr_flat_scratch_init 0
		.amdhsa_user_sgpr_private_segment_size 0
		.amdhsa_wavefront_size32 1
		.amdhsa_uses_dynamic_stack 0
		.amdhsa_system_sgpr_private_segment_wavefront_offset 0
		.amdhsa_system_sgpr_workgroup_id_x 1
		.amdhsa_system_sgpr_workgroup_id_y 1
		.amdhsa_system_sgpr_workgroup_id_z 0
		.amdhsa_system_sgpr_workgroup_info 0
		.amdhsa_system_vgpr_workitem_id 1
		.amdhsa_next_free_vgpr 240
		.amdhsa_next_free_sgpr 21
		.amdhsa_reserve_vcc 1
		.amdhsa_reserve_flat_scratch 0
		.amdhsa_float_round_mode_32 0
		.amdhsa_float_round_mode_16_64 0
		.amdhsa_float_denorm_mode_32 3
		.amdhsa_float_denorm_mode_16_64 3
		.amdhsa_dx10_clamp 1
		.amdhsa_ieee_mode 1
		.amdhsa_fp16_overflow 0
		.amdhsa_workgroup_processor_mode 1
		.amdhsa_memory_ordered 1
		.amdhsa_forward_progress 1
		.amdhsa_shared_vgpr_count 0
		.amdhsa_exception_fp_ieee_invalid_op 0
		.amdhsa_exception_fp_denorm_src 0
		.amdhsa_exception_fp_ieee_div_zero 0
		.amdhsa_exception_fp_ieee_overflow 0
		.amdhsa_exception_fp_ieee_underflow 0
		.amdhsa_exception_fp_ieee_inexact 0
		.amdhsa_exception_int_div_zero 0
	.end_amdhsa_kernel
	.section	.text._ZL12mul_mat_q3_KIfLb0EEvPKvS1_PT_iiiii,"axG",@progbits,_ZL12mul_mat_q3_KIfLb0EEvPKvS1_PT_iiiii,comdat
.Lfunc_end129:
	.size	_ZL12mul_mat_q3_KIfLb0EEvPKvS1_PT_iiiii, .Lfunc_end129-_ZL12mul_mat_q3_KIfLb0EEvPKvS1_PT_iiiii
                                        ; -- End function
	.set _ZL12mul_mat_q3_KIfLb0EEvPKvS1_PT_iiiii.num_vgpr, 240
	.set _ZL12mul_mat_q3_KIfLb0EEvPKvS1_PT_iiiii.num_agpr, 0
	.set _ZL12mul_mat_q3_KIfLb0EEvPKvS1_PT_iiiii.numbered_sgpr, 21
	.set _ZL12mul_mat_q3_KIfLb0EEvPKvS1_PT_iiiii.num_named_barrier, 0
	.set _ZL12mul_mat_q3_KIfLb0EEvPKvS1_PT_iiiii.private_seg_size, 0
	.set _ZL12mul_mat_q3_KIfLb0EEvPKvS1_PT_iiiii.uses_vcc, 1
	.set _ZL12mul_mat_q3_KIfLb0EEvPKvS1_PT_iiiii.uses_flat_scratch, 0
	.set _ZL12mul_mat_q3_KIfLb0EEvPKvS1_PT_iiiii.has_dyn_sized_stack, 0
	.set _ZL12mul_mat_q3_KIfLb0EEvPKvS1_PT_iiiii.has_recursion, 0
	.set _ZL12mul_mat_q3_KIfLb0EEvPKvS1_PT_iiiii.has_indirect_call, 0
	.section	.AMDGPU.csdata,"",@progbits
; Kernel info:
; codeLenInByte = 38388
; TotalNumSgprs: 23
; NumVgprs: 240
; ScratchSize: 0
; MemoryBound: 0
; FloatMode: 240
; IeeeMode: 1
; LDSByteSize: 39840 bytes/workgroup (compile time only)
; SGPRBlocks: 0
; VGPRBlocks: 29
; NumSGPRsForWavesPerEU: 23
; NumVGPRsForWavesPerEU: 240
; Occupancy: 4
; WaveLimiterHint : 0
; COMPUTE_PGM_RSRC2:SCRATCH_EN: 0
; COMPUTE_PGM_RSRC2:USER_SGPR: 6
; COMPUTE_PGM_RSRC2:TRAP_HANDLER: 0
; COMPUTE_PGM_RSRC2:TGID_X_EN: 1
; COMPUTE_PGM_RSRC2:TGID_Y_EN: 1
; COMPUTE_PGM_RSRC2:TGID_Z_EN: 0
; COMPUTE_PGM_RSRC2:TIDIG_COMP_CNT: 1
	.section	.text._ZL12mul_mat_q3_KIfLb1EEvPKvS1_PT_iiiii,"axG",@progbits,_ZL12mul_mat_q3_KIfLb1EEvPKvS1_PT_iiiii,comdat
	.globl	_ZL12mul_mat_q3_KIfLb1EEvPKvS1_PT_iiiii ; -- Begin function _ZL12mul_mat_q3_KIfLb1EEvPKvS1_PT_iiiii
	.p2align	8
	.type	_ZL12mul_mat_q3_KIfLb1EEvPKvS1_PT_iiiii,@function
_ZL12mul_mat_q3_KIfLb1EEvPKvS1_PT_iiiii: ; @_ZL12mul_mat_q3_KIfLb1EEvPKvS1_PT_iiiii
; %bb.0:
	s_clause 0x1
	s_load_dwordx4 s[8:11], s[4:5], 0x18
	s_load_dword s14, s[4:5], 0x28
	s_lshl_b32 s7, s7, 6
	v_add_nc_u32_e32 v65, s7, v1
	s_waitcnt lgkmcnt(0)
	s_cmpk_gt_i32 s8, 0xff
	s_cbranch_scc1 .LBB130_2
; %bb.1:
	v_add_nc_u32_e32 v34, s7, v1
	s_mov_b32 s0, 0
	s_branch .LBB130_3
.LBB130_2:
	s_mov_b32 s0, -1
                                        ; implicit-def: $vgpr34
.LBB130_3:
	s_load_dwordx2 s[12:13], s[4:5], 0x10
	s_lshl_b32 s6, s6, 7
	s_andn2_b32 vcc_lo, exec_lo, s0
	s_mov_b32 s15, 0
	s_cbranch_vccnz .LBB130_16
; %bb.4:
	s_load_dwordx4 s[0:3], s[4:5], 0x0
	s_ashr_i32 s4, s8, 31
	s_ashr_i32 s5, s11, 31
	s_lshr_b32 s4, s4, 24
	s_lshr_b32 s5, s5, 27
	s_add_i32 s4, s8, s4
	s_add_i32 s5, s11, s5
	s_ashr_i32 s4, s4, 8
	s_ashr_i32 s11, s5, 5
	s_mul_i32 s8, s4, s6
	v_add_nc_u32_e32 v23, 8, v1
	s_mul_i32 s5, s8, 0x6e
	s_mul_hi_i32 s8, s8, 0x6e
	v_add_nc_u32_e32 v24, 16, v1
	v_and_b32_e32 v4, 15, v0
	v_lshlrev_b32_e32 v3, 2, v0
	v_add_nc_u32_e32 v25, 24, v1
	v_add_nc_u32_e32 v26, 32, v1
	;; [unrolled: 1-line block ×4, first 2 shown]
	s_waitcnt lgkmcnt(0)
	s_add_u32 s5, s0, s5
	s_addc_u32 s8, s1, s8
	s_not_b32 s0, s6
	v_add_nc_u32_e32 v29, 56, v1
	s_add_i32 s0, s9, s0
	v_lshlrev_b32_e32 v30, 4, v1
	v_min_i32_e32 v5, s0, v1
	v_min_i32_e32 v6, s0, v23
	;; [unrolled: 1-line block ×3, first 2 shown]
	v_lshrrev_b32_e32 v76, 1, v0
	v_lshrrev_b32_e32 v66, 4, v0
	v_mul_lo_u32 v68, v5, s4
	v_mad_u64_u32 v[42:43], null, 0x84, v5, v[3:4]
	v_min_i32_e32 v5, s0, v25
	v_mul_lo_u32 v69, v6, s4
	v_mad_u64_u32 v[43:44], null, 0x84, v6, v[3:4]
	v_min_i32_e32 v6, s0, v26
	v_mad_u64_u32 v[44:45], null, 0x84, v7, v[3:4]
	v_mul_lo_u32 v71, v5, s4
	v_mad_u64_u32 v[45:46], null, 0x84, v5, v[3:4]
	v_min_i32_e32 v5, s0, v27
	v_mul_lo_u32 v70, v7, s4
	v_mul_lo_u32 v72, v6, s4
	v_mad_u64_u32 v[46:47], null, 0x84, v6, v[3:4]
	v_min_i32_e32 v6, s0, v28
	v_add_nc_u32_e32 v7, 64, v1
	v_mad_u64_u32 v[47:48], null, 0x84, v5, v[3:4]
	v_mul_lo_u32 v73, v5, s4
	v_min_i32_e32 v5, s0, v29
	v_mul_lo_u32 v74, v6, s4
	v_mad_u64_u32 v[48:49], null, 0x84, v6, v[3:4]
	v_min_i32_e32 v6, s0, v7
	v_add_nc_u32_e32 v7, 0x48, v1
	v_mul_lo_u32 v75, v5, s4
	v_mad_u64_u32 v[49:50], null, 0x84, v5, v[3:4]
	v_add_nc_u32_e32 v8, v76, v30
	v_min_i32_e32 v5, s0, v7
	v_add_nc_u32_e32 v7, 0x50, v1
	v_mul_lo_u32 v77, v6, s4
	v_mad_u64_u32 v[50:51], null, 0x84, v6, v[3:4]
	v_and_b32_e32 v8, 0x7f, v8
	v_min_i32_e32 v6, s0, v7
	v_add_nc_u32_e32 v7, 0x58, v1
	v_mul_lo_u32 v78, v5, s4
	v_mad_u64_u32 v[51:52], null, 0x84, v5, v[3:4]
	v_min_i32_e32 v8, s0, v8
	v_min_i32_e32 v5, s0, v7
	v_add_nc_u32_e32 v7, 0x60, v1
	v_mul_lo_u32 v79, v6, s4
	v_mad_u64_u32 v[52:53], null, 0x84, v6, v[3:4]
	v_ashrrev_i32_e32 v9, 31, v8
	v_min_i32_e32 v6, s0, v7
	v_add_nc_u32_e32 v7, 0x68, v1
	v_mul_lo_u32 v80, v5, s4
	v_mad_u64_u32 v[53:54], null, 0x84, v5, v[3:4]
	v_lshrrev_b32_e32 v9, 28, v9
	v_min_i32_e32 v5, s0, v7
	v_add_nc_u32_e32 v7, 0x70, v1
	v_mul_lo_u32 v81, v6, s4
	v_mad_u64_u32 v[54:55], null, 0x84, v6, v[3:4]
	v_add_nc_u32_e32 v9, v8, v9
	v_min_i32_e32 v6, s0, v7
	v_add_nc_u32_e32 v7, 0x78, v1
	v_mul_lo_u32 v82, v5, s4
	v_mad_u64_u32 v[55:56], null, 0x84, v5, v[3:4]
	v_mad_u64_u32 v[56:57], null, 0x84, v6, v[3:4]
	v_min_i32_e32 v5, s0, v7
	v_ashrrev_i32_e32 v7, 4, v9
	v_lshl_add_u32 v9, v1, 1, v66
	v_and_b32_e32 v84, 1, v0
	v_mul_lo_u32 v83, v6, s4
	v_mul_lo_u32 v85, v5, s4
	v_mad_u64_u32 v[57:58], null, 0x84, v5, v[3:4]
	v_min_i32_e32 v10, s0, v9
	v_add_nc_u32_e32 v5, 16, v9
	v_lshlrev_b32_e32 v6, 2, v7
	v_lshlrev_b32_e32 v7, 2, v84
	v_mul_lo_u32 v86, v8, s4
	v_lshrrev_b32_e32 v11, 31, v10
	v_lshlrev_b32_e32 v32, 3, v8
	v_min_i32_e32 v5, s0, v5
	v_add_nc_u32_e32 v8, 32, v9
	v_lshlrev_b32_e32 v67, 2, v4
	v_add3_u32 v31, v6, v7, 0x9380
	v_add_lshl_u32 v7, v10, v11, 1
	v_cmp_lt_u32_e32 vcc_lo, 7, v4
	v_lshrrev_b32_e32 v4, 31, v5
	v_min_i32_e32 v8, s0, v8
	v_add_nc_u32_e32 v11, 48, v9
	v_and_b32_e32 v7, -4, v7
	v_mul_lo_u32 v89, v10, s4
	v_add_lshl_u32 v4, v5, v4, 1
	v_lshrrev_b32_e32 v12, 31, v8
	v_lshlrev_b32_e32 v34, 6, v10
	v_add3_u32 v33, v7, v67, 0x4200
	v_min_i32_e32 v7, s0, v11
	v_and_b32_e32 v4, -4, v4
	v_add_lshl_u32 v10, v8, v12, 1
	v_add_nc_u32_e32 v11, 64, v9
	v_mul_lo_u32 v90, v5, s4
	v_lshlrev_b32_e32 v36, 6, v5
	v_add3_u32 v35, v4, v67, 0x4200
	v_lshrrev_b32_e32 v4, 31, v7
	v_and_b32_e32 v10, -4, v10
	v_min_i32_e32 v5, s0, v11
	v_mul_lo_u32 v91, v8, s4
	v_lshlrev_b32_e32 v38, 6, v8
	v_add_lshl_u32 v4, v7, v4, 1
	v_add3_u32 v37, v10, v67, 0x4200
	v_add_nc_u32_e32 v10, 0x50, v9
	v_lshrrev_b32_e32 v11, 31, v5
	v_mul_lo_u32 v92, v7, s4
	v_and_b32_e32 v4, -4, v4
	v_lshlrev_b32_e32 v40, 6, v7
	v_min_i32_e32 v8, s0, v10
	v_add_lshl_u32 v10, v5, v11, 1
	v_add_nc_u32_e32 v11, 0x60, v9
	v_add3_u32 v39, v4, v67, 0x4200
	v_add_nc_u32_e32 v9, 0x70, v9
	v_lshrrev_b32_e32 v4, 31, v8
	v_and_b32_e32 v7, -4, v10
	v_min_i32_e32 v10, s0, v11
	v_lshrrev_b32_e32 v94, 3, v0
	v_min_i32_e32 v9, s0, v9
	v_add_lshl_u32 v4, v8, v4, 1
	v_add3_u32 v41, v7, v67, 0x4200
	v_lshrrev_b32_e32 v7, 31, v10
	v_mul_lo_u32 v93, v5, s4
	v_lshlrev_b32_e32 v61, 6, v5
	v_and_b32_e32 v4, -4, v4
	v_lshl_add_u32 v21, v1, 2, v94
	v_add_lshl_u32 v5, v10, v7, 1
	v_lshrrev_b32_e32 v7, 31, v9
	v_cndmask_b32_e64 v87, 0, 1, vcc_lo
	v_add3_u32 v62, v4, v67, 0x4200
	v_min_i32_e32 v58, s0, v21
	v_and_b32_e32 v4, -4, v5
	v_add_lshl_u32 v5, v9, v7, 1
	v_mul_lo_u32 v95, v8, s4
	v_lshlrev_b32_e32 v63, 6, v8
	v_ashrrev_i32_e32 v7, 31, v58
	v_add3_u32 v64, v4, v67, 0x4200
	v_and_b32_e32 v5, -4, v5
	v_and_b32_e32 v4, 3, v0
	v_add_nc_u32_e32 v8, 32, v21
	v_lshrrev_b32_e32 v7, 30, v7
	v_and_b32_e32 v6, 7, v0
	v_add3_u32 v147, v5, v67, 0x4200
	v_add_nc_u16 v5, v4, -2
	v_cmp_gt_u32_e32 vcc_lo, 2, v4
	v_mul_lo_u32 v97, v9, s4
	v_lshlrev_b32_e32 v148, 6, v9
	v_mov_b32_e32 v9, 2
	v_add_nc_u32_e32 v7, v58, v7
	v_cndmask_b32_e32 v5, v5, v4, vcc_lo
	v_min_i32_e32 v59, s0, v8
	v_lshlrev_b32_e32 v88, 2, v6
	v_cmp_lt_u32_e32 vcc_lo, 3, v6
	v_and_b32_e32 v6, -4, v7
	v_lshlrev_b32_sdwa v101, v9, v5 dst_sel:DWORD dst_unused:UNUSED_PAD src0_sel:DWORD src1_sel:BYTE_0
	v_ashrrev_i32_e32 v7, 31, v59
	v_add_nc_u32_e32 v19, 64, v21
	v_add_nc_u32_e32 v9, 8, v65
	;; [unrolled: 1-line block ×8, first 2 shown]
	s_add_i32 s1, s10, -1
	v_mul_lo_u32 v96, v10, s4
	v_lshlrev_b32_e32 v146, 6, v10
	v_add3_u32 v149, v6, v88, 0x8300
	v_lshrrev_b32_e32 v60, 30, v7
	v_cvt_f64_i32_e32 v[5:6], s1
	v_cvt_f64_u32_e32 v[7:8], v65
	v_cvt_f64_u32_e32 v[9:10], v9
	;; [unrolled: 1-line block ×6, first 2 shown]
	v_min_i32_e32 v106, s0, v19
	v_cvt_f64_u32_e32 v[19:20], v20
	v_add_nc_u32_e32 v104, 0x60, v21
	v_cvt_f64_u32_e32 v[21:22], v22
	v_mul_lo_u32 v103, v58, s4
	v_add_nc_u32_e32 v60, v59, v60
	v_ashrrev_i32_e32 v105, 31, v106
	v_lshlrev_b32_e32 v150, 5, v58
	v_min_i32_e32 v58, s0, v104
	v_mul_lo_u32 v104, v59, s4
	v_and_b32_e32 v60, -4, v60
	v_lshrrev_b32_e32 v105, 30, v105
	v_lshlrev_b32_e32 v152, 5, v59
	v_ashrrev_i32_e32 v107, 31, v58
	v_lshlrev_b32_e32 v153, 5, v106
	v_add3_u32 v151, v60, v88, 0x8300
	v_min_f64 v[7:8], v[7:8], v[5:6]
	v_min_f64 v[9:10], v[9:10], v[5:6]
	;; [unrolled: 1-line block ×6, first 2 shown]
	v_add_nc_u32_e32 v60, v106, v105
	v_min_f64 v[19:20], v[19:20], v[5:6]
	v_lshrrev_b32_e32 v105, 30, v107
	v_min_f64 v[5:6], v[21:22], v[5:6]
	v_lshrrev_b32_e32 v21, 2, v0
	v_and_b32_e32 v59, -4, v60
	v_lshlrev_b32_e32 v102, 1, v4
	v_add_nc_u32_e32 v60, v58, v105
	v_mul_lo_u32 v105, v106, s4
	v_lshl_add_u32 v21, v1, 3, v21
	v_add3_u32 v22, v59, v88, 0x8300
	v_mul_lo_u32 v106, v58, s4
	v_and_b32_e32 v59, -4, v60
	v_mov_b32_e32 v2, 0
	v_and_b32_e32 v3, 28, v3
	v_lshlrev_b32_e32 v98, 1, v0
	v_cvt_i32_f64_e32 v7, v[7:8]
	v_cvt_i32_f64_e32 v9, v[9:10]
	v_and_b32_e32 v10, 63, v21
	v_cvt_i32_f64_e32 v11, v[11:12]
	v_cvt_i32_f64_e32 v15, v[15:16]
	v_cvt_i32_f64_e32 v17, v[17:18]
	v_cvt_i32_f64_e32 v13, v[13:14]
	v_cvt_i32_f64_e32 v19, v[19:20]
	v_or_b32_e32 v16, s7, v10
	v_cvt_i32_f64_e32 v5, v[5:6]
	v_add3_u32 v8, v59, v88, 0x8300
	v_lshlrev_b32_e32 v12, 5, v58
	v_lshlrev_b32_e32 v18, 2, v4
	v_min_i32_e32 v6, s1, v16
	v_add_nc_u32_e32 v16, 0x60, v0
	v_and_b32_e32 v14, 31, v0
	v_lshlrev_b32_e32 v110, 7, v1
	v_lshl_or_b32 v10, v10, 4, v18
	v_add_nc_u32_e32 v137, 0x97a0, v30
	v_lshrrev_b32_e32 v21, 1, v16
	v_lshl_or_b32 v107, v14, 2, 0x6300
	v_lshlrev_b32_e32 v14, 7, v29
	v_mul_lo_u32 v109, s11, v7
	v_mul_lo_u32 v111, s11, v9
	v_lshlrev_b32_e32 v7, 7, v24
	v_lshlrev_b32_e32 v9, 7, v25
	v_mul_lo_u32 v114, s11, v15
	v_lshlrev_b32_e32 v15, 5, v0
	v_mul_lo_u32 v115, s11, v17
	v_mul_lo_u32 v116, s11, v19
	v_and_b32_e32 v24, 0xfc, v0
	v_mad_u64_u32 v[58:59], null, v6, s11, v[4:5]
	v_mul_lo_u32 v117, s11, v5
	v_add_nc_u32_e32 v5, 64, v0
	v_add_nc_u32_e32 v4, 32, v0
	v_and_b32_e32 v25, 0x1fc, v16
	v_add_nc_u32_e32 v108, 0x97a0, v10
	v_lshlrev_b32_e32 v6, 7, v23
	v_lshrrev_b32_e32 v19, 1, v5
	v_lshrrev_b32_e32 v20, 4, v5
	v_lshlrev_b32_e32 v122, 6, v5
	v_lshlrev_b32_e32 v123, 3, v5
	v_lshrrev_b32_e32 v127, 3, v5
	v_and_b32_e32 v5, 0x1fc, v5
	v_lshrrev_b32_e32 v17, 1, v4
	v_lshrrev_b32_e32 v18, 4, v4
	v_lshlrev_b32_e32 v120, 6, v4
	v_lshlrev_b32_e32 v121, 3, v4
	v_lshrrev_b32_e32 v126, 3, v4
	v_and_b32_e32 v4, 0x1fc, v4
	v_mul_lo_u32 v112, s11, v11
	v_mul_lo_u32 v113, s11, v13
	v_lshlrev_b32_e32 v10, 7, v26
	v_lshlrev_b32_e32 v11, 7, v27
	;; [unrolled: 1-line block ×3, first 2 shown]
	v_lshrrev_b32_e32 v23, 4, v16
	v_add_nc_u32_e32 v131, v15, v5
	v_mov_b32_e32 v5, v2
	v_add_nc_u32_e32 v129, v15, v24
	v_add_nc_u32_e32 v130, v15, v4
	;; [unrolled: 1-line block ×3, first 2 shown]
	v_add_co_u32 v59, s0, s2, v3
	v_mov_b32_e32 v3, v2
	v_mov_b32_e32 v4, v2
	v_lshlrev_b32_e32 v124, 6, v16
	v_lshlrev_b32_e32 v125, 3, v16
	v_lshrrev_b32_e32 v128, 3, v16
	v_add_nc_u32_e32 v139, v31, v32
	v_add_nc_u32_e32 v140, v33, v34
	;; [unrolled: 1-line block ×14, first 2 shown]
	v_lshlrev_b32_e32 v159, 2, v17
	v_lshlrev_b32_e32 v160, 2, v18
	;; [unrolled: 1-line block ×6, first 2 shown]
	v_mov_b32_e32 v21, v5
	v_mov_b32_e32 v33, v5
	;; [unrolled: 1-line block ×7, first 2 shown]
	v_cndmask_b32_e64 v99, 0, 1, vcc_lo
	v_and_b32_e32 v100, 4, v98
	v_mul_u32_u24_e32 v118, 0x84, v0
	v_lshlrev_b32_e32 v119, 6, v0
	v_add_co_ci_u32_e64 v60, null, s3, 0, s0
	v_add_nc_u32_e32 v133, 0x8300, v129
	v_add_nc_u32_e32 v134, 0x8700, v130
	;; [unrolled: 1-line block ×11, first 2 shown]
	v_mov_b32_e32 v20, v4
	v_mov_b32_e32 v19, v3
	;; [unrolled: 1-line block ×21, first 2 shown]
	s_branch .LBB130_6
.LBB130_5:                              ;   in Loop: Header=BB130_6 Depth=1
	s_add_i32 s15, s15, 2
	s_cmp_ge_i32 s15, s4
	s_cbranch_scc1 .LBB130_18
.LBB130_6:                              ; =>This Loop Header: Depth=1
                                        ;     Child Loop BB130_7 Depth 2
                                        ;     Child Loop BB130_9 Depth 2
	;; [unrolled: 1-line block ×4, first 2 shown]
	s_mul_i32 s0, s15, 0x6e
	s_mul_hi_u32 s1, s15, 0x6e
	s_add_u32 s0, s5, s0
	s_addc_u32 s1, s8, s1
	s_lshl_b32 s9, s15, 3
	v_mad_u64_u32 v[61:62], null, 0x6e, v66, s[0:1]
	v_mad_u64_u32 v[177:178], null, 0x6e, v87, s[0:1]
	v_mad_i64_i32 v[179:180], null, 0x6e, v86, s[0:1]
	v_add_nc_u32_e32 v183, s9, v94
	s_mov_b32 s16, -2
	v_mad_i64_i32 v[34:35], null, 0x6e, v68, v[61:62]
	v_mad_i64_i32 v[36:37], null, 0x6e, v69, v[61:62]
	;; [unrolled: 1-line block ×4, first 2 shown]
	v_add_co_u32 v34, vcc_lo, v34, v67
	v_mad_i64_i32 v[63:64], null, 0x6e, v72, v[61:62]
	v_add_co_ci_u32_e64 v35, null, 0, v35, vcc_lo
	v_add_co_u32 v36, vcc_lo, v36, v67
	v_mad_i64_i32 v[165:166], null, 0x6e, v73, v[61:62]
	v_add_co_ci_u32_e64 v37, null, 0, v37, vcc_lo
	;; [unrolled: 3-line block ×4, first 2 shown]
	v_add_co_u32 v63, vcc_lo, v63, v67
	v_add_co_ci_u32_e64 v64, null, 0, v64, vcc_lo
	v_add_co_u32 v165, vcc_lo, v165, v67
	v_add_co_ci_u32_e64 v166, null, 0, v166, vcc_lo
	v_add_co_u32 v167, vcc_lo, v167, v67
	v_mad_i64_i32 v[171:172], null, 0x6e, v77, v[61:62]
	v_add_co_ci_u32_e64 v168, null, 0, v168, vcc_lo
	v_add_co_u32 v169, vcc_lo, v169, v67
	v_add_co_ci_u32_e64 v170, null, 0, v170, vcc_lo
	s_clause 0x7
	global_load_dword v34, v[34:35], off offset:32
	global_load_dword v35, v[36:37], off offset:32
	;; [unrolled: 1-line block ×8, first 2 shown]
	v_mad_i64_i32 v[63:64], null, 0x6e, v78, v[61:62]
	v_mad_i64_i32 v[167:168], null, 0x6e, v79, v[61:62]
	v_add_co_u32 v165, vcc_lo, v171, v67
	v_mad_i64_i32 v[169:170], null, 0x6e, v80, v[61:62]
	v_add_co_ci_u32_e64 v166, null, 0, v172, vcc_lo
	v_mad_i64_i32 v[171:172], null, 0x6e, v81, v[61:62]
	v_add_co_u32 v63, vcc_lo, v63, v67
	v_mad_i64_i32 v[173:174], null, 0x6e, v82, v[61:62]
	v_add_co_ci_u32_e64 v64, null, 0, v64, vcc_lo
	v_add_co_u32 v167, vcc_lo, v167, v67
	v_mad_i64_i32 v[175:176], null, 0x6e, v83, v[61:62]
	v_add_co_ci_u32_e64 v168, null, 0, v168, vcc_lo
	;; [unrolled: 3-line block ×3, first 2 shown]
	v_add_co_u32 v171, vcc_lo, v171, v67
	v_add_co_ci_u32_e64 v172, null, 0, v172, vcc_lo
	v_add_co_u32 v173, vcc_lo, v173, v67
	v_add_co_ci_u32_e64 v174, null, 0, v174, vcc_lo
	v_add_co_u32 v175, vcc_lo, v175, v67
	v_add_co_ci_u32_e64 v176, null, 0, v176, vcc_lo
	v_add_co_u32 v61, vcc_lo, v61, v67
	v_add_co_ci_u32_e64 v62, null, 0, v62, vcc_lo
	v_add_co_u32 v177, vcc_lo, v177, v88
	v_add_co_ci_u32_e64 v178, null, 0, v178, vcc_lo
	s_clause 0x7
	global_load_dword v185, v[165:166], off offset:32
	global_load_dword v186, v[63:64], off offset:32
	;; [unrolled: 1-line block ×8, first 2 shown]
	v_mad_u64_u32 v[61:62], null, 0x6e, v84, v[179:180]
	v_mad_i64_i32 v[63:64], null, 0x6e, v89, v[177:178]
	v_mad_i64_i32 v[165:166], null, 0x6e, v90, v[177:178]
	;; [unrolled: 1-line block ×7, first 2 shown]
	s_clause 0x7
	global_load_ushort v193, v[61:62], off offset:108
	global_load_dword v194, v[63:64], off
	global_load_dword v195, v[165:166], off
	;; [unrolled: 1-line block ×7, first 2 shown]
	v_add_nc_u32_e32 v168, s9, v58
	v_add_nc_u32_e32 v165, v183, v109
	;; [unrolled: 1-line block ×4, first 2 shown]
	v_mad_u64_u32 v[179:180], null, 0x6e, v99, s[0:1]
	v_add_nc_u32_e32 v173, v183, v113
	v_mad_i64_i32 v[61:62], null, 0x6e, v97, v[177:178]
	v_add_nc_u32_e32 v177, v183, v114
	v_mad_u64_u32 v[175:176], null, v168, 36, s[2:3]
	v_mad_i64_i32 v[165:166], null, v165, 36, v[59:60]
	v_add_nc_u32_e32 v181, v183, v115
	v_mad_i64_i32 v[169:170], null, v169, 36, v[59:60]
	v_add_nc_u32_e32 v184, v183, v116
	;; [unrolled: 2-line block ×3, first 2 shown]
	v_mad_i64_i32 v[173:174], null, v173, 36, v[59:60]
	v_mad_i64_i32 v[177:178], null, v177, 36, v[59:60]
	;; [unrolled: 1-line block ×5, first 2 shown]
	global_load_dword v201, v[175:176], off
	v_mad_i64_i32 v[175:176], null, v200, 36, v[59:60]
	s_clause 0x7
	global_load_dword v200, v[165:166], off offset:4
	global_load_dword v202, v[169:170], off offset:4
	;; [unrolled: 1-line block ×8, first 2 shown]
	v_mad_i64_i32 v[165:166], null, 0x6e, v104, v[179:180]
	v_mad_i64_i32 v[171:172], null, 0x6e, v105, v[179:180]
	;; [unrolled: 1-line block ×3, first 2 shown]
	v_add_co_u32 v169, vcc_lo, v63, v101
	v_add_co_ci_u32_e64 v170, null, 0, v64, vcc_lo
	v_add_co_u32 v175, vcc_lo, v165, v101
	v_add_co_ci_u32_e64 v176, null, 0, v166, vcc_lo
	;; [unrolled: 2-line block ×4, first 2 shown]
	s_clause 0x8
	global_load_dword v61, v[61:62], off
	global_load_dword v62, v[169:170], off offset:96
	global_load_dword v173, v[173:174], off offset:104
	;; [unrolled: 1-line block ×8, first 2 shown]
	v_add_nc_u32_e32 v169, v107, v110
	v_mov_b32_e32 v170, v138
	v_mov_b32_e32 v171, v137
	s_mov_b32 s0, 0
	s_mov_b32 s1, 0
	s_waitcnt vmcnt(25)
	v_cvt_f32_f16_e32 v176, v193
	s_waitcnt vmcnt(17)
	v_cvt_f32_f16_e32 v175, v201
	s_waitcnt vmcnt(16)
	ds_write_b32 v169, v200
	s_waitcnt vmcnt(15)
	ds_write_b32 v152, v202
	;; [unrolled: 2-line block ×8, first 2 shown]
	ds_write_b32 v108, v175
	ds_write_b32 v42, v34
	;; [unrolled: 1-line block ×18, first 2 shown]
	v_not_b32_e32 v34, v194
	v_not_b32_e32 v35, v195
	;; [unrolled: 1-line block ×5, first 2 shown]
	ds_write_b32 v140, v34
	ds_write_b32 v141, v35
	;; [unrolled: 1-line block ×5, first 2 shown]
	v_not_b32_e32 v39, v198
	v_not_b32_e32 v40, v199
	ds_write_b32 v145, v39
	ds_write_b32 v146, v40
	s_waitcnt vmcnt(8)
	v_not_b32_e32 v41, v61
	s_waitcnt vmcnt(7)
	v_ashrrev_i32_e32 v61, v100, v62
	s_waitcnt vmcnt(3)
	v_ashrrev_i32_e32 v62, v102, v63
	;; [unrolled: 2-line block ×3, first 2 shown]
	v_ashrrev_i32_e32 v64, v102, v165
	s_waitcnt vmcnt(1)
	v_ashrrev_i32_e32 v165, v100, v166
	v_ashrrev_i32_e32 v166, v102, v172
	s_waitcnt vmcnt(0)
	v_ashrrev_i32_e32 v167, v100, v174
	v_ashrrev_i32_e32 v172, v102, v173
	v_and_b32_e32 v34, 0xf0f0f0f, v61
	v_lshlrev_b32_e32 v35, 4, v62
	v_and_b32_e32 v36, 0xf0f0f0f, v63
	v_lshlrev_b32_e32 v37, 4, v64
	;; [unrolled: 2-line block ×4, first 2 shown]
	v_and_or_b32 v34, 0x30303030, v35, v34
	v_and_or_b32 v35, 0x30303030, v37, v36
	v_and_or_b32 v36, 0x30303030, v61, v38
	v_and_or_b32 v37, 0x30303030, v63, v62
	v_lshrrev_b32_e32 v38, 16, v34
	v_and_b32_e32 v39, 0x3f00, v34
	v_lshlrev_b16 v34, 8, v34
	v_lshrrev_b32_e32 v61, 16, v35
	v_lshrrev_b32_e32 v63, 16, v36
	v_and_b32_e32 v62, 0x3f00, v35
	v_lshlrev_b16 v35, 8, v35
	v_lshrrev_b32_e32 v165, 16, v37
	v_and_b32_e32 v167, 0x3f00, v38
	v_lshlrev_b16 v38, 8, v38
	v_add_nc_u16 v34, 0xe000, v34
	v_and_b32_e32 v172, 0x3f00, v61
	v_lshlrev_b16 v61, 8, v61
	v_and_b32_e32 v173, 0x3f00, v63
	v_lshlrev_b16 v63, 8, v63
	v_add_nc_u16 v35, 0xe000, v35
	v_and_b32_e32 v174, 0x3f00, v165
	v_lshlrev_b16 v165, 8, v165
	v_add_nc_u16 v38, 0xe000, v38
	v_or_b32_sdwa v34, v39, v34 dst_sel:DWORD dst_unused:UNUSED_PAD src0_sel:DWORD src1_sel:BYTE_1
	v_add_nc_u16 v39, 0xe000, v61
	v_and_b32_e32 v64, 0x3f00, v36
	v_lshlrev_b16 v36, 8, v36
	v_add_nc_u16 v61, 0xe000, v63
	v_and_b32_e32 v166, 0x3f00, v37
	v_lshlrev_b16 v37, 8, v37
	v_or_b32_sdwa v35, v62, v35 dst_sel:DWORD dst_unused:UNUSED_PAD src0_sel:DWORD src1_sel:BYTE_1
	v_add_nc_u16 v62, 0xe000, v165
	v_or_b32_sdwa v38, v167, v38 dst_sel:DWORD dst_unused:UNUSED_PAD src0_sel:DWORD src1_sel:BYTE_1
	v_or_b32_sdwa v39, v172, v39 dst_sel:DWORD dst_unused:UNUSED_PAD src0_sel:DWORD src1_sel:BYTE_1
	v_add_nc_u16 v36, 0xe000, v36
	v_or_b32_sdwa v61, v173, v61 dst_sel:DWORD dst_unused:UNUSED_PAD src0_sel:DWORD src1_sel:BYTE_1
	v_add_nc_u16 v37, 0xe000, v37
	;; [unrolled: 2-line block ×3, first 2 shown]
	v_add_nc_u16 v39, 0xe000, v39
	v_or_b32_sdwa v36, v64, v36 dst_sel:DWORD dst_unused:UNUSED_PAD src0_sel:DWORD src1_sel:BYTE_1
	v_add_nc_u16 v61, 0xe000, v61
	v_or_b32_sdwa v37, v166, v37 dst_sel:DWORD dst_unused:UNUSED_PAD src0_sel:DWORD src1_sel:BYTE_1
	v_add_nc_u16 v62, 0xe000, v62
	v_add_nc_u16 v34, 0xe000, v34
	v_lshlrev_b32_e32 v38, 16, v38
	v_add_nc_u16 v35, 0xe000, v35
	v_lshlrev_b32_e32 v39, 16, v39
	;; [unrolled: 2-line block ×4, first 2 shown]
	v_or_b32_sdwa v34, v34, v38 dst_sel:DWORD dst_unused:UNUSED_PAD src0_sel:WORD_0 src1_sel:DWORD
	v_or_b32_sdwa v35, v35, v39 dst_sel:DWORD dst_unused:UNUSED_PAD src0_sel:WORD_0 src1_sel:DWORD
	;; [unrolled: 1-line block ×4, first 2 shown]
	ds_write_b32 v147, v41
	ds_write_b32 v148, v34
	;; [unrolled: 1-line block ×5, first 2 shown]
	s_waitcnt lgkmcnt(0)
	s_barrier
	buffer_gl0_inv
.LBB130_7:                              ;   Parent Loop BB130_6 Depth=1
                                        ; =>  This Inner Loop Header: Depth=2
	s_add_i32 s11, s16, 2
	v_lshlrev_b32_e32 v165, 2, v76
	s_lshr_b32 s17, s11, 4
	s_and_b32 s18, s11, 0x3ffffff8
	ds_read2_b32 v[61:62], v171 offset1:32
	ds_read_b128 v[38:41], v170
	ds_read_b128 v[34:37], v170 offset:16
	v_lshl_add_u32 v181, s18, 2, v118
	s_lshl_b32 s18, s17, 5
	s_lshl_b32 s17, s17, 2
	s_addk_i32 s18, 0x4200
	s_add_i32 s17, s17, 0x9380
	v_add3_u32 v178, s18, v165, v119
	ds_read2_b32 v[63:64], v181 offset1:1
	v_add3_u32 v188, s18, v159, v120
	v_add3_u32 v197, s18, v161, v122
	v_mov_b32_e32 v213, 0
	ds_read2_b32 v[166:167], v178 offset1:1
	v_mov_b32_e32 v214, 0
	v_mov_b32_e32 v208, 0
	;; [unrolled: 1-line block ×15, first 2 shown]
	s_waitcnt lgkmcnt(1)
	v_ashrrev_i32_e32 v63, s11, v63
	v_mov_b32_e32 v232, 0
	v_mov_b32_e32 v229, 0
	;; [unrolled: 1-line block ×3, first 2 shown]
	s_waitcnt lgkmcnt(0)
	v_ashrrev_i32_e32 v166, s0, v166
	v_and_b32_e32 v172, 0x3030303, v63
	v_bfe_u32 v63, v63, 24, 2
	v_ashrrev_i32_e32 v167, s0, v167
	v_mov_b32_e32 v223, 0
	v_lshlrev_b32_e32 v166, 2, v166
	v_lshrrev_b16 v174, 8, v172
	v_lshrrev_b32_e32 v173, 16, v172
	v_lshlrev_b32_e32 v167, 2, v167
	v_mov_b32_e32 v224, 0
	v_and_b32_e32 v166, 0x4040404, v166
	s_and_b32 s19, s1, -16
	v_mov_b32_e32 v234, 0
	v_and_b32_e32 v167, 0x4040404, v167
	s_add_i32 s16, s16, s19
	v_lshrrev_b16 v177, 8, v166
	v_lshrrev_b32_e32 v175, 16, v166
	v_lshrrev_b32_e32 v176, 24, v166
	v_sub_nc_u16 v166, v172, v166
	v_add_nc_u32_e32 v211, s16, v133
	v_sub_nc_u16 v172, v174, v177
	v_lshrrev_b32_e32 v174, 16, v167
	v_sub_nc_u16 v63, v63, v176
	v_lshrrev_b16 v176, 8, v167
	v_add_nc_u32_e32 v209, s16, v134
	v_lshlrev_b16 v172, 8, v172
	v_mov_b32_e32 v237, 0
	v_lshlrev_b16 v63, 8, v63
	v_add_nc_u32_e32 v216, s16, v135
	v_mov_b32_e32 v239, 0
	v_or_b32_sdwa v166, v166, v172 dst_sel:DWORD dst_unused:UNUSED_PAD src0_sel:BYTE_0 src1_sel:DWORD
	v_sub_nc_u16 v172, v173, v175
	v_lshrrev_b32_e32 v175, 24, v167
	v_mov_b32_e32 v240, 0
	v_mov_b32_e32 v241, 0
	s_add_i32 s1, s1, 2
	v_or_b32_sdwa v63, v172, v63 dst_sel:WORD_1 dst_unused:UNUSED_PAD src0_sel:BYTE_0 src1_sel:DWORD
	v_or_b32_sdwa v172, v166, v63 dst_sel:DWORD dst_unused:UNUSED_PAD src0_sel:WORD_0 src1_sel:DWORD
	v_ashrrev_i32_e32 v63, s11, v64
	v_dot4c_i32_i8 v213, v172, v38
	v_and_b32_e32 v64, 0x3030303, v63
	v_bfe_u32 v63, v63, 24, 2
	v_lshrrev_b16 v173, 8, v64
	v_lshrrev_b32_e32 v166, 16, v64
	v_sub_nc_u16 v64, v64, v167
	v_sub_nc_u16 v63, v63, v175
	;; [unrolled: 1-line block ×4, first 2 shown]
	v_lshlrev_b16 v63, 8, v63
	v_lshlrev_b16 v167, 8, v167
	v_or_b32_sdwa v63, v166, v63 dst_sel:WORD_1 dst_unused:UNUSED_PAD src0_sel:BYTE_0 src1_sel:DWORD
	v_or_b32_sdwa v64, v64, v167 dst_sel:DWORD dst_unused:UNUSED_PAD src0_sel:BYTE_0 src1_sel:DWORD
	ds_read2_b32 v[166:167], v178 offset0:2 offset1:3
	v_or_b32_sdwa v173, v64, v63 dst_sel:DWORD dst_unused:UNUSED_PAD src0_sel:WORD_0 src1_sel:DWORD
	ds_read2_b32 v[63:64], v181 offset0:2 offset1:3
	v_dot4c_i32_i8 v213, v173, v39
	s_waitcnt lgkmcnt(1)
	v_ashrrev_i32_e32 v166, s0, v166
	v_ashrrev_i32_e32 v167, s0, v167
	s_waitcnt lgkmcnt(0)
	v_ashrrev_i32_e32 v63, s11, v63
	v_lshlrev_b32_e32 v166, 2, v166
	v_lshlrev_b32_e32 v167, 2, v167
	v_and_b32_e32 v174, 0x3030303, v63
	v_and_b32_e32 v166, 0x4040404, v166
	v_bfe_u32 v63, v63, 24, 2
	v_and_b32_e32 v167, 0x4040404, v167
	v_lshrrev_b16 v176, 8, v174
	v_lshrrev_b16 v180, 8, v166
	v_lshrrev_b32_e32 v175, 16, v174
	v_lshrrev_b32_e32 v177, 16, v166
	;; [unrolled: 1-line block ×3, first 2 shown]
	v_sub_nc_u16 v166, v174, v166
	v_sub_nc_u16 v174, v176, v180
	v_lshrrev_b32_e32 v176, 16, v167
	v_sub_nc_u16 v63, v63, v179
	v_lshrrev_b16 v179, 8, v167
	v_lshlrev_b16 v174, 8, v174
	v_lshlrev_b16 v63, 8, v63
	v_or_b32_sdwa v166, v166, v174 dst_sel:DWORD dst_unused:UNUSED_PAD src0_sel:BYTE_0 src1_sel:DWORD
	v_sub_nc_u16 v174, v175, v177
	v_lshrrev_b32_e32 v177, 24, v167
	v_or_b32_sdwa v63, v174, v63 dst_sel:WORD_1 dst_unused:UNUSED_PAD src0_sel:BYTE_0 src1_sel:DWORD
	v_or_b32_sdwa v174, v166, v63 dst_sel:DWORD dst_unused:UNUSED_PAD src0_sel:WORD_0 src1_sel:DWORD
	v_ashrrev_i32_e32 v63, s11, v64
	v_dot4c_i32_i8 v213, v174, v40
	v_and_b32_e32 v64, 0x3030303, v63
	v_bfe_u32 v63, v63, 24, 2
	v_lshrrev_b16 v175, 8, v64
	v_lshrrev_b32_e32 v166, 16, v64
	v_sub_nc_u16 v64, v64, v167
	v_sub_nc_u16 v63, v63, v177
	;; [unrolled: 1-line block ×4, first 2 shown]
	v_lshlrev_b16 v63, 8, v63
	v_lshlrev_b16 v167, 8, v167
	v_or_b32_sdwa v63, v166, v63 dst_sel:WORD_1 dst_unused:UNUSED_PAD src0_sel:BYTE_0 src1_sel:DWORD
	v_or_b32_sdwa v64, v64, v167 dst_sel:DWORD dst_unused:UNUSED_PAD src0_sel:BYTE_0 src1_sel:DWORD
	ds_read2_b32 v[166:167], v178 offset0:4 offset1:5
	v_or_b32_sdwa v175, v64, v63 dst_sel:DWORD dst_unused:UNUSED_PAD src0_sel:WORD_0 src1_sel:DWORD
	ds_read2_b32 v[63:64], v181 offset0:4 offset1:5
	v_dot4c_i32_i8 v213, v175, v41
	s_waitcnt lgkmcnt(1)
	v_ashrrev_i32_e32 v166, s0, v166
	v_ashrrev_i32_e32 v167, s0, v167
	s_waitcnt lgkmcnt(0)
	v_ashrrev_i32_e32 v63, s11, v63
	v_lshlrev_b32_e32 v166, 2, v166
	v_lshlrev_b32_e32 v167, 2, v167
	v_and_b32_e32 v176, 0x3030303, v63
	v_and_b32_e32 v166, 0x4040404, v166
	v_bfe_u32 v63, v63, 24, 2
	v_and_b32_e32 v167, 0x4040404, v167
	v_lshrrev_b16 v179, 8, v176
	v_lshrrev_b16 v183, 8, v166
	v_lshrrev_b32_e32 v177, 16, v176
	v_lshrrev_b32_e32 v180, 16, v166
	;; [unrolled: 1-line block ×3, first 2 shown]
	v_sub_nc_u16 v166, v176, v166
	v_sub_nc_u16 v176, v179, v183
	v_lshrrev_b32_e32 v179, 16, v167
	v_sub_nc_u16 v63, v63, v182
	v_lshrrev_b16 v182, 8, v167
	v_lshlrev_b16 v176, 8, v176
	v_lshlrev_b16 v63, 8, v63
	v_or_b32_sdwa v166, v166, v176 dst_sel:DWORD dst_unused:UNUSED_PAD src0_sel:BYTE_0 src1_sel:DWORD
	v_sub_nc_u16 v176, v177, v180
	v_lshrrev_b32_e32 v180, 24, v167
	v_or_b32_sdwa v63, v176, v63 dst_sel:WORD_1 dst_unused:UNUSED_PAD src0_sel:BYTE_0 src1_sel:DWORD
	v_or_b32_sdwa v176, v166, v63 dst_sel:DWORD dst_unused:UNUSED_PAD src0_sel:WORD_0 src1_sel:DWORD
	v_ashrrev_i32_e32 v63, s11, v64
	v_dot4c_i32_i8 v214, v176, v34
	v_and_b32_e32 v64, 0x3030303, v63
	v_bfe_u32 v63, v63, 24, 2
	v_lshrrev_b16 v177, 8, v64
	v_lshrrev_b32_e32 v166, 16, v64
	v_sub_nc_u16 v64, v64, v167
	v_sub_nc_u16 v63, v63, v180
	;; [unrolled: 1-line block ×4, first 2 shown]
	v_lshlrev_b16 v63, 8, v63
	v_lshlrev_b16 v167, 8, v167
	v_or_b32_sdwa v63, v166, v63 dst_sel:WORD_1 dst_unused:UNUSED_PAD src0_sel:BYTE_0 src1_sel:DWORD
	v_or_b32_sdwa v64, v64, v167 dst_sel:DWORD dst_unused:UNUSED_PAD src0_sel:BYTE_0 src1_sel:DWORD
	ds_read2_b32 v[166:167], v178 offset0:6 offset1:7
	v_or_b32_sdwa v177, v64, v63 dst_sel:DWORD dst_unused:UNUSED_PAD src0_sel:WORD_0 src1_sel:DWORD
	ds_read2_b32 v[63:64], v181 offset0:6 offset1:7
	v_dot4c_i32_i8 v214, v177, v35
	s_waitcnt lgkmcnt(1)
	v_ashrrev_i32_e32 v166, s0, v166
	v_ashrrev_i32_e32 v167, s0, v167
	s_waitcnt lgkmcnt(0)
	v_ashrrev_i32_e32 v63, s11, v63
	v_lshlrev_b32_e32 v166, 2, v166
	v_lshlrev_b32_e32 v167, 2, v167
	v_and_b32_e32 v179, 0x3030303, v63
	v_bfe_u32 v63, v63, 24, 2
	v_and_b32_e32 v166, 0x4040404, v166
	v_and_b32_e32 v167, 0x4040404, v167
	v_lshrrev_b16 v182, 8, v179
	v_lshrrev_b32_e32 v180, 16, v179
	v_lshrrev_b32_e32 v183, 24, v166
	v_lshrrev_b16 v184, 8, v166
	v_lshrrev_b32_e32 v178, 16, v166
	v_sub_nc_u16 v166, v179, v166
	v_sub_nc_u16 v63, v63, v183
	v_sub_nc_u16 v179, v182, v184
	v_sub_nc_u16 v178, v180, v178
	v_lshrrev_b32_e32 v182, 24, v167
	v_lshrrev_b16 v183, 8, v167
	v_lshlrev_b16 v63, 8, v63
	v_lshlrev_b16 v179, 8, v179
	v_lshrrev_b32_e32 v180, 16, v167
	v_or_b32_sdwa v63, v178, v63 dst_sel:WORD_1 dst_unused:UNUSED_PAD src0_sel:BYTE_0 src1_sel:DWORD
	v_or_b32_sdwa v166, v166, v179 dst_sel:DWORD dst_unused:UNUSED_PAD src0_sel:BYTE_0 src1_sel:DWORD
	v_or_b32_sdwa v178, v166, v63 dst_sel:DWORD dst_unused:UNUSED_PAD src0_sel:WORD_0 src1_sel:DWORD
	v_ashrrev_i32_e32 v63, s11, v64
	v_dot4c_i32_i8 v214, v178, v36
	v_and_b32_e32 v64, 0x3030303, v63
	v_bfe_u32 v63, v63, 24, 2
	v_lshrrev_b16 v179, 8, v64
	v_lshrrev_b32_e32 v166, 16, v64
	v_sub_nc_u16 v64, v64, v167
	v_sub_nc_u16 v63, v63, v182
	;; [unrolled: 1-line block ×4, first 2 shown]
	ds_read2_b32 v[182:183], v188 offset1:1
	v_lshlrev_b16 v63, 8, v63
	v_lshlrev_b16 v167, 8, v167
	v_or_b32_sdwa v63, v166, v63 dst_sel:WORD_1 dst_unused:UNUSED_PAD src0_sel:BYTE_0 src1_sel:DWORD
	v_lshlrev_b32_e32 v166, 2, v66
	v_or_b32_sdwa v64, v64, v167 dst_sel:DWORD dst_unused:UNUSED_PAD src0_sel:BYTE_0 src1_sel:DWORD
	v_lshlrev_b32_e32 v167, 2, v98
	v_or_b32_sdwa v180, v64, v63 dst_sel:DWORD dst_unused:UNUSED_PAD src0_sel:WORD_0 src1_sel:DWORD
	v_add3_u32 v63, s17, v166, v167
	v_dot4c_i32_i8 v214, v180, v37
	ds_read_b32 v179, v63
	v_add_nc_u32_e32 v63, 0x1080, v181
	s_waitcnt lgkmcnt(1)
	v_ashrrev_i32_e32 v182, s0, v182
	v_ashrrev_i32_e32 v183, s0, v183
	ds_read2_b32 v[63:64], v63 offset1:1
	v_lshlrev_b32_e32 v182, 2, v182
	v_lshlrev_b32_e32 v183, 2, v183
	v_and_b32_e32 v182, 0x4040404, v182
	v_and_b32_e32 v183, 0x4040404, v183
	v_lshrrev_b16 v190, 8, v182
	v_lshrrev_b32_e32 v187, 16, v182
	v_lshrrev_b32_e32 v189, 24, v182
	s_waitcnt lgkmcnt(0)
	v_ashrrev_i32_e32 v63, s11, v63
	v_and_b32_e32 v184, 0x3030303, v63
	v_bfe_u32 v63, v63, 24, 2
	v_lshrrev_b16 v186, 8, v184
	v_lshrrev_b32_e32 v185, 16, v184
	v_sub_nc_u16 v182, v184, v182
	v_sub_nc_u16 v63, v63, v189
	v_lshrrev_b16 v189, 8, v183
	v_sub_nc_u16 v184, v186, v190
	v_lshrrev_b32_e32 v186, 16, v183
	v_lshlrev_b16 v63, 8, v63
	v_lshlrev_b16 v184, 8, v184
	v_or_b32_sdwa v182, v182, v184 dst_sel:DWORD dst_unused:UNUSED_PAD src0_sel:BYTE_0 src1_sel:DWORD
	v_sub_nc_u16 v184, v185, v187
	v_lshrrev_b32_e32 v187, 24, v183
	v_or_b32_sdwa v63, v184, v63 dst_sel:WORD_1 dst_unused:UNUSED_PAD src0_sel:BYTE_0 src1_sel:DWORD
	v_or_b32_sdwa v182, v182, v63 dst_sel:DWORD dst_unused:UNUSED_PAD src0_sel:WORD_0 src1_sel:DWORD
	v_ashrrev_i32_e32 v63, s11, v64
	v_dot4c_i32_i8 v208, v182, v38
	v_and_b32_e32 v64, 0x3030303, v63
	v_bfe_u32 v63, v63, 24, 2
	v_lshrrev_b16 v185, 8, v64
	v_lshrrev_b32_e32 v184, 16, v64
	v_sub_nc_u16 v64, v64, v183
	v_sub_nc_u16 v63, v63, v187
	v_sub_nc_u16 v183, v185, v189
	v_lshlrev_b16 v63, 8, v63
	v_lshlrev_b16 v183, 8, v183
	v_or_b32_sdwa v64, v64, v183 dst_sel:DWORD dst_unused:UNUSED_PAD src0_sel:BYTE_0 src1_sel:DWORD
	v_sub_nc_u16 v183, v184, v186
	ds_read2_b32 v[184:185], v188 offset0:2 offset1:3
	v_or_b32_sdwa v63, v183, v63 dst_sel:WORD_1 dst_unused:UNUSED_PAD src0_sel:BYTE_0 src1_sel:DWORD
	v_or_b32_sdwa v183, v64, v63 dst_sel:DWORD dst_unused:UNUSED_PAD src0_sel:WORD_0 src1_sel:DWORD
	v_add_nc_u32_e32 v63, 0x1088, v181
	v_dot4c_i32_i8 v208, v183, v39
	ds_read2_b32 v[63:64], v63 offset1:1
	s_waitcnt lgkmcnt(1)
	v_ashrrev_i32_e32 v184, s0, v184
	v_ashrrev_i32_e32 v185, s0, v185
	v_lshlrev_b32_e32 v184, 2, v184
	v_lshlrev_b32_e32 v185, 2, v185
	v_and_b32_e32 v184, 0x4040404, v184
	v_and_b32_e32 v185, 0x4040404, v185
	s_waitcnt lgkmcnt(0)
	v_ashrrev_i32_e32 v63, s11, v63
	v_lshrrev_b16 v192, 8, v184
	v_lshrrev_b32_e32 v190, 16, v184
	v_lshrrev_b32_e32 v191, 24, v184
	v_and_b32_e32 v186, 0x3030303, v63
	v_bfe_u32 v63, v63, 24, 2
	v_lshrrev_b16 v189, 8, v186
	v_lshrrev_b32_e32 v187, 16, v186
	v_sub_nc_u16 v184, v186, v184
	v_sub_nc_u16 v63, v63, v191
	v_lshrrev_b16 v191, 8, v185
	v_sub_nc_u16 v186, v189, v192
	v_lshrrev_b32_e32 v189, 16, v185
	v_lshlrev_b16 v63, 8, v63
	v_lshlrev_b16 v186, 8, v186
	v_or_b32_sdwa v184, v184, v186 dst_sel:DWORD dst_unused:UNUSED_PAD src0_sel:BYTE_0 src1_sel:DWORD
	v_sub_nc_u16 v186, v187, v190
	v_lshrrev_b32_e32 v190, 24, v185
	v_or_b32_sdwa v63, v186, v63 dst_sel:WORD_1 dst_unused:UNUSED_PAD src0_sel:BYTE_0 src1_sel:DWORD
	v_or_b32_sdwa v184, v184, v63 dst_sel:DWORD dst_unused:UNUSED_PAD src0_sel:WORD_0 src1_sel:DWORD
	v_ashrrev_i32_e32 v63, s11, v64
	v_dot4c_i32_i8 v208, v184, v40
	v_and_b32_e32 v64, 0x3030303, v63
	v_bfe_u32 v63, v63, 24, 2
	v_lshrrev_b16 v187, 8, v64
	v_lshrrev_b32_e32 v186, 16, v64
	v_sub_nc_u16 v64, v64, v185
	v_sub_nc_u16 v63, v63, v190
	v_sub_nc_u16 v185, v187, v191
	v_lshlrev_b16 v63, 8, v63
	v_lshlrev_b16 v185, 8, v185
	v_or_b32_sdwa v64, v64, v185 dst_sel:DWORD dst_unused:UNUSED_PAD src0_sel:BYTE_0 src1_sel:DWORD
	v_sub_nc_u16 v185, v186, v189
	ds_read2_b32 v[186:187], v188 offset0:4 offset1:5
	v_or_b32_sdwa v63, v185, v63 dst_sel:WORD_1 dst_unused:UNUSED_PAD src0_sel:BYTE_0 src1_sel:DWORD
	v_or_b32_sdwa v185, v64, v63 dst_sel:DWORD dst_unused:UNUSED_PAD src0_sel:WORD_0 src1_sel:DWORD
	v_add_nc_u32_e32 v63, 0x1090, v181
	v_dot4c_i32_i8 v208, v185, v41
	ds_read2_b32 v[63:64], v63 offset1:1
	s_waitcnt lgkmcnt(1)
	v_ashrrev_i32_e32 v186, s0, v186
	v_ashrrev_i32_e32 v187, s0, v187
	v_lshlrev_b32_e32 v186, 2, v186
	v_lshlrev_b32_e32 v187, 2, v187
	v_and_b32_e32 v186, 0x4040404, v186
	v_and_b32_e32 v187, 0x4040404, v187
	s_waitcnt lgkmcnt(0)
	v_ashrrev_i32_e32 v63, s11, v63
	v_lshrrev_b16 v194, 8, v186
	v_lshrrev_b32_e32 v192, 16, v186
	v_lshrrev_b32_e32 v193, 24, v186
	v_and_b32_e32 v189, 0x3030303, v63
	v_bfe_u32 v63, v63, 24, 2
	v_lshrrev_b16 v191, 8, v189
	v_lshrrev_b32_e32 v190, 16, v189
	v_sub_nc_u16 v186, v189, v186
	v_sub_nc_u16 v63, v63, v193
	v_lshrrev_b16 v193, 8, v187
	v_sub_nc_u16 v189, v191, v194
	v_lshrrev_b32_e32 v191, 16, v187
	v_lshlrev_b16 v63, 8, v63
	v_lshlrev_b16 v189, 8, v189
	v_or_b32_sdwa v186, v186, v189 dst_sel:DWORD dst_unused:UNUSED_PAD src0_sel:BYTE_0 src1_sel:DWORD
	v_sub_nc_u16 v189, v190, v192
	v_lshrrev_b32_e32 v192, 24, v187
	v_or_b32_sdwa v63, v189, v63 dst_sel:WORD_1 dst_unused:UNUSED_PAD src0_sel:BYTE_0 src1_sel:DWORD
	v_or_b32_sdwa v186, v186, v63 dst_sel:DWORD dst_unused:UNUSED_PAD src0_sel:WORD_0 src1_sel:DWORD
	v_ashrrev_i32_e32 v63, s11, v64
	v_dot4c_i32_i8 v210, v186, v34
	v_and_b32_e32 v64, 0x3030303, v63
	v_bfe_u32 v63, v63, 24, 2
	v_lshrrev_b16 v190, 8, v64
	v_lshrrev_b32_e32 v189, 16, v64
	v_sub_nc_u16 v64, v64, v187
	v_sub_nc_u16 v63, v63, v192
	v_sub_nc_u16 v187, v190, v193
	v_lshlrev_b16 v63, 8, v63
	v_lshlrev_b16 v187, 8, v187
	v_or_b32_sdwa v64, v64, v187 dst_sel:DWORD dst_unused:UNUSED_PAD src0_sel:BYTE_0 src1_sel:DWORD
	v_sub_nc_u16 v187, v189, v191
	ds_read2_b32 v[188:189], v188 offset0:6 offset1:7
	v_or_b32_sdwa v63, v187, v63 dst_sel:WORD_1 dst_unused:UNUSED_PAD src0_sel:BYTE_0 src1_sel:DWORD
	v_or_b32_sdwa v187, v64, v63 dst_sel:DWORD dst_unused:UNUSED_PAD src0_sel:WORD_0 src1_sel:DWORD
	v_add_nc_u32_e32 v63, 0x1098, v181
	v_dot4c_i32_i8 v210, v187, v35
	ds_read2_b32 v[63:64], v63 offset1:1
	s_waitcnt lgkmcnt(1)
	v_ashrrev_i32_e32 v188, s0, v188
	v_ashrrev_i32_e32 v189, s0, v189
	v_lshlrev_b32_e32 v188, 2, v188
	v_lshlrev_b32_e32 v189, 2, v189
	v_and_b32_e32 v188, 0x4040404, v188
	v_and_b32_e32 v189, 0x4040404, v189
	s_waitcnt lgkmcnt(0)
	v_ashrrev_i32_e32 v63, s11, v63
	v_lshrrev_b16 v195, 8, v188
	v_lshrrev_b32_e32 v193, 16, v188
	v_lshrrev_b32_e32 v194, 24, v188
	v_and_b32_e32 v190, 0x3030303, v63
	v_bfe_u32 v63, v63, 24, 2
	v_lshrrev_b16 v192, 8, v190
	v_lshrrev_b32_e32 v191, 16, v190
	v_sub_nc_u16 v188, v190, v188
	v_sub_nc_u16 v63, v63, v194
	v_lshrrev_b16 v194, 8, v189
	v_sub_nc_u16 v190, v192, v195
	v_lshrrev_b32_e32 v192, 16, v189
	v_lshlrev_b16 v63, 8, v63
	v_lshlrev_b16 v190, 8, v190
	v_or_b32_sdwa v188, v188, v190 dst_sel:DWORD dst_unused:UNUSED_PAD src0_sel:BYTE_0 src1_sel:DWORD
	v_sub_nc_u16 v190, v191, v193
	v_lshrrev_b32_e32 v193, 24, v189
	v_or_b32_sdwa v63, v190, v63 dst_sel:WORD_1 dst_unused:UNUSED_PAD src0_sel:BYTE_0 src1_sel:DWORD
	v_or_b32_sdwa v188, v188, v63 dst_sel:DWORD dst_unused:UNUSED_PAD src0_sel:WORD_0 src1_sel:DWORD
	v_ashrrev_i32_e32 v63, s11, v64
	v_dot4c_i32_i8 v210, v188, v36
	v_and_b32_e32 v64, 0x3030303, v63
	v_bfe_u32 v63, v63, 24, 2
	v_lshrrev_b16 v191, 8, v64
	v_lshrrev_b32_e32 v190, 16, v64
	v_sub_nc_u16 v64, v64, v189
	v_sub_nc_u16 v63, v63, v193
	v_sub_nc_u16 v189, v191, v194
	v_lshlrev_b16 v63, 8, v63
	v_lshlrev_b16 v189, 8, v189
	v_or_b32_sdwa v64, v64, v189 dst_sel:DWORD dst_unused:UNUSED_PAD src0_sel:BYTE_0 src1_sel:DWORD
	v_sub_nc_u16 v189, v190, v192
	ds_read2_b32 v[191:192], v197 offset1:1
	v_or_b32_sdwa v63, v189, v63 dst_sel:WORD_1 dst_unused:UNUSED_PAD src0_sel:BYTE_0 src1_sel:DWORD
	v_or_b32_sdwa v190, v64, v63 dst_sel:DWORD dst_unused:UNUSED_PAD src0_sel:WORD_0 src1_sel:DWORD
	v_add3_u32 v63, s17, v160, v121
	v_dot4c_i32_i8 v210, v190, v37
	ds_read_b32 v189, v63
	v_add_nc_u32_e32 v63, 0x2100, v181
	s_waitcnt lgkmcnt(1)
	v_ashrrev_i32_e32 v191, s0, v191
	ds_read2_b32 v[63:64], v63 offset1:1
	v_ashrrev_i32_e32 v192, s0, v192
	v_lshlrev_b32_e32 v191, 2, v191
	v_lshlrev_b32_e32 v192, 2, v192
	v_and_b32_e32 v191, 0x4040404, v191
	v_and_b32_e32 v192, 0x4040404, v192
	v_lshrrev_b16 v199, 8, v191
	v_lshrrev_b32_e32 v196, 16, v191
	v_lshrrev_b32_e32 v198, 24, v191
	s_waitcnt lgkmcnt(0)
	v_ashrrev_i32_e32 v63, s11, v63
	v_and_b32_e32 v193, 0x3030303, v63
	v_bfe_u32 v63, v63, 24, 2
	v_lshrrev_b16 v195, 8, v193
	v_lshrrev_b32_e32 v194, 16, v193
	v_sub_nc_u16 v191, v193, v191
	v_sub_nc_u16 v63, v63, v198
	v_lshrrev_b16 v198, 8, v192
	v_sub_nc_u16 v193, v195, v199
	v_lshrrev_b32_e32 v195, 16, v192
	v_lshlrev_b16 v63, 8, v63
	v_lshlrev_b16 v193, 8, v193
	v_or_b32_sdwa v191, v191, v193 dst_sel:DWORD dst_unused:UNUSED_PAD src0_sel:BYTE_0 src1_sel:DWORD
	v_sub_nc_u16 v193, v194, v196
	v_lshrrev_b32_e32 v196, 24, v192
	v_or_b32_sdwa v63, v193, v63 dst_sel:WORD_1 dst_unused:UNUSED_PAD src0_sel:BYTE_0 src1_sel:DWORD
	v_or_b32_sdwa v191, v191, v63 dst_sel:DWORD dst_unused:UNUSED_PAD src0_sel:WORD_0 src1_sel:DWORD
	v_ashrrev_i32_e32 v63, s11, v64
	v_dot4c_i32_i8 v215, v191, v38
	v_and_b32_e32 v64, 0x3030303, v63
	v_bfe_u32 v63, v63, 24, 2
	v_lshrrev_b16 v194, 8, v64
	v_lshrrev_b32_e32 v193, 16, v64
	v_sub_nc_u16 v64, v64, v192
	v_sub_nc_u16 v63, v63, v196
	v_sub_nc_u16 v192, v194, v198
	v_lshlrev_b16 v63, 8, v63
	v_lshlrev_b16 v192, 8, v192
	v_or_b32_sdwa v64, v64, v192 dst_sel:DWORD dst_unused:UNUSED_PAD src0_sel:BYTE_0 src1_sel:DWORD
	v_sub_nc_u16 v192, v193, v195
	ds_read2_b32 v[193:194], v197 offset0:2 offset1:3
	v_or_b32_sdwa v63, v192, v63 dst_sel:WORD_1 dst_unused:UNUSED_PAD src0_sel:BYTE_0 src1_sel:DWORD
	v_or_b32_sdwa v192, v64, v63 dst_sel:DWORD dst_unused:UNUSED_PAD src0_sel:WORD_0 src1_sel:DWORD
	v_add_nc_u32_e32 v63, 0x2108, v181
	v_dot4c_i32_i8 v215, v192, v39
	ds_read2_b32 v[63:64], v63 offset1:1
	s_waitcnt lgkmcnt(1)
	v_ashrrev_i32_e32 v193, s0, v193
	v_ashrrev_i32_e32 v194, s0, v194
	v_lshlrev_b32_e32 v193, 2, v193
	v_lshlrev_b32_e32 v194, 2, v194
	v_and_b32_e32 v193, 0x4040404, v193
	v_and_b32_e32 v194, 0x4040404, v194
	s_waitcnt lgkmcnt(0)
	v_ashrrev_i32_e32 v63, s11, v63
	v_lshrrev_b16 v201, 8, v193
	v_lshrrev_b32_e32 v199, 16, v193
	v_lshrrev_b32_e32 v200, 24, v193
	v_and_b32_e32 v195, 0x3030303, v63
	v_bfe_u32 v63, v63, 24, 2
	v_lshrrev_b16 v198, 8, v195
	v_lshrrev_b32_e32 v196, 16, v195
	v_sub_nc_u16 v193, v195, v193
	v_sub_nc_u16 v63, v63, v200
	v_lshrrev_b16 v200, 8, v194
	v_sub_nc_u16 v195, v198, v201
	v_lshrrev_b32_e32 v198, 16, v194
	v_lshlrev_b16 v63, 8, v63
	v_lshlrev_b16 v195, 8, v195
	v_or_b32_sdwa v193, v193, v195 dst_sel:DWORD dst_unused:UNUSED_PAD src0_sel:BYTE_0 src1_sel:DWORD
	v_sub_nc_u16 v195, v196, v199
	v_lshrrev_b32_e32 v199, 24, v194
	v_or_b32_sdwa v63, v195, v63 dst_sel:WORD_1 dst_unused:UNUSED_PAD src0_sel:BYTE_0 src1_sel:DWORD
	v_or_b32_sdwa v193, v193, v63 dst_sel:DWORD dst_unused:UNUSED_PAD src0_sel:WORD_0 src1_sel:DWORD
	v_ashrrev_i32_e32 v63, s11, v64
	v_dot4c_i32_i8 v215, v193, v40
	v_and_b32_e32 v64, 0x3030303, v63
	v_bfe_u32 v63, v63, 24, 2
	v_lshrrev_b16 v196, 8, v64
	v_lshrrev_b32_e32 v195, 16, v64
	v_sub_nc_u16 v64, v64, v194
	v_sub_nc_u16 v63, v63, v199
	v_sub_nc_u16 v194, v196, v200
	v_lshlrev_b16 v63, 8, v63
	v_lshlrev_b16 v194, 8, v194
	v_or_b32_sdwa v64, v64, v194 dst_sel:DWORD dst_unused:UNUSED_PAD src0_sel:BYTE_0 src1_sel:DWORD
	v_sub_nc_u16 v194, v195, v198
	ds_read2_b32 v[195:196], v197 offset0:4 offset1:5
	v_or_b32_sdwa v63, v194, v63 dst_sel:WORD_1 dst_unused:UNUSED_PAD src0_sel:BYTE_0 src1_sel:DWORD
	v_or_b32_sdwa v194, v64, v63 dst_sel:DWORD dst_unused:UNUSED_PAD src0_sel:WORD_0 src1_sel:DWORD
	v_add_nc_u32_e32 v63, 0x2110, v181
	v_dot4c_i32_i8 v215, v194, v41
	ds_read2_b32 v[63:64], v63 offset1:1
	s_waitcnt lgkmcnt(1)
	v_ashrrev_i32_e32 v195, s0, v195
	v_ashrrev_i32_e32 v196, s0, v196
	v_lshlrev_b32_e32 v195, 2, v195
	v_lshlrev_b32_e32 v196, 2, v196
	v_and_b32_e32 v195, 0x4040404, v195
	v_and_b32_e32 v196, 0x4040404, v196
	s_waitcnt lgkmcnt(0)
	v_ashrrev_i32_e32 v63, s11, v63
	v_lshrrev_b16 v203, 8, v195
	v_lshrrev_b32_e32 v201, 16, v195
	v_lshrrev_b32_e32 v202, 24, v195
	;; [unrolled: 47-line block ×3, first 2 shown]
	v_and_b32_e32 v199, 0x3030303, v63
	v_bfe_u32 v63, v63, 24, 2
	v_lshrrev_b16 v201, 8, v199
	v_lshrrev_b32_e32 v200, 16, v199
	v_sub_nc_u16 v197, v199, v197
	v_sub_nc_u16 v63, v63, v203
	v_lshrrev_b16 v203, 8, v198
	v_sub_nc_u16 v199, v201, v204
	v_lshrrev_b32_e32 v201, 16, v198
	v_lshlrev_b16 v63, 8, v63
	v_lshlrev_b16 v199, 8, v199
	v_or_b32_sdwa v197, v197, v199 dst_sel:DWORD dst_unused:UNUSED_PAD src0_sel:BYTE_0 src1_sel:DWORD
	v_sub_nc_u16 v199, v200, v202
	v_lshrrev_b32_e32 v202, 24, v198
	v_or_b32_sdwa v63, v199, v63 dst_sel:WORD_1 dst_unused:UNUSED_PAD src0_sel:BYTE_0 src1_sel:DWORD
	v_or_b32_sdwa v197, v197, v63 dst_sel:DWORD dst_unused:UNUSED_PAD src0_sel:WORD_0 src1_sel:DWORD
	v_ashrrev_i32_e32 v63, s11, v64
	v_dot4c_i32_i8 v217, v197, v36
	v_and_b32_e32 v64, 0x3030303, v63
	v_bfe_u32 v63, v63, 24, 2
	v_lshrrev_b16 v200, 8, v64
	v_lshrrev_b32_e32 v199, 16, v64
	v_sub_nc_u16 v64, v64, v198
	v_sub_nc_u16 v63, v63, v202
	;; [unrolled: 1-line block ×3, first 2 shown]
	v_add3_u32 v203, s18, v163, v124
	v_lshlrev_b16 v63, 8, v63
	v_lshlrev_b16 v198, 8, v198
	ds_read2_b32 v[204:205], v203 offset1:1
	v_or_b32_sdwa v64, v64, v198 dst_sel:DWORD dst_unused:UNUSED_PAD src0_sel:BYTE_0 src1_sel:DWORD
	v_sub_nc_u16 v198, v199, v201
	v_or_b32_sdwa v63, v198, v63 dst_sel:WORD_1 dst_unused:UNUSED_PAD src0_sel:BYTE_0 src1_sel:DWORD
	v_or_b32_sdwa v199, v64, v63 dst_sel:DWORD dst_unused:UNUSED_PAD src0_sel:WORD_0 src1_sel:DWORD
	v_add3_u32 v63, s17, v162, v123
	v_dot4c_i32_i8 v217, v199, v37
	ds_read_b32 v198, v63
	v_add_nc_u32_e32 v63, 0x3180, v181
	s_waitcnt lgkmcnt(1)
	v_ashrrev_i32_e32 v204, s0, v204
	ds_read2_b32 v[63:64], v63 offset1:1
	v_lshlrev_b32_e32 v204, 2, v204
	v_and_b32_e32 v204, 0x4040404, v204
	v_lshrrev_b32_e32 v207, 24, v204
	v_lshrrev_b16 v212, 8, v204
	v_lshrrev_b32_e32 v206, 16, v204
	s_waitcnt lgkmcnt(0)
	v_ashrrev_i32_e32 v200, s11, v63
	v_and_b32_e32 v201, 0x3030303, v200
	v_bfe_u32 v200, v200, 24, 2
	v_lshrrev_b16 v202, 8, v201
	v_lshrrev_b32_e32 v63, 16, v201
	v_sub_nc_u16 v200, v200, v207
	v_sub_nc_u16 v201, v201, v204
	;; [unrolled: 1-line block ×4, first 2 shown]
	v_lshlrev_b16 v200, 8, v200
	v_lshlrev_b16 v202, 8, v202
	v_or_b32_sdwa v63, v63, v200 dst_sel:WORD_1 dst_unused:UNUSED_PAD src0_sel:BYTE_0 src1_sel:DWORD
	v_or_b32_sdwa v201, v201, v202 dst_sel:DWORD dst_unused:UNUSED_PAD src0_sel:BYTE_0 src1_sel:DWORD
	v_ashrrev_i32_e32 v202, s0, v205
	v_or_b32_sdwa v204, v201, v63 dst_sel:DWORD dst_unused:UNUSED_PAD src0_sel:WORD_0 src1_sel:DWORD
	v_ashrrev_i32_e32 v63, s11, v64
	v_lshlrev_b32_e32 v202, 2, v202
	v_and_b32_e32 v64, 0x3030303, v63
	v_and_b32_e32 v202, 0x4040404, v202
	v_bfe_u32 v63, v63, 24, 2
	v_lshrrev_b16 v201, 8, v64
	v_lshrrev_b32_e32 v206, 24, v202
	v_lshrrev_b16 v207, 8, v202
	v_lshrrev_b32_e32 v200, 16, v64
	v_lshrrev_b32_e32 v205, 16, v202
	v_sub_nc_u16 v64, v64, v202
	v_sub_nc_u16 v63, v63, v206
	;; [unrolled: 1-line block ×4, first 2 shown]
	v_lshlrev_b16 v63, 8, v63
	v_lshlrev_b16 v201, 8, v201
	v_or_b32_sdwa v63, v200, v63 dst_sel:WORD_1 dst_unused:UNUSED_PAD src0_sel:BYTE_0 src1_sel:DWORD
	v_or_b32_sdwa v64, v64, v201 dst_sel:DWORD dst_unused:UNUSED_PAD src0_sel:BYTE_0 src1_sel:DWORD
	ds_read2_b32 v[200:201], v203 offset0:2 offset1:3
	v_or_b32_sdwa v205, v64, v63 dst_sel:DWORD dst_unused:UNUSED_PAD src0_sel:WORD_0 src1_sel:DWORD
	v_add_nc_u32_e32 v63, 0x3188, v181
	ds_read2_b32 v[63:64], v63 offset1:1
	s_waitcnt lgkmcnt(1)
	v_ashrrev_i32_e32 v200, s0, v200
	v_ashrrev_i32_e32 v201, s0, v201
	v_lshlrev_b32_e32 v200, 2, v200
	v_lshlrev_b32_e32 v201, 2, v201
	s_waitcnt lgkmcnt(0)
	v_ashrrev_i32_e32 v63, s11, v63
	v_and_b32_e32 v200, 0x4040404, v200
	v_and_b32_e32 v201, 0x4040404, v201
	;; [unrolled: 1-line block ×3, first 2 shown]
	v_lshrrev_b16 v219, 8, v200
	v_bfe_u32 v63, v63, 24, 2
	v_lshrrev_b32_e32 v212, 16, v200
	v_lshrrev_b32_e32 v218, 24, v200
	v_lshrrev_b16 v207, 8, v202
	v_lshrrev_b32_e32 v206, 16, v202
	v_sub_nc_u16 v200, v202, v200
	v_sub_nc_u16 v63, v63, v218
	;; [unrolled: 1-line block ×3, first 2 shown]
	v_lshrrev_b16 v218, 8, v201
	v_lshrrev_b32_e32 v207, 16, v201
	v_lshlrev_b16 v63, 8, v63
	v_lshlrev_b16 v202, 8, v202
	v_or_b32_sdwa v200, v200, v202 dst_sel:DWORD dst_unused:UNUSED_PAD src0_sel:BYTE_0 src1_sel:DWORD
	v_sub_nc_u16 v202, v206, v212
	v_lshrrev_b32_e32 v212, 24, v201
	v_or_b32_sdwa v63, v202, v63 dst_sel:WORD_1 dst_unused:UNUSED_PAD src0_sel:BYTE_0 src1_sel:DWORD
	v_or_b32_sdwa v206, v200, v63 dst_sel:DWORD dst_unused:UNUSED_PAD src0_sel:WORD_0 src1_sel:DWORD
	v_ashrrev_i32_e32 v63, s11, v64
	v_and_b32_e32 v64, 0x3030303, v63
	v_bfe_u32 v63, v63, 24, 2
	v_lshrrev_b16 v202, 8, v64
	v_lshrrev_b32_e32 v200, 16, v64
	v_sub_nc_u16 v64, v64, v201
	v_sub_nc_u16 v63, v63, v212
	;; [unrolled: 1-line block ×4, first 2 shown]
	v_lshlrev_b16 v63, 8, v63
	v_lshlrev_b16 v201, 8, v201
	v_or_b32_sdwa v63, v200, v63 dst_sel:WORD_1 dst_unused:UNUSED_PAD src0_sel:BYTE_0 src1_sel:DWORD
	v_or_b32_sdwa v64, v64, v201 dst_sel:DWORD dst_unused:UNUSED_PAD src0_sel:BYTE_0 src1_sel:DWORD
	ds_read2_b32 v[201:202], v203 offset0:4 offset1:5
	v_or_b32_sdwa v207, v64, v63 dst_sel:DWORD dst_unused:UNUSED_PAD src0_sel:WORD_0 src1_sel:DWORD
	v_add_nc_u32_e32 v63, 0x3190, v181
	ds_read2_b32 v[63:64], v63 offset1:1
	s_waitcnt lgkmcnt(1)
	v_ashrrev_i32_e32 v201, s0, v201
	v_ashrrev_i32_e32 v202, s0, v202
	v_lshlrev_b32_e32 v201, 2, v201
	v_lshlrev_b32_e32 v202, 2, v202
	s_waitcnt lgkmcnt(0)
	v_ashrrev_i32_e32 v63, s11, v63
	v_and_b32_e32 v201, 0x4040404, v201
	v_and_b32_e32 v202, 0x4040404, v202
	;; [unrolled: 1-line block ×3, first 2 shown]
	v_lshrrev_b16 v221, 8, v201
	v_bfe_u32 v63, v63, 24, 2
	v_lshrrev_b32_e32 v219, 16, v201
	v_lshrrev_b32_e32 v220, 24, v201
	v_lshrrev_b16 v218, 8, v200
	v_lshrrev_b32_e32 v212, 16, v200
	v_sub_nc_u16 v200, v200, v201
	v_sub_nc_u16 v63, v63, v220
	;; [unrolled: 1-line block ×3, first 2 shown]
	v_lshrrev_b16 v220, 8, v202
	v_lshrrev_b32_e32 v218, 16, v202
	v_lshlrev_b16 v63, 8, v63
	v_lshlrev_b16 v201, 8, v201
	v_or_b32_sdwa v200, v200, v201 dst_sel:DWORD dst_unused:UNUSED_PAD src0_sel:BYTE_0 src1_sel:DWORD
	v_sub_nc_u16 v201, v212, v219
	v_lshrrev_b32_e32 v219, 24, v202
	v_or_b32_sdwa v63, v201, v63 dst_sel:WORD_1 dst_unused:UNUSED_PAD src0_sel:BYTE_0 src1_sel:DWORD
	v_or_b32_sdwa v201, v200, v63 dst_sel:DWORD dst_unused:UNUSED_PAD src0_sel:WORD_0 src1_sel:DWORD
	v_ashrrev_i32_e32 v63, s11, v64
	v_and_b32_e32 v64, 0x3030303, v63
	v_bfe_u32 v63, v63, 24, 2
	v_lshrrev_b16 v212, 8, v64
	v_lshrrev_b32_e32 v200, 16, v64
	v_sub_nc_u16 v64, v64, v202
	v_sub_nc_u16 v63, v63, v219
	;; [unrolled: 1-line block ×4, first 2 shown]
	v_lshlrev_b16 v63, 8, v63
	v_lshlrev_b16 v202, 8, v202
	v_or_b32_sdwa v63, v200, v63 dst_sel:WORD_1 dst_unused:UNUSED_PAD src0_sel:BYTE_0 src1_sel:DWORD
	v_or_b32_sdwa v64, v64, v202 dst_sel:DWORD dst_unused:UNUSED_PAD src0_sel:BYTE_0 src1_sel:DWORD
	ds_read2_b32 v[202:203], v203 offset0:6 offset1:7
	v_or_b32_sdwa v200, v64, v63 dst_sel:DWORD dst_unused:UNUSED_PAD src0_sel:WORD_0 src1_sel:DWORD
	v_add_nc_u32_e32 v63, 0x3198, v181
	ds_read2_b32 v[63:64], v63 offset1:1
	s_waitcnt lgkmcnt(1)
	v_ashrrev_i32_e32 v202, s0, v202
	v_ashrrev_i32_e32 v203, s0, v203
	v_lshlrev_b32_e32 v202, 2, v202
	v_lshlrev_b32_e32 v203, 2, v203
	s_waitcnt lgkmcnt(0)
	v_ashrrev_i32_e32 v63, s11, v63
	v_and_b32_e32 v202, 0x4040404, v202
	v_and_b32_e32 v203, 0x4040404, v203
	;; [unrolled: 1-line block ×3, first 2 shown]
	v_bfe_u32 v63, v63, 24, 2
	v_lshrrev_b16 v221, 8, v202
	v_lshrrev_b32_e32 v219, 16, v202
	v_lshrrev_b32_e32 v220, 24, v202
	v_lshrrev_b16 v218, 8, v181
	v_lshrrev_b32_e32 v212, 16, v181
	v_sub_nc_u16 v181, v181, v202
	v_sub_nc_u16 v63, v63, v220
	;; [unrolled: 1-line block ×3, first 2 shown]
	v_lshrrev_b32_e32 v218, 16, v203
	v_lshrrev_b16 v220, 8, v203
	v_mov_b32_e32 v221, 0
	v_lshlrev_b16 v63, 8, v63
	v_lshlrev_b16 v202, 8, v202
	v_or_b32_sdwa v181, v181, v202 dst_sel:DWORD dst_unused:UNUSED_PAD src0_sel:BYTE_0 src1_sel:DWORD
	v_sub_nc_u16 v202, v212, v219
	v_lshrrev_b32_e32 v219, 24, v203
	v_or_b32_sdwa v63, v202, v63 dst_sel:WORD_1 dst_unused:UNUSED_PAD src0_sel:BYTE_0 src1_sel:DWORD
	v_or_b32_sdwa v202, v181, v63 dst_sel:DWORD dst_unused:UNUSED_PAD src0_sel:WORD_0 src1_sel:DWORD
	v_ashrrev_i32_e32 v63, s11, v64
	v_and_b32_e32 v64, 0x3030303, v63
	v_bfe_u32 v63, v63, 24, 2
	v_lshrrev_b32_e32 v181, 16, v64
	v_lshrrev_b16 v212, 8, v64
	v_sub_nc_u16 v64, v64, v203
	v_sub_nc_u16 v63, v63, v219
	v_add_nc_u32_e32 v219, s16, v136
	v_sub_nc_u16 v181, v181, v218
	v_sub_nc_u16 v203, v212, v220
	v_mov_b32_e32 v218, 0
	v_mov_b32_e32 v220, 0
	v_lshlrev_b16 v63, 8, v63
	s_mov_b32 s16, s11
	v_lshlrev_b16 v203, 8, v203
	v_dot4c_i32_i8 v218, v204, v38
	v_dot4c_i32_i8 v220, v201, v34
	v_or_b32_sdwa v63, v181, v63 dst_sel:WORD_1 dst_unused:UNUSED_PAD src0_sel:BYTE_0 src1_sel:DWORD
	v_or_b32_sdwa v64, v64, v203 dst_sel:DWORD dst_unused:UNUSED_PAD src0_sel:BYTE_0 src1_sel:DWORD
	v_dot4c_i32_i8 v218, v205, v39
	v_dot4c_i32_i8 v220, v200, v35
	v_or_b32_sdwa v203, v64, v63 dst_sel:DWORD dst_unused:UNUSED_PAD src0_sel:WORD_0 src1_sel:DWORD
	v_add3_u32 v63, s17, v164, v125
	v_dot4c_i32_i8 v218, v206, v40
	v_dot4c_i32_i8 v220, v202, v36
	ds_read_b32 v181, v63
	v_dot4c_i32_i8 v218, v207, v41
	v_dot4c_i32_i8 v220, v203, v37
	ds_read_b128 v[34:37], v170 offset:1024
	ds_read_b128 v[38:41], v170 offset:1040
	s_waitcnt lgkmcnt(1)
	v_dot4c_i32_i8 v233, v172, v34
	s_waitcnt lgkmcnt(0)
	v_dot4c_i32_i8 v238, v176, v38
	v_dot4c_i32_i8 v228, v182, v34
	;; [unrolled: 1-line block ×31, first 2 shown]
	ds_read2_b32 v[63:64], v171 offset0:64 offset1:96
	ds_read_b128 v[34:37], v170 offset:2048
	ds_read_b128 v[38:41], v170 offset:2064
	s_waitcnt lgkmcnt(1)
	v_dot4c_i32_i8 v236, v172, v34
	s_waitcnt lgkmcnt(0)
	v_dot4c_i32_i8 v235, v176, v38
	v_dot4c_i32_i8 v231, v182, v34
	;; [unrolled: 1-line block ×31, first 2 shown]
	ds_read_b128 v[38:41], v170 offset:3072
	ds_read_b128 v[34:37], v170 offset:3088
	ds_read_u16 v212, v211 offset:2
	ds_read_u16 v209, v209 offset:2
	s_waitcnt lgkmcnt(3)
	v_dot4c_i32_i8 v234, v172, v38
	s_waitcnt lgkmcnt(2)
	v_dot4c_i32_i8 v237, v176, v34
	s_waitcnt lgkmcnt(1)
	v_lshrrev_b16 v211, 8, v212
	v_bfe_i32 v212, v212, 0, 8
	v_dot4c_i32_i8 v234, v173, v39
	v_dot4c_i32_i8 v237, v177, v35
	v_bfe_i32 v211, v211, 0, 8
	v_mul_lo_u32 v233, v233, v212
	v_dot4c_i32_i8 v234, v174, v40
	v_dot4c_i32_i8 v237, v178, v36
	v_mul_lo_u32 v235, v235, v211
	v_mul_lo_u32 v214, v214, v211
	v_dot4c_i32_i8 v234, v175, v41
	v_dot4c_i32_i8 v237, v180, v37
	v_mul_lo_u32 v234, v234, v212
	v_mad_u64_u32 v[235:236], null, v236, v212, v[235:236]
	v_mad_u64_u32 v[213:214], null, v213, v212, v[214:215]
	v_mul_f32_e32 v214, v179, v62
	v_mad_u64_u32 v[236:237], null, v237, v211, v[234:235]
                                        ; kill: def $vgpr234 killed $sgpr0 killed $exec
	v_cvt_f32_i32_e32 v213, v213
	v_mad_u64_u32 v[233:234], null, v238, v211, v[233:234]
	v_mul_f32_e32 v234, v179, v61
	v_mul_f32_e32 v238, v179, v63
	;; [unrolled: 1-line block ×3, first 2 shown]
	v_cvt_f32_i32_e32 v236, v236
	v_cvt_f32_i32_e32 v235, v235
	v_fma_f32 v3, v234, v213, v3
	v_cvt_f32_i32_e32 v233, v233
	v_mov_b32_e32 v234, 0
	s_waitcnt lgkmcnt(0)
	v_lshrrev_b16 v213, 8, v209
	v_fma_f32 v5, v238, v235, v5
	v_fma_f32 v4, v237, v236, v4
	v_fmac_f32_e32 v2, v214, v233
	v_mov_b32_e32 v233, 0
	v_dot4c_i32_i8 v234, v186, v34
	v_bfe_i32 v213, v213, 0, 8
	v_bfe_i32 v214, v209, 0, 8
	v_mov_b32_e32 v235, 0
	v_dot4c_i32_i8 v233, v182, v38
	v_dot4c_i32_i8 v234, v187, v35
	v_mul_lo_u32 v232, v232, v213
	v_mul_lo_u32 v209, v228, v214
	;; [unrolled: 1-line block ×3, first 2 shown]
	v_dot4c_i32_i8 v233, v183, v39
	v_dot4c_i32_i8 v234, v188, v36
	v_mov_b32_e32 v236, 0
	v_mov_b32_e32 v237, 0
	;; [unrolled: 1-line block ×3, first 2 shown]
	v_dot4c_i32_i8 v233, v184, v40
	v_dot4c_i32_i8 v234, v190, v37
	;; [unrolled: 1-line block ×3, first 2 shown]
	v_mul_lo_u32 v228, v233, v214
                                        ; kill: def $vgpr233 killed $sgpr0 killed $exec
	v_mad_u64_u32 v[231:232], null, v231, v214, v[232:233]
	v_mad_u64_u32 v[232:233], null, v234, v213, v[228:229]
	;; [unrolled: 1-line block ×4, first 2 shown]
	v_mul_f32_e32 v209, v189, v62
	v_mul_f32_e32 v227, v189, v64
	v_cvt_f32_i32_e32 v232, v232
	v_mul_f32_e32 v228, v189, v63
	v_cvt_f32_i32_e32 v231, v231
	;; [unrolled: 2-line block ×3, first 2 shown]
	v_fma_f32 v32, v227, v232, v32
	v_mov_b32_e32 v227, 0
	v_fma_f32 v33, v228, v231, v33
	v_mov_b32_e32 v228, 0
	v_fmac_f32_e32 v30, v209, v208
	ds_read_u16 v208, v216 offset:2
	v_dot4c_i32_i8 v227, v191, v38
	v_cvt_f32_i32_e32 v233, v233
	v_dot4c_i32_i8 v228, v195, v34
	v_mov_b32_e32 v231, 0
	v_mov_b32_e32 v232, 0
	v_dot4c_i32_i8 v227, v192, v39
	v_fma_f32 v31, v210, v233, v31
	v_dot4c_i32_i8 v228, v196, v35
	v_mov_b32_e32 v233, 0
	v_mov_b32_e32 v234, 0
	v_dot4c_i32_i8 v227, v193, v40
	v_dot4c_i32_i8 v228, v197, v36
	;; [unrolled: 1-line block ×4, first 2 shown]
	s_waitcnt lgkmcnt(0)
	v_lshrrev_b16 v209, 8, v208
	v_bfe_i32 v216, v208, 0, 8
	v_bfe_i32 v210, v209, 0, 8
	v_mul_lo_u32 v208, v226, v216
	v_mul_lo_u32 v226, v230, v210
	;; [unrolled: 1-line block ×4, first 2 shown]
                                        ; kill: def $vgpr227 killed $sgpr0 killed $exec
	v_mad_u64_u32 v[226:227], null, v229, v216, v[226:227]
	v_mad_u64_u32 v[227:228], null, v228, v210, v[217:218]
	;; [unrolled: 1-line block ×3, first 2 shown]
	v_mul_f32_e32 v215, v198, v61
                                        ; kill: def $vgpr209 killed $sgpr0 killed $exec
	v_mul_f32_e32 v217, v198, v64
	v_mad_u64_u32 v[208:209], null, v225, v210, v[208:209]
	v_mul_f32_e32 v209, v198, v62
	v_mul_f32_e32 v225, v198, v63
	v_cvt_f32_i32_e32 v228, v228
	v_cvt_f32_i32_e32 v227, v227
	;; [unrolled: 1-line block ×4, first 2 shown]
	v_fma_f32 v27, v215, v228, v27
	v_mov_b32_e32 v215, 0
	v_fma_f32 v28, v217, v227, v28
	v_fma_f32 v29, v225, v226, v29
	v_fmac_f32_e32 v26, v209, v208
	v_mov_b32_e32 v225, 0
	v_dot4c_i32_i8 v215, v204, v38
                                        ; kill: def $vgpr38 killed $sgpr0 killed $exec
	v_mov_b32_e32 v226, 0
	v_mov_b32_e32 v217, 0
	v_dot4c_i32_i8 v215, v205, v39
	v_mov_b32_e32 v39, 0
	v_dot4c_i32_i8 v215, v206, v40
	v_dot4c_i32_i8 v39, v201, v34
	ds_read_u16 v34, v219 offset:2
	v_mov_b32_e32 v219, 0
	v_dot4c_i32_i8 v215, v207, v41
	v_dot4c_i32_i8 v39, v200, v35
	v_mul_f32_e32 v41, v181, v63
	v_mov_b32_e32 v63, 0
	v_dot4c_i32_i8 v39, v202, v36
	v_dot4c_i32_i8 v39, v203, v37
	s_waitcnt lgkmcnt(0)
	v_lshrrev_b16 v35, 8, v34
	v_bfe_i32 v209, v34, 0, 8
	v_bfe_i32 v208, v35, 0, 8
	v_mul_lo_u32 v36, v215, v209
	v_mul_lo_u32 v34, v222, v209
	v_mov_b32_e32 v215, 0
	v_mov_b32_e32 v222, 0
	v_mul_lo_u32 v37, v224, v208
	v_mul_lo_u32 v35, v220, v208
	v_mov_b32_e32 v220, 0
	v_mov_b32_e32 v224, 0
	v_mad_u64_u32 v[37:38], null, v223, v209, v[37:38]
	v_mov_b32_e32 v223, 0
	v_mad_u64_u32 v[38:39], null, v39, v208, v[36:37]
                                        ; kill: def $vgpr36 killed $sgpr0 killed $exec
	v_cvt_f32_i32_e32 v37, v37
	v_mad_u64_u32 v[35:36], null, v218, v209, v[35:36]
	v_mul_f32_e32 v36, v181, v61
	v_mov_b32_e32 v218, 0
	v_fma_f32 v25, v41, v37, v25
	v_cvt_f32_i32_e32 v38, v38
	v_mad_u64_u32 v[39:40], null, v221, v208, v[34:35]
	v_mul_f32_e32 v34, v181, v62
	v_mul_f32_e32 v40, v181, v64
	v_cvt_f32_i32_e32 v35, v35
	v_mov_b32_e32 v221, 0
	v_mov_b32_e32 v64, 0
	v_cvt_f32_i32_e32 v39, v39
	v_fma_f32 v24, v40, v38, v24
	v_fma_f32 v23, v36, v35, v23
	v_fmac_f32_e32 v22, v34, v39
	ds_read2_b32 v[61:62], v171 offset0:128 offset1:160
	ds_read_b128 v[38:41], v170 offset:4096
	ds_read_b128 v[34:37], v170 offset:4112
	s_waitcnt lgkmcnt(1)
	v_dot4c_i32_i8 v215, v172, v38
	v_dot4c_i32_i8 v219, v182, v38
	;; [unrolled: 1-line block ×4, first 2 shown]
	s_waitcnt lgkmcnt(0)
	v_dot4c_i32_i8 v223, v176, v34
	v_dot4c_i32_i8 v215, v173, v39
	;; [unrolled: 1-line block ×10, first 2 shown]
	v_mov_b32_e32 v40, 0
	v_dot4c_i32_i8 v221, v195, v34
	v_dot4c_i32_i8 v223, v177, v35
	;; [unrolled: 1-line block ×17, first 2 shown]
	v_mov_b32_e32 v41, 0
	v_dot4c_i32_i8 v40, v203, v37
	ds_read_b128 v[34:37], v170 offset:5120
	ds_read_b128 v[227:230], v170 offset:5136
	s_waitcnt lgkmcnt(1)
	v_dot4c_i32_i8 v231, v172, v34
	s_waitcnt lgkmcnt(0)
	v_dot4c_i32_i8 v232, v176, v227
	v_dot4c_i32_i8 v225, v182, v34
	;; [unrolled: 1-line block ×31, first 2 shown]
	ds_read2_b32 v[38:39], v171 offset0:192 offset1:224
	ds_read_b128 v[34:37], v170 offset:6144
	ds_read_b128 v[227:230], v170 offset:6160
	v_add_nc_u32_e32 v171, 4, v171
	v_mul_lo_u32 v41, v41, v209
	s_waitcnt lgkmcnt(1)
	v_dot4c_i32_i8 v234, v172, v34
	s_waitcnt lgkmcnt(0)
	v_dot4c_i32_i8 v235, v176, v227
	v_dot4c_i32_i8 v236, v182, v34
	;; [unrolled: 1-line block ×31, first 2 shown]
	ds_read_b128 v[227:230], v170 offset:7168
	ds_read_b128 v[34:37], v170 offset:7184
	v_add_nc_u32_e32 v170, 32, v170
	s_waitcnt lgkmcnt(1)
	v_dot4c_i32_i8 v240, v172, v227
	s_waitcnt lgkmcnt(0)
	v_dot4c_i32_i8 v241, v176, v34
                                        ; kill: def $vgpr176 killed $sgpr0 killed $exec
	v_mul_lo_u32 v172, v231, v212
	v_dot4c_i32_i8 v240, v173, v228
	v_dot4c_i32_i8 v241, v177, v35
	v_mul_lo_u32 v173, v223, v211
	v_dot4c_i32_i8 v240, v174, v229
	v_dot4c_i32_i8 v241, v178, v36
	;; [unrolled: 1-line block ×3, first 2 shown]
	v_mul_lo_u32 v175, v235, v211
	v_dot4c_i32_i8 v241, v180, v37
	v_mul_lo_u32 v174, v240, v212
	v_mad_u64_u32 v[175:176], null, v234, v212, v[175:176]
	v_mad_u64_u32 v[176:177], null, v241, v211, v[174:175]
                                        ; kill: def $vgpr174 killed $sgpr0 killed $exec
	v_cvt_f32_i32_e32 v175, v175
	v_mad_u64_u32 v[173:174], null, v215, v212, v[173:174]
	v_mul_f32_e32 v174, v179, v61
	v_cvt_f32_i32_e32 v176, v176
	v_mad_u64_u32 v[177:178], null, v232, v211, v[172:173]
	v_cvt_f32_i32_e32 v173, v173
	v_mul_f32_e32 v172, v179, v62
	v_mul_f32_e32 v178, v179, v39
	;; [unrolled: 1-line block ×3, first 2 shown]
	v_fma_f32 v19, v174, v173, v19
	v_mov_b32_e32 v174, 0
	v_cvt_f32_i32_e32 v177, v177
	v_fma_f32 v21, v179, v175, v21
	v_mul_lo_u32 v175, v237, v213
	v_fma_f32 v20, v178, v176, v20
	v_dot4c_i32_i8 v174, v182, v227
	v_fmac_f32_e32 v18, v172, v177
	v_mov_b32_e32 v177, 0
                                        ; kill: def $vgpr176 killed $sgpr0 killed $exec
	v_mul_lo_u32 v173, v222, v213
	v_mul_lo_u32 v172, v225, v214
	v_dot4c_i32_i8 v174, v183, v228
	v_mad_u64_u32 v[175:176], null, v236, v214, v[175:176]
	v_dot4c_i32_i8 v177, v186, v34
	v_mul_f32_e32 v179, v189, v38
	v_dot4c_i32_i8 v174, v184, v229
	v_dot4c_i32_i8 v177, v187, v35
	;; [unrolled: 1-line block ×4, first 2 shown]
	v_mul_lo_u32 v174, v174, v214
	v_dot4c_i32_i8 v177, v190, v37
	v_mad_u64_u32 v[176:177], null, v177, v213, v[174:175]
                                        ; kill: def $vgpr174 killed $sgpr0 killed $exec
	v_cvt_f32_i32_e32 v175, v175
	v_mad_u64_u32 v[173:174], null, v219, v214, v[173:174]
	v_mul_f32_e32 v174, v189, v61
	v_fma_f32 v17, v179, v175, v17
	v_mul_lo_u32 v175, v239, v210
	v_cvt_f32_i32_e32 v176, v176
	v_mul_f32_e32 v179, v198, v38
	v_mad_u64_u32 v[177:178], null, v233, v213, v[172:173]
	v_cvt_f32_i32_e32 v173, v173
	v_mul_f32_e32 v172, v189, v62
	v_mul_f32_e32 v178, v189, v39
	v_fma_f32 v15, v174, v173, v15
	v_mov_b32_e32 v174, 0
	v_cvt_f32_i32_e32 v177, v177
	v_fma_f32 v16, v178, v176, v16
                                        ; kill: def $vgpr176 killed $sgpr0 killed $exec
	v_mul_lo_u32 v173, v221, v210
	v_mad_u64_u32 v[175:176], null, v238, v216, v[175:176]
	v_dot4c_i32_i8 v174, v191, v227
	v_fmac_f32_e32 v14, v172, v177
	v_mov_b32_e32 v177, 0
	v_mul_lo_u32 v172, v226, v216
	v_dot4c_i32_i8 v174, v192, v228
	v_dot4c_i32_i8 v177, v195, v34
	;; [unrolled: 1-line block ×6, first 2 shown]
	v_mul_lo_u32 v174, v174, v216
	v_dot4c_i32_i8 v177, v199, v37
	v_mad_u64_u32 v[176:177], null, v177, v210, v[174:175]
                                        ; kill: def $vgpr174 killed $sgpr0 killed $exec
	v_cvt_f32_i32_e32 v175, v175
	v_mad_u64_u32 v[173:174], null, v220, v216, v[173:174]
	v_mul_f32_e32 v174, v198, v61
	v_fma_f32 v13, v179, v175, v13
	v_cvt_f32_i32_e32 v176, v176
	v_mad_u64_u32 v[177:178], null, v224, v210, v[172:173]
	v_mul_f32_e32 v172, v198, v62
	v_cvt_f32_i32_e32 v173, v173
	v_mul_f32_e32 v178, v198, v39
	v_mul_f32_e32 v39, v181, v39
	v_cvt_f32_i32_e32 v177, v177
	v_fma_f32 v11, v174, v173, v11
	v_mov_b32_e32 v173, 0
	v_fma_f32 v12, v178, v176, v12
	v_fmac_f32_e32 v10, v172, v177
	v_mov_b32_e32 v172, 0
	v_dot4c_i32_i8 v173, v201, v34
	v_mul_lo_u32 v34, v218, v208
	v_dot4c_i32_i8 v172, v204, v227
	v_dot4c_i32_i8 v173, v200, v35
                                        ; kill: def $vgpr35 killed $sgpr0 killed $exec
	s_add_i32 s0, s0, 1
	s_cmp_lt_u32 s11, 6
	v_dot4c_i32_i8 v172, v205, v228
	v_dot4c_i32_i8 v173, v202, v36
	v_mad_u64_u32 v[34:35], null, v217, v209, v[34:35]
	v_dot4c_i32_i8 v172, v206, v229
	v_dot4c_i32_i8 v173, v203, v37
	v_mul_lo_u32 v37, v40, v208
	v_mad_u64_u32 v[40:41], null, v64, v208, v[41:42]
	v_dot4c_i32_i8 v172, v207, v230
	v_mul_f32_e32 v41, v181, v61
	v_cvt_f32_i32_e32 v34, v34
	v_mul_lo_u32 v36, v172, v209
	v_cvt_f32_i32_e32 v40, v40
	v_mad_u64_u32 v[35:36], null, v173, v208, v[36:37]
	v_mad_u64_u32 v[36:37], null, v63, v209, v[37:38]
	v_mul_f32_e32 v37, v181, v62
	v_mul_f32_e32 v38, v181, v38
	v_cvt_f32_i32_e32 v35, v35
	v_fmac_f32_e32 v6, v37, v40
	v_cvt_f32_i32_e32 v36, v36
	v_fma_f32 v9, v38, v34, v9
	v_fma_f32 v8, v39, v35, v8
	;; [unrolled: 1-line block ×3, first 2 shown]
	s_cbranch_scc1 .LBB130_7
; %bb.8:                                ;   in Loop: Header=BB130_6 Depth=1
	v_add_nc_u32_e32 v170, s9, v126
	v_add_nc_u32_e32 v63, 4, v168
	s_barrier
	buffer_gl0_inv
	v_add_nc_u32_e32 v34, v170, v109
	v_add_nc_u32_e32 v36, v170, v111
	;; [unrolled: 1-line block ×5, first 2 shown]
	v_mad_u64_u32 v[63:64], null, v63, 36, s[2:3]
	v_mad_i64_i32 v[34:35], null, v34, 36, v[59:60]
	v_add_nc_u32_e32 v171, v170, v115
	v_mad_i64_i32 v[36:37], null, v36, 36, v[59:60]
	v_add_nc_u32_e32 v172, v170, v116
	;; [unrolled: 2-line block ×3, first 2 shown]
	v_mad_i64_i32 v[40:41], null, v40, 36, v[59:60]
	v_mad_i64_i32 v[61:62], null, v61, 36, v[59:60]
	;; [unrolled: 1-line block ×5, first 2 shown]
	s_clause 0x8
	global_load_dword v63, v[63:64], off
	global_load_dword v34, v[34:35], off offset:4
	global_load_dword v35, v[36:37], off offset:4
	;; [unrolled: 1-line block ×8, first 2 shown]
	v_mov_b32_e32 v170, v138
	v_mov_b32_e32 v171, v137
	s_mov_b32 s0, 4
	s_mov_b32 s1, 8
	;; [unrolled: 1-line block ×3, first 2 shown]
	s_waitcnt vmcnt(8)
	v_cvt_f32_f16_e32 v61, v63
	s_waitcnt vmcnt(7)
	ds_write_b32 v169, v34
	s_waitcnt vmcnt(6)
	ds_write_b32 v152, v35
	;; [unrolled: 2-line block ×8, first 2 shown]
	ds_write_b32 v108, v61
	s_waitcnt lgkmcnt(0)
	s_barrier
	buffer_gl0_inv
.LBB130_9:                              ;   Parent Loop BB130_6 Depth=1
                                        ; =>  This Inner Loop Header: Depth=2
	s_add_i32 s11, s17, 2
	ds_read2_b32 v[61:62], v171 offset1:32
	ds_read_b128 v[38:41], v170
	ds_read_b128 v[34:37], v170 offset:16
	s_lshr_b32 s20, s11, 4
	s_and_b32 s19, s11, 0x3ffffff8
	s_add_i32 s16, s17, -6
	v_lshl_add_u32 v199, s19, 2, v118
	s_lshl_b32 s19, s20, 5
	s_and_b32 s18, s1, -16
	s_addk_i32 s19, 0x4200
	s_add_i32 s17, s17, s18
	v_add3_u32 v178, s19, v165, v119
	ds_read2_b32 v[63:64], v199 offset1:1
	s_lshl_b32 s18, s20, 2
	v_add3_u32 v186, s19, v159, v120
	s_add_i32 s18, s18, 0x9380
	ds_read2_b32 v[172:173], v178 offset1:1
	v_add3_u32 v196, s19, v161, v122
	v_mov_b32_e32 v208, 0
	v_mov_b32_e32 v211, 0
	;; [unrolled: 1-line block ×14, first 2 shown]
	s_waitcnt lgkmcnt(1)
	v_ashrrev_i32_e32 v63, s16, v63
	v_mov_b32_e32 v235, 0
	v_mov_b32_e32 v231, 0
	;; [unrolled: 1-line block ×3, first 2 shown]
	s_waitcnt lgkmcnt(0)
	v_ashrrev_i32_e32 v172, s0, v172
	v_and_b32_e32 v174, 0x3030303, v63
	v_bfe_u32 v63, v63, 24, 2
	v_ashrrev_i32_e32 v173, s0, v173
	v_mov_b32_e32 v229, 0
	v_lshlrev_b32_e32 v172, 2, v172
	v_lshrrev_b16 v176, 8, v174
	v_lshrrev_b32_e32 v175, 16, v174
	v_lshlrev_b32_e32 v173, 2, v173
	v_mov_b32_e32 v230, 0
	v_and_b32_e32 v172, 0x4040404, v172
	v_mov_b32_e32 v223, 0
	v_mov_b32_e32 v224, 0
	v_and_b32_e32 v173, 0x4040404, v173
	v_add_nc_u32_e32 v210, s17, v129
	v_lshrrev_b16 v180, 8, v172
	v_lshrrev_b32_e32 v177, 16, v172
	v_lshrrev_b32_e32 v179, 24, v172
	v_sub_nc_u16 v172, v174, v172
	v_mov_b32_e32 v234, 0
	v_sub_nc_u16 v174, v176, v180
	v_lshrrev_b32_e32 v176, 16, v173
	v_sub_nc_u16 v63, v63, v179
	v_lshrrev_b16 v179, 8, v173
	v_mov_b32_e32 v237, 0
	v_lshlrev_b16 v174, 8, v174
	v_add_nc_u32_e32 v212, s17, v130
	v_lshlrev_b16 v63, 8, v63
	v_add_nc_u32_e32 v215, s17, v131
	v_mov_b32_e32 v240, 0
	v_or_b32_sdwa v172, v172, v174 dst_sel:DWORD dst_unused:UNUSED_PAD src0_sel:BYTE_0 src1_sel:DWORD
	v_sub_nc_u16 v174, v175, v177
	v_lshrrev_b32_e32 v177, 24, v173
	v_mov_b32_e32 v241, 0
	s_add_i32 s1, s1, 2
	v_or_b32_sdwa v63, v174, v63 dst_sel:WORD_1 dst_unused:UNUSED_PAD src0_sel:BYTE_0 src1_sel:DWORD
	v_or_b32_sdwa v172, v172, v63 dst_sel:DWORD dst_unused:UNUSED_PAD src0_sel:WORD_0 src1_sel:DWORD
	v_ashrrev_i32_e32 v63, s16, v64
	v_dot4c_i32_i8 v208, v172, v38
	v_and_b32_e32 v64, 0x3030303, v63
	v_bfe_u32 v63, v63, 24, 2
	v_lshrrev_b16 v175, 8, v64
	v_lshrrev_b32_e32 v174, 16, v64
	v_sub_nc_u16 v64, v64, v173
	v_sub_nc_u16 v63, v63, v177
	v_sub_nc_u16 v173, v175, v179
	v_lshlrev_b16 v63, 8, v63
	v_lshlrev_b16 v173, 8, v173
	v_or_b32_sdwa v64, v64, v173 dst_sel:DWORD dst_unused:UNUSED_PAD src0_sel:BYTE_0 src1_sel:DWORD
	v_sub_nc_u16 v173, v174, v176
	ds_read2_b32 v[174:175], v178 offset0:2 offset1:3
	v_or_b32_sdwa v63, v173, v63 dst_sel:WORD_1 dst_unused:UNUSED_PAD src0_sel:BYTE_0 src1_sel:DWORD
	v_or_b32_sdwa v173, v64, v63 dst_sel:DWORD dst_unused:UNUSED_PAD src0_sel:WORD_0 src1_sel:DWORD
	ds_read2_b32 v[63:64], v199 offset0:2 offset1:3
	v_dot4c_i32_i8 v208, v173, v39
	s_waitcnt lgkmcnt(1)
	v_ashrrev_i32_e32 v174, s0, v174
	v_ashrrev_i32_e32 v175, s0, v175
	v_lshlrev_b32_e32 v174, 2, v174
	v_lshlrev_b32_e32 v175, 2, v175
	s_waitcnt lgkmcnt(0)
	v_ashrrev_i32_e32 v63, s16, v63
	v_and_b32_e32 v174, 0x4040404, v174
	v_and_b32_e32 v175, 0x4040404, v175
	v_and_b32_e32 v176, 0x3030303, v63
	v_bfe_u32 v63, v63, 24, 2
	v_lshrrev_b16 v182, 8, v174
	v_lshrrev_b32_e32 v180, 16, v174
	v_lshrrev_b32_e32 v181, 24, v174
	v_lshrrev_b16 v179, 8, v176
	v_lshrrev_b32_e32 v177, 16, v176
	v_sub_nc_u16 v174, v176, v174
	v_sub_nc_u16 v63, v63, v181
	v_sub_nc_u16 v176, v179, v182
	v_lshrrev_b16 v181, 8, v175
	v_lshrrev_b32_e32 v179, 16, v175
	v_lshlrev_b16 v63, 8, v63
	v_lshlrev_b16 v176, 8, v176
	v_or_b32_sdwa v174, v174, v176 dst_sel:DWORD dst_unused:UNUSED_PAD src0_sel:BYTE_0 src1_sel:DWORD
	v_sub_nc_u16 v176, v177, v180
	v_lshrrev_b32_e32 v180, 24, v175
	v_or_b32_sdwa v63, v176, v63 dst_sel:WORD_1 dst_unused:UNUSED_PAD src0_sel:BYTE_0 src1_sel:DWORD
	v_or_b32_sdwa v174, v174, v63 dst_sel:DWORD dst_unused:UNUSED_PAD src0_sel:WORD_0 src1_sel:DWORD
	v_ashrrev_i32_e32 v63, s16, v64
	v_dot4c_i32_i8 v208, v174, v40
	v_and_b32_e32 v64, 0x3030303, v63
	v_bfe_u32 v63, v63, 24, 2
	v_lshrrev_b16 v177, 8, v64
	v_lshrrev_b32_e32 v176, 16, v64
	v_sub_nc_u16 v64, v64, v175
	v_sub_nc_u16 v63, v63, v180
	v_sub_nc_u16 v175, v177, v181
	v_lshlrev_b16 v63, 8, v63
	v_lshlrev_b16 v175, 8, v175
	v_or_b32_sdwa v64, v64, v175 dst_sel:DWORD dst_unused:UNUSED_PAD src0_sel:BYTE_0 src1_sel:DWORD
	v_sub_nc_u16 v175, v176, v179
	ds_read2_b32 v[176:177], v178 offset0:4 offset1:5
	v_or_b32_sdwa v63, v175, v63 dst_sel:WORD_1 dst_unused:UNUSED_PAD src0_sel:BYTE_0 src1_sel:DWORD
	v_or_b32_sdwa v175, v64, v63 dst_sel:DWORD dst_unused:UNUSED_PAD src0_sel:WORD_0 src1_sel:DWORD
	ds_read2_b32 v[63:64], v199 offset0:4 offset1:5
	v_dot4c_i32_i8 v208, v175, v41
	s_waitcnt lgkmcnt(1)
	v_ashrrev_i32_e32 v176, s0, v176
	v_ashrrev_i32_e32 v177, s0, v177
	v_lshlrev_b32_e32 v176, 2, v176
	v_lshlrev_b32_e32 v177, 2, v177
	s_waitcnt lgkmcnt(0)
	v_ashrrev_i32_e32 v63, s16, v63
	v_and_b32_e32 v176, 0x4040404, v176
	v_and_b32_e32 v177, 0x4040404, v177
	v_and_b32_e32 v179, 0x3030303, v63
	v_bfe_u32 v63, v63, 24, 2
	v_lshrrev_b16 v184, 8, v176
	v_lshrrev_b32_e32 v182, 16, v176
	v_lshrrev_b32_e32 v183, 24, v176
	v_lshrrev_b16 v181, 8, v179
	v_lshrrev_b32_e32 v180, 16, v179
	v_sub_nc_u16 v176, v179, v176
	v_sub_nc_u16 v63, v63, v183
	v_sub_nc_u16 v179, v181, v184
	v_lshrrev_b16 v183, 8, v177
	v_lshrrev_b32_e32 v181, 16, v177
	v_lshlrev_b16 v63, 8, v63
	v_lshlrev_b16 v179, 8, v179
	v_or_b32_sdwa v176, v176, v179 dst_sel:DWORD dst_unused:UNUSED_PAD src0_sel:BYTE_0 src1_sel:DWORD
	v_sub_nc_u16 v179, v180, v182
	v_lshrrev_b32_e32 v182, 24, v177
	;; [unrolled: 46-line block ×3, first 2 shown]
	v_or_b32_sdwa v63, v180, v63 dst_sel:WORD_1 dst_unused:UNUSED_PAD src0_sel:BYTE_0 src1_sel:DWORD
	v_or_b32_sdwa v178, v178, v63 dst_sel:DWORD dst_unused:UNUSED_PAD src0_sel:WORD_0 src1_sel:DWORD
	v_ashrrev_i32_e32 v63, s16, v64
	v_dot4c_i32_i8 v211, v178, v36
	v_and_b32_e32 v64, 0x3030303, v63
	v_bfe_u32 v63, v63, 24, 2
	v_lshrrev_b16 v181, 8, v64
	v_lshrrev_b32_e32 v180, 16, v64
	v_sub_nc_u16 v64, v64, v179
	v_sub_nc_u16 v63, v63, v183
	;; [unrolled: 1-line block ×3, first 2 shown]
	v_lshlrev_b16 v63, 8, v63
	v_lshlrev_b16 v179, 8, v179
	v_or_b32_sdwa v64, v64, v179 dst_sel:DWORD dst_unused:UNUSED_PAD src0_sel:BYTE_0 src1_sel:DWORD
	v_sub_nc_u16 v179, v180, v182
	ds_read2_b32 v[181:182], v186 offset1:1
	v_or_b32_sdwa v63, v179, v63 dst_sel:WORD_1 dst_unused:UNUSED_PAD src0_sel:BYTE_0 src1_sel:DWORD
	v_or_b32_sdwa v180, v64, v63 dst_sel:DWORD dst_unused:UNUSED_PAD src0_sel:WORD_0 src1_sel:DWORD
	v_add3_u32 v63, s18, v166, v167
	v_dot4c_i32_i8 v211, v180, v37
	ds_read_b32 v179, v63
	v_add_nc_u32_e32 v63, 0x1080, v199
	s_waitcnt lgkmcnt(1)
	v_ashrrev_i32_e32 v181, s0, v181
	ds_read2_b32 v[63:64], v63 offset1:1
	v_ashrrev_i32_e32 v182, s0, v182
	v_lshlrev_b32_e32 v181, 2, v181
	v_lshlrev_b32_e32 v182, 2, v182
	v_and_b32_e32 v181, 0x4040404, v181
	v_and_b32_e32 v182, 0x4040404, v182
	v_lshrrev_b16 v189, 8, v181
	v_lshrrev_b32_e32 v187, 16, v181
	v_lshrrev_b32_e32 v188, 24, v181
	s_waitcnt lgkmcnt(0)
	v_ashrrev_i32_e32 v63, s16, v63
	v_and_b32_e32 v183, 0x3030303, v63
	v_bfe_u32 v63, v63, 24, 2
	v_lshrrev_b16 v185, 8, v183
	v_lshrrev_b32_e32 v184, 16, v183
	v_sub_nc_u16 v181, v183, v181
	v_sub_nc_u16 v63, v63, v188
	v_lshrrev_b16 v188, 8, v182
	v_sub_nc_u16 v183, v185, v189
	v_lshrrev_b32_e32 v185, 16, v182
	v_lshlrev_b16 v63, 8, v63
	v_lshlrev_b16 v183, 8, v183
	v_or_b32_sdwa v181, v181, v183 dst_sel:DWORD dst_unused:UNUSED_PAD src0_sel:BYTE_0 src1_sel:DWORD
	v_sub_nc_u16 v183, v184, v187
	v_lshrrev_b32_e32 v187, 24, v182
	v_or_b32_sdwa v63, v183, v63 dst_sel:WORD_1 dst_unused:UNUSED_PAD src0_sel:BYTE_0 src1_sel:DWORD
	v_or_b32_sdwa v183, v181, v63 dst_sel:DWORD dst_unused:UNUSED_PAD src0_sel:WORD_0 src1_sel:DWORD
	v_ashrrev_i32_e32 v63, s16, v64
	v_dot4c_i32_i8 v209, v183, v38
	v_and_b32_e32 v64, 0x3030303, v63
	v_bfe_u32 v63, v63, 24, 2
	v_lshrrev_b16 v184, 8, v64
	v_lshrrev_b32_e32 v181, 16, v64
	v_sub_nc_u16 v64, v64, v182
	v_sub_nc_u16 v63, v63, v187
	;; [unrolled: 1-line block ×4, first 2 shown]
	v_lshlrev_b16 v63, 8, v63
	v_lshlrev_b16 v182, 8, v182
	v_or_b32_sdwa v63, v181, v63 dst_sel:WORD_1 dst_unused:UNUSED_PAD src0_sel:BYTE_0 src1_sel:DWORD
	v_or_b32_sdwa v64, v64, v182 dst_sel:DWORD dst_unused:UNUSED_PAD src0_sel:BYTE_0 src1_sel:DWORD
	ds_read2_b32 v[181:182], v186 offset0:2 offset1:3
	v_or_b32_sdwa v184, v64, v63 dst_sel:DWORD dst_unused:UNUSED_PAD src0_sel:WORD_0 src1_sel:DWORD
	v_add_nc_u32_e32 v63, 0x1088, v199
	v_dot4c_i32_i8 v209, v184, v39
	ds_read2_b32 v[63:64], v63 offset1:1
	s_waitcnt lgkmcnt(1)
	v_ashrrev_i32_e32 v181, s0, v181
	v_ashrrev_i32_e32 v182, s0, v182
	v_lshlrev_b32_e32 v181, 2, v181
	v_lshlrev_b32_e32 v182, 2, v182
	s_waitcnt lgkmcnt(0)
	v_ashrrev_i32_e32 v63, s16, v63
	v_and_b32_e32 v181, 0x4040404, v181
	v_and_b32_e32 v182, 0x4040404, v182
	;; [unrolled: 1-line block ×3, first 2 shown]
	v_bfe_u32 v63, v63, 24, 2
	v_lshrrev_b16 v191, 8, v181
	v_lshrrev_b32_e32 v189, 16, v181
	v_lshrrev_b32_e32 v190, 24, v181
	v_lshrrev_b16 v188, 8, v185
	v_lshrrev_b32_e32 v187, 16, v185
	v_sub_nc_u16 v181, v185, v181
	v_sub_nc_u16 v63, v63, v190
	v_sub_nc_u16 v185, v188, v191
	v_lshrrev_b16 v190, 8, v182
	v_lshrrev_b32_e32 v188, 16, v182
	v_lshlrev_b16 v63, 8, v63
	v_lshlrev_b16 v185, 8, v185
	v_or_b32_sdwa v181, v181, v185 dst_sel:DWORD dst_unused:UNUSED_PAD src0_sel:BYTE_0 src1_sel:DWORD
	v_sub_nc_u16 v185, v187, v189
	v_lshrrev_b32_e32 v189, 24, v182
	v_or_b32_sdwa v63, v185, v63 dst_sel:WORD_1 dst_unused:UNUSED_PAD src0_sel:BYTE_0 src1_sel:DWORD
	v_or_b32_sdwa v187, v181, v63 dst_sel:DWORD dst_unused:UNUSED_PAD src0_sel:WORD_0 src1_sel:DWORD
	v_ashrrev_i32_e32 v63, s16, v64
	v_dot4c_i32_i8 v209, v187, v40
	v_and_b32_e32 v64, 0x3030303, v63
	v_bfe_u32 v63, v63, 24, 2
	v_lshrrev_b16 v185, 8, v64
	v_lshrrev_b32_e32 v181, 16, v64
	v_sub_nc_u16 v64, v64, v182
	v_sub_nc_u16 v63, v63, v189
	;; [unrolled: 1-line block ×4, first 2 shown]
	v_lshlrev_b16 v63, 8, v63
	v_lshlrev_b16 v182, 8, v182
	v_or_b32_sdwa v63, v181, v63 dst_sel:WORD_1 dst_unused:UNUSED_PAD src0_sel:BYTE_0 src1_sel:DWORD
	v_or_b32_sdwa v64, v64, v182 dst_sel:DWORD dst_unused:UNUSED_PAD src0_sel:BYTE_0 src1_sel:DWORD
	ds_read2_b32 v[181:182], v186 offset0:4 offset1:5
	v_or_b32_sdwa v189, v64, v63 dst_sel:DWORD dst_unused:UNUSED_PAD src0_sel:WORD_0 src1_sel:DWORD
	v_add_nc_u32_e32 v63, 0x1090, v199
	v_dot4c_i32_i8 v209, v189, v41
	ds_read2_b32 v[63:64], v63 offset1:1
	s_waitcnt lgkmcnt(1)
	v_ashrrev_i32_e32 v181, s0, v181
	v_ashrrev_i32_e32 v182, s0, v182
	v_lshlrev_b32_e32 v181, 2, v181
	v_lshlrev_b32_e32 v182, 2, v182
	s_waitcnt lgkmcnt(0)
	v_ashrrev_i32_e32 v63, s16, v63
	v_and_b32_e32 v181, 0x4040404, v181
	v_and_b32_e32 v182, 0x4040404, v182
	;; [unrolled: 1-line block ×3, first 2 shown]
	v_bfe_u32 v63, v63, 24, 2
	v_lshrrev_b16 v193, 8, v181
	v_lshrrev_b32_e32 v191, 16, v181
	v_lshrrev_b32_e32 v192, 24, v181
	v_lshrrev_b16 v190, 8, v185
	v_lshrrev_b32_e32 v188, 16, v185
	v_sub_nc_u16 v181, v185, v181
	v_sub_nc_u16 v63, v63, v192
	;; [unrolled: 1-line block ×3, first 2 shown]
	v_lshrrev_b16 v192, 8, v182
	v_lshrrev_b32_e32 v190, 16, v182
	v_lshlrev_b16 v63, 8, v63
	v_lshlrev_b16 v185, 8, v185
	v_or_b32_sdwa v181, v181, v185 dst_sel:DWORD dst_unused:UNUSED_PAD src0_sel:BYTE_0 src1_sel:DWORD
	v_sub_nc_u16 v185, v188, v191
	v_lshrrev_b32_e32 v191, 24, v182
	v_or_b32_sdwa v63, v185, v63 dst_sel:WORD_1 dst_unused:UNUSED_PAD src0_sel:BYTE_0 src1_sel:DWORD
	v_or_b32_sdwa v181, v181, v63 dst_sel:DWORD dst_unused:UNUSED_PAD src0_sel:WORD_0 src1_sel:DWORD
	v_ashrrev_i32_e32 v63, s16, v64
	v_dot4c_i32_i8 v213, v181, v34
	v_and_b32_e32 v64, 0x3030303, v63
	v_bfe_u32 v63, v63, 24, 2
	v_lshrrev_b16 v188, 8, v64
	v_lshrrev_b32_e32 v185, 16, v64
	v_sub_nc_u16 v64, v64, v182
	v_sub_nc_u16 v63, v63, v191
	;; [unrolled: 1-line block ×3, first 2 shown]
	v_lshlrev_b16 v63, 8, v63
	v_lshlrev_b16 v182, 8, v182
	v_or_b32_sdwa v64, v64, v182 dst_sel:DWORD dst_unused:UNUSED_PAD src0_sel:BYTE_0 src1_sel:DWORD
	v_sub_nc_u16 v182, v185, v190
	ds_read2_b32 v[185:186], v186 offset0:6 offset1:7
	v_or_b32_sdwa v63, v182, v63 dst_sel:WORD_1 dst_unused:UNUSED_PAD src0_sel:BYTE_0 src1_sel:DWORD
	v_or_b32_sdwa v182, v64, v63 dst_sel:DWORD dst_unused:UNUSED_PAD src0_sel:WORD_0 src1_sel:DWORD
	v_add_nc_u32_e32 v63, 0x1098, v199
	v_dot4c_i32_i8 v213, v182, v35
	ds_read2_b32 v[63:64], v63 offset1:1
	s_waitcnt lgkmcnt(1)
	v_ashrrev_i32_e32 v185, s0, v185
	v_ashrrev_i32_e32 v186, s0, v186
	v_lshlrev_b32_e32 v185, 2, v185
	v_lshlrev_b32_e32 v186, 2, v186
	v_and_b32_e32 v185, 0x4040404, v185
	v_and_b32_e32 v186, 0x4040404, v186
	s_waitcnt lgkmcnt(0)
	v_ashrrev_i32_e32 v63, s16, v63
	v_lshrrev_b16 v194, 8, v185
	v_lshrrev_b32_e32 v192, 16, v185
	v_lshrrev_b32_e32 v193, 24, v185
	v_and_b32_e32 v188, 0x3030303, v63
	v_bfe_u32 v63, v63, 24, 2
	v_lshrrev_b16 v191, 8, v188
	v_lshrrev_b32_e32 v190, 16, v188
	v_sub_nc_u16 v185, v188, v185
	v_sub_nc_u16 v63, v63, v193
	v_lshrrev_b16 v193, 8, v186
	v_sub_nc_u16 v188, v191, v194
	v_lshrrev_b32_e32 v191, 16, v186
	v_lshlrev_b16 v63, 8, v63
	v_lshlrev_b16 v188, 8, v188
	v_or_b32_sdwa v185, v185, v188 dst_sel:DWORD dst_unused:UNUSED_PAD src0_sel:BYTE_0 src1_sel:DWORD
	v_sub_nc_u16 v188, v190, v192
	v_lshrrev_b32_e32 v192, 24, v186
	v_or_b32_sdwa v63, v188, v63 dst_sel:WORD_1 dst_unused:UNUSED_PAD src0_sel:BYTE_0 src1_sel:DWORD
	v_or_b32_sdwa v185, v185, v63 dst_sel:DWORD dst_unused:UNUSED_PAD src0_sel:WORD_0 src1_sel:DWORD
	v_ashrrev_i32_e32 v63, s16, v64
	v_dot4c_i32_i8 v213, v185, v36
	v_and_b32_e32 v64, 0x3030303, v63
	v_bfe_u32 v63, v63, 24, 2
	v_lshrrev_b16 v190, 8, v64
	v_lshrrev_b32_e32 v188, 16, v64
	v_sub_nc_u16 v64, v64, v186
	v_sub_nc_u16 v63, v63, v192
	;; [unrolled: 1-line block ×3, first 2 shown]
	v_lshlrev_b16 v63, 8, v63
	v_lshlrev_b16 v186, 8, v186
	v_or_b32_sdwa v64, v64, v186 dst_sel:DWORD dst_unused:UNUSED_PAD src0_sel:BYTE_0 src1_sel:DWORD
	v_sub_nc_u16 v186, v188, v191
	ds_read2_b32 v[190:191], v196 offset1:1
	v_or_b32_sdwa v63, v186, v63 dst_sel:WORD_1 dst_unused:UNUSED_PAD src0_sel:BYTE_0 src1_sel:DWORD
	v_or_b32_sdwa v188, v64, v63 dst_sel:DWORD dst_unused:UNUSED_PAD src0_sel:WORD_0 src1_sel:DWORD
	v_add3_u32 v63, s18, v160, v121
	v_dot4c_i32_i8 v213, v188, v37
	ds_read_b32 v186, v63
	v_add_nc_u32_e32 v63, 0x2100, v199
	s_waitcnt lgkmcnt(1)
	v_ashrrev_i32_e32 v190, s0, v190
	ds_read2_b32 v[63:64], v63 offset1:1
	v_ashrrev_i32_e32 v191, s0, v191
	v_lshlrev_b32_e32 v190, 2, v190
	v_lshlrev_b32_e32 v191, 2, v191
	v_and_b32_e32 v190, 0x4040404, v190
	v_and_b32_e32 v191, 0x4040404, v191
	v_lshrrev_b16 v198, 8, v190
	v_lshrrev_b32_e32 v195, 16, v190
	v_lshrrev_b32_e32 v197, 24, v190
	s_waitcnt lgkmcnt(0)
	v_ashrrev_i32_e32 v63, s16, v63
	v_and_b32_e32 v192, 0x3030303, v63
	v_bfe_u32 v63, v63, 24, 2
	v_lshrrev_b16 v194, 8, v192
	v_lshrrev_b32_e32 v193, 16, v192
	v_sub_nc_u16 v190, v192, v190
	v_sub_nc_u16 v63, v63, v197
	v_lshrrev_b16 v197, 8, v191
	v_sub_nc_u16 v192, v194, v198
	v_lshrrev_b32_e32 v194, 16, v191
	v_lshlrev_b16 v63, 8, v63
	v_lshlrev_b16 v192, 8, v192
	v_or_b32_sdwa v190, v190, v192 dst_sel:DWORD dst_unused:UNUSED_PAD src0_sel:BYTE_0 src1_sel:DWORD
	v_sub_nc_u16 v192, v193, v195
	v_lshrrev_b32_e32 v195, 24, v191
	v_or_b32_sdwa v63, v192, v63 dst_sel:WORD_1 dst_unused:UNUSED_PAD src0_sel:BYTE_0 src1_sel:DWORD
	v_or_b32_sdwa v190, v190, v63 dst_sel:DWORD dst_unused:UNUSED_PAD src0_sel:WORD_0 src1_sel:DWORD
	v_ashrrev_i32_e32 v63, s16, v64
	v_dot4c_i32_i8 v214, v190, v38
	v_and_b32_e32 v64, 0x3030303, v63
	v_bfe_u32 v63, v63, 24, 2
	v_lshrrev_b16 v193, 8, v64
	v_lshrrev_b32_e32 v192, 16, v64
	v_sub_nc_u16 v64, v64, v191
	v_sub_nc_u16 v63, v63, v195
	v_sub_nc_u16 v191, v193, v197
	v_lshlrev_b16 v63, 8, v63
	v_lshlrev_b16 v191, 8, v191
	v_or_b32_sdwa v64, v64, v191 dst_sel:DWORD dst_unused:UNUSED_PAD src0_sel:BYTE_0 src1_sel:DWORD
	v_sub_nc_u16 v191, v192, v194
	ds_read2_b32 v[192:193], v196 offset0:2 offset1:3
	v_or_b32_sdwa v63, v191, v63 dst_sel:WORD_1 dst_unused:UNUSED_PAD src0_sel:BYTE_0 src1_sel:DWORD
	v_or_b32_sdwa v191, v64, v63 dst_sel:DWORD dst_unused:UNUSED_PAD src0_sel:WORD_0 src1_sel:DWORD
	v_add_nc_u32_e32 v63, 0x2108, v199
	v_dot4c_i32_i8 v214, v191, v39
	ds_read2_b32 v[63:64], v63 offset1:1
	s_waitcnt lgkmcnt(1)
	v_ashrrev_i32_e32 v192, s0, v192
	v_ashrrev_i32_e32 v193, s0, v193
	v_lshlrev_b32_e32 v192, 2, v192
	v_lshlrev_b32_e32 v193, 2, v193
	v_and_b32_e32 v192, 0x4040404, v192
	v_and_b32_e32 v193, 0x4040404, v193
	s_waitcnt lgkmcnt(0)
	v_ashrrev_i32_e32 v63, s16, v63
	v_lshrrev_b16 v201, 8, v192
	v_lshrrev_b32_e32 v198, 16, v192
	v_lshrrev_b32_e32 v200, 24, v192
	v_and_b32_e32 v194, 0x3030303, v63
	v_bfe_u32 v63, v63, 24, 2
	v_lshrrev_b16 v197, 8, v194
	v_lshrrev_b32_e32 v195, 16, v194
	v_sub_nc_u16 v192, v194, v192
	v_sub_nc_u16 v63, v63, v200
	v_lshrrev_b16 v200, 8, v193
	v_sub_nc_u16 v194, v197, v201
	v_lshrrev_b32_e32 v197, 16, v193
	v_lshlrev_b16 v63, 8, v63
	v_lshlrev_b16 v194, 8, v194
	v_or_b32_sdwa v192, v192, v194 dst_sel:DWORD dst_unused:UNUSED_PAD src0_sel:BYTE_0 src1_sel:DWORD
	v_sub_nc_u16 v194, v195, v198
	v_lshrrev_b32_e32 v198, 24, v193
	v_or_b32_sdwa v63, v194, v63 dst_sel:WORD_1 dst_unused:UNUSED_PAD src0_sel:BYTE_0 src1_sel:DWORD
	v_or_b32_sdwa v192, v192, v63 dst_sel:DWORD dst_unused:UNUSED_PAD src0_sel:WORD_0 src1_sel:DWORD
	v_ashrrev_i32_e32 v63, s16, v64
	v_dot4c_i32_i8 v214, v192, v40
	v_and_b32_e32 v64, 0x3030303, v63
	v_bfe_u32 v63, v63, 24, 2
	v_lshrrev_b16 v195, 8, v64
	v_lshrrev_b32_e32 v194, 16, v64
	v_sub_nc_u16 v64, v64, v193
	v_sub_nc_u16 v63, v63, v198
	v_sub_nc_u16 v193, v195, v200
	v_lshlrev_b16 v63, 8, v63
	v_lshlrev_b16 v193, 8, v193
	v_or_b32_sdwa v64, v64, v193 dst_sel:DWORD dst_unused:UNUSED_PAD src0_sel:BYTE_0 src1_sel:DWORD
	v_sub_nc_u16 v193, v194, v197
	ds_read2_b32 v[194:195], v196 offset0:4 offset1:5
	v_or_b32_sdwa v63, v193, v63 dst_sel:WORD_1 dst_unused:UNUSED_PAD src0_sel:BYTE_0 src1_sel:DWORD
	v_or_b32_sdwa v193, v64, v63 dst_sel:DWORD dst_unused:UNUSED_PAD src0_sel:WORD_0 src1_sel:DWORD
	v_add_nc_u32_e32 v63, 0x2110, v199
	v_dot4c_i32_i8 v214, v193, v41
	ds_read2_b32 v[63:64], v63 offset1:1
	s_waitcnt lgkmcnt(1)
	v_ashrrev_i32_e32 v194, s0, v194
	v_ashrrev_i32_e32 v195, s0, v195
	v_lshlrev_b32_e32 v194, 2, v194
	v_lshlrev_b32_e32 v195, 2, v195
	v_and_b32_e32 v194, 0x4040404, v194
	v_and_b32_e32 v195, 0x4040404, v195
	s_waitcnt lgkmcnt(0)
	v_ashrrev_i32_e32 v63, s16, v63
	v_lshrrev_b16 v203, 8, v194
	v_lshrrev_b32_e32 v201, 16, v194
	v_lshrrev_b32_e32 v202, 24, v194
	;; [unrolled: 47-line block ×3, first 2 shown]
	v_and_b32_e32 v198, 0x3030303, v63
	v_bfe_u32 v63, v63, 24, 2
	v_lshrrev_b16 v201, 8, v198
	v_lshrrev_b32_e32 v200, 16, v198
	v_sub_nc_u16 v196, v198, v196
	v_sub_nc_u16 v63, v63, v203
	v_lshrrev_b16 v203, 8, v197
	v_sub_nc_u16 v198, v201, v204
	v_lshrrev_b32_e32 v201, 16, v197
	v_lshlrev_b16 v63, 8, v63
	v_lshlrev_b16 v198, 8, v198
	v_or_b32_sdwa v196, v196, v198 dst_sel:DWORD dst_unused:UNUSED_PAD src0_sel:BYTE_0 src1_sel:DWORD
	v_sub_nc_u16 v198, v200, v202
	v_lshrrev_b32_e32 v202, 24, v197
	v_or_b32_sdwa v63, v198, v63 dst_sel:WORD_1 dst_unused:UNUSED_PAD src0_sel:BYTE_0 src1_sel:DWORD
	v_or_b32_sdwa v196, v196, v63 dst_sel:DWORD dst_unused:UNUSED_PAD src0_sel:WORD_0 src1_sel:DWORD
	v_ashrrev_i32_e32 v63, s16, v64
	v_dot4c_i32_i8 v216, v196, v36
	v_and_b32_e32 v64, 0x3030303, v63
	v_bfe_u32 v63, v63, 24, 2
	v_lshrrev_b16 v200, 8, v64
	v_lshrrev_b32_e32 v198, 16, v64
	v_sub_nc_u16 v64, v64, v197
	v_sub_nc_u16 v63, v63, v202
	;; [unrolled: 1-line block ×3, first 2 shown]
	v_add3_u32 v203, s19, v163, v124
	v_lshlrev_b16 v63, 8, v63
	v_lshlrev_b16 v197, 8, v197
	ds_read2_b32 v[204:205], v203 offset1:1
	v_or_b32_sdwa v64, v64, v197 dst_sel:DWORD dst_unused:UNUSED_PAD src0_sel:BYTE_0 src1_sel:DWORD
	v_sub_nc_u16 v197, v198, v201
	v_or_b32_sdwa v63, v197, v63 dst_sel:WORD_1 dst_unused:UNUSED_PAD src0_sel:BYTE_0 src1_sel:DWORD
	v_or_b32_sdwa v198, v64, v63 dst_sel:DWORD dst_unused:UNUSED_PAD src0_sel:WORD_0 src1_sel:DWORD
	v_add3_u32 v63, s18, v162, v123
	v_dot4c_i32_i8 v216, v198, v37
	ds_read_b32 v197, v63
	v_add_nc_u32_e32 v63, 0x3180, v199
	s_waitcnt lgkmcnt(1)
	v_ashrrev_i32_e32 v204, s0, v204
	ds_read2_b32 v[63:64], v63 offset1:1
	v_lshlrev_b32_e32 v204, 2, v204
	v_and_b32_e32 v204, 0x4040404, v204
	v_lshrrev_b32_e32 v207, 24, v204
	v_lshrrev_b16 v217, 8, v204
	v_lshrrev_b32_e32 v206, 16, v204
	s_waitcnt lgkmcnt(0)
	v_ashrrev_i32_e32 v200, s16, v63
	v_and_b32_e32 v201, 0x3030303, v200
	v_bfe_u32 v200, v200, 24, 2
	v_lshrrev_b16 v202, 8, v201
	v_lshrrev_b32_e32 v63, 16, v201
	v_sub_nc_u16 v200, v200, v207
	v_sub_nc_u16 v201, v201, v204
	;; [unrolled: 1-line block ×4, first 2 shown]
	v_lshlrev_b16 v200, 8, v200
	v_lshlrev_b16 v202, 8, v202
	v_or_b32_sdwa v63, v63, v200 dst_sel:WORD_1 dst_unused:UNUSED_PAD src0_sel:BYTE_0 src1_sel:DWORD
	v_or_b32_sdwa v201, v201, v202 dst_sel:DWORD dst_unused:UNUSED_PAD src0_sel:BYTE_0 src1_sel:DWORD
	v_ashrrev_i32_e32 v202, s0, v205
	v_or_b32_sdwa v204, v201, v63 dst_sel:DWORD dst_unused:UNUSED_PAD src0_sel:WORD_0 src1_sel:DWORD
	v_ashrrev_i32_e32 v63, s16, v64
	v_lshlrev_b32_e32 v202, 2, v202
	v_and_b32_e32 v64, 0x3030303, v63
	v_and_b32_e32 v202, 0x4040404, v202
	v_bfe_u32 v63, v63, 24, 2
	v_lshrrev_b16 v201, 8, v64
	v_lshrrev_b32_e32 v206, 24, v202
	v_lshrrev_b16 v207, 8, v202
	v_lshrrev_b32_e32 v200, 16, v64
	v_lshrrev_b32_e32 v205, 16, v202
	v_sub_nc_u16 v64, v64, v202
	v_sub_nc_u16 v63, v63, v206
	;; [unrolled: 1-line block ×4, first 2 shown]
	v_lshlrev_b16 v63, 8, v63
	v_lshlrev_b16 v201, 8, v201
	v_or_b32_sdwa v63, v200, v63 dst_sel:WORD_1 dst_unused:UNUSED_PAD src0_sel:BYTE_0 src1_sel:DWORD
	v_or_b32_sdwa v64, v64, v201 dst_sel:DWORD dst_unused:UNUSED_PAD src0_sel:BYTE_0 src1_sel:DWORD
	ds_read2_b32 v[200:201], v203 offset0:2 offset1:3
	v_or_b32_sdwa v205, v64, v63 dst_sel:DWORD dst_unused:UNUSED_PAD src0_sel:WORD_0 src1_sel:DWORD
	v_add_nc_u32_e32 v63, 0x3188, v199
	ds_read2_b32 v[63:64], v63 offset1:1
	s_waitcnt lgkmcnt(1)
	v_ashrrev_i32_e32 v200, s0, v200
	v_ashrrev_i32_e32 v201, s0, v201
	v_lshlrev_b32_e32 v200, 2, v200
	v_lshlrev_b32_e32 v201, 2, v201
	s_waitcnt lgkmcnt(0)
	v_ashrrev_i32_e32 v63, s16, v63
	v_and_b32_e32 v200, 0x4040404, v200
	v_and_b32_e32 v201, 0x4040404, v201
	v_and_b32_e32 v202, 0x3030303, v63
	v_lshrrev_b16 v219, 8, v200
	v_bfe_u32 v63, v63, 24, 2
	v_lshrrev_b32_e32 v217, 16, v200
	v_lshrrev_b32_e32 v218, 24, v200
	v_lshrrev_b16 v207, 8, v202
	v_lshrrev_b32_e32 v206, 16, v202
	v_sub_nc_u16 v200, v202, v200
	v_sub_nc_u16 v63, v63, v218
	;; [unrolled: 1-line block ×3, first 2 shown]
	v_lshrrev_b16 v218, 8, v201
	v_lshrrev_b32_e32 v207, 16, v201
	v_lshlrev_b16 v63, 8, v63
	v_lshlrev_b16 v202, 8, v202
	v_or_b32_sdwa v200, v200, v202 dst_sel:DWORD dst_unused:UNUSED_PAD src0_sel:BYTE_0 src1_sel:DWORD
	v_sub_nc_u16 v202, v206, v217
	v_lshrrev_b32_e32 v217, 24, v201
	v_or_b32_sdwa v63, v202, v63 dst_sel:WORD_1 dst_unused:UNUSED_PAD src0_sel:BYTE_0 src1_sel:DWORD
	v_or_b32_sdwa v206, v200, v63 dst_sel:DWORD dst_unused:UNUSED_PAD src0_sel:WORD_0 src1_sel:DWORD
	v_ashrrev_i32_e32 v63, s16, v64
	v_and_b32_e32 v64, 0x3030303, v63
	v_bfe_u32 v63, v63, 24, 2
	v_lshrrev_b16 v202, 8, v64
	v_lshrrev_b32_e32 v200, 16, v64
	v_sub_nc_u16 v64, v64, v201
	v_sub_nc_u16 v63, v63, v217
	;; [unrolled: 1-line block ×4, first 2 shown]
	v_lshlrev_b16 v63, 8, v63
	v_lshlrev_b16 v201, 8, v201
	v_or_b32_sdwa v63, v200, v63 dst_sel:WORD_1 dst_unused:UNUSED_PAD src0_sel:BYTE_0 src1_sel:DWORD
	v_or_b32_sdwa v64, v64, v201 dst_sel:DWORD dst_unused:UNUSED_PAD src0_sel:BYTE_0 src1_sel:DWORD
	ds_read2_b32 v[200:201], v203 offset0:4 offset1:5
	v_or_b32_sdwa v207, v64, v63 dst_sel:DWORD dst_unused:UNUSED_PAD src0_sel:WORD_0 src1_sel:DWORD
	v_add_nc_u32_e32 v63, 0x3190, v199
	ds_read2_b32 v[63:64], v63 offset1:1
	s_waitcnt lgkmcnt(1)
	v_ashrrev_i32_e32 v200, s0, v200
	v_ashrrev_i32_e32 v201, s0, v201
	v_lshlrev_b32_e32 v200, 2, v200
	v_lshlrev_b32_e32 v201, 2, v201
	s_waitcnt lgkmcnt(0)
	v_ashrrev_i32_e32 v63, s16, v63
	v_and_b32_e32 v200, 0x4040404, v200
	v_and_b32_e32 v201, 0x4040404, v201
	;; [unrolled: 1-line block ×3, first 2 shown]
	v_bfe_u32 v63, v63, 24, 2
	v_lshrrev_b16 v221, 8, v200
	v_lshrrev_b32_e32 v219, 16, v200
	v_lshrrev_b32_e32 v220, 24, v200
	v_lshrrev_b16 v218, 8, v202
	v_lshrrev_b32_e32 v217, 16, v202
	v_sub_nc_u16 v200, v202, v200
	v_sub_nc_u16 v63, v63, v220
	v_sub_nc_u16 v202, v218, v221
	v_lshrrev_b16 v220, 8, v201
	v_lshrrev_b32_e32 v218, 16, v201
	v_lshlrev_b16 v63, 8, v63
	v_lshlrev_b16 v202, 8, v202
	v_or_b32_sdwa v200, v200, v202 dst_sel:DWORD dst_unused:UNUSED_PAD src0_sel:BYTE_0 src1_sel:DWORD
	v_sub_nc_u16 v202, v217, v219
	v_lshrrev_b32_e32 v219, 24, v201
	v_or_b32_sdwa v63, v202, v63 dst_sel:WORD_1 dst_unused:UNUSED_PAD src0_sel:BYTE_0 src1_sel:DWORD
	v_or_b32_sdwa v200, v200, v63 dst_sel:DWORD dst_unused:UNUSED_PAD src0_sel:WORD_0 src1_sel:DWORD
	v_ashrrev_i32_e32 v63, s16, v64
	v_and_b32_e32 v64, 0x3030303, v63
	v_bfe_u32 v63, v63, 24, 2
	v_lshrrev_b16 v217, 8, v64
	v_lshrrev_b32_e32 v202, 16, v64
	v_sub_nc_u16 v64, v64, v201
	v_sub_nc_u16 v63, v63, v219
	;; [unrolled: 1-line block ×3, first 2 shown]
	v_lshlrev_b16 v63, 8, v63
	v_lshlrev_b16 v201, 8, v201
	v_or_b32_sdwa v64, v64, v201 dst_sel:DWORD dst_unused:UNUSED_PAD src0_sel:BYTE_0 src1_sel:DWORD
	v_sub_nc_u16 v201, v202, v218
	ds_read2_b32 v[202:203], v203 offset0:6 offset1:7
	v_or_b32_sdwa v63, v201, v63 dst_sel:WORD_1 dst_unused:UNUSED_PAD src0_sel:BYTE_0 src1_sel:DWORD
	v_or_b32_sdwa v201, v64, v63 dst_sel:DWORD dst_unused:UNUSED_PAD src0_sel:WORD_0 src1_sel:DWORD
	v_add_nc_u32_e32 v63, 0x3198, v199
	ds_read2_b32 v[63:64], v63 offset1:1
	s_waitcnt lgkmcnt(1)
	v_ashrrev_i32_e32 v202, s0, v202
	v_ashrrev_i32_e32 v203, s0, v203
	v_lshlrev_b32_e32 v202, 2, v202
	v_lshlrev_b32_e32 v203, 2, v203
	v_and_b32_e32 v202, 0x4040404, v202
	v_and_b32_e32 v203, 0x4040404, v203
	s_waitcnt lgkmcnt(0)
	v_ashrrev_i32_e32 v63, s16, v63
	v_lshrrev_b16 v221, 8, v202
	v_lshrrev_b32_e32 v219, 16, v202
	v_lshrrev_b32_e32 v220, 24, v202
	v_and_b32_e32 v199, 0x3030303, v63
	v_bfe_u32 v63, v63, 24, 2
	v_lshrrev_b16 v218, 8, v199
	v_lshrrev_b32_e32 v217, 16, v199
	v_sub_nc_u16 v199, v199, v202
	v_sub_nc_u16 v63, v63, v220
	v_lshrrev_b16 v220, 8, v203
	v_sub_nc_u16 v202, v218, v221
	v_lshrrev_b32_e32 v218, 16, v203
	v_mov_b32_e32 v221, 0
	v_lshlrev_b16 v63, 8, v63
	v_lshlrev_b16 v202, 8, v202
	v_or_b32_sdwa v199, v199, v202 dst_sel:DWORD dst_unused:UNUSED_PAD src0_sel:BYTE_0 src1_sel:DWORD
	v_sub_nc_u16 v202, v217, v219
	v_lshrrev_b32_e32 v219, 24, v203
	v_or_b32_sdwa v63, v202, v63 dst_sel:WORD_1 dst_unused:UNUSED_PAD src0_sel:BYTE_0 src1_sel:DWORD
	v_or_b32_sdwa v202, v199, v63 dst_sel:DWORD dst_unused:UNUSED_PAD src0_sel:WORD_0 src1_sel:DWORD
	v_ashrrev_i32_e32 v63, s16, v64
	v_and_b32_e32 v64, 0x3030303, v63
	v_bfe_u32 v63, v63, 24, 2
	v_lshrrev_b32_e32 v199, 16, v64
	v_lshrrev_b16 v217, 8, v64
	v_sub_nc_u16 v64, v64, v203
	v_sub_nc_u16 v63, v63, v219
	v_add_nc_u32_e32 v219, s17, v132
	v_sub_nc_u16 v199, v199, v218
	v_sub_nc_u16 v203, v217, v220
	v_mov_b32_e32 v218, 0
	v_mov_b32_e32 v220, 0
	v_lshlrev_b16 v63, 8, v63
	s_mov_b32 s17, s11
	v_lshlrev_b16 v203, 8, v203
	v_dot4c_i32_i8 v218, v204, v38
	v_dot4c_i32_i8 v220, v200, v34
	v_or_b32_sdwa v63, v199, v63 dst_sel:WORD_1 dst_unused:UNUSED_PAD src0_sel:BYTE_0 src1_sel:DWORD
	v_or_b32_sdwa v64, v64, v203 dst_sel:DWORD dst_unused:UNUSED_PAD src0_sel:BYTE_0 src1_sel:DWORD
	v_dot4c_i32_i8 v218, v205, v39
	v_dot4c_i32_i8 v220, v201, v35
	v_or_b32_sdwa v203, v64, v63 dst_sel:DWORD dst_unused:UNUSED_PAD src0_sel:WORD_0 src1_sel:DWORD
	v_add3_u32 v63, s18, v164, v125
	v_dot4c_i32_i8 v218, v206, v40
	v_dot4c_i32_i8 v220, v202, v36
	ds_read_b32 v199, v63
	v_dot4c_i32_i8 v218, v207, v41
	v_dot4c_i32_i8 v220, v203, v37
	ds_read_b128 v[34:37], v170 offset:1024
	ds_read_b128 v[38:41], v170 offset:1040
	s_waitcnt lgkmcnt(1)
	v_dot4c_i32_i8 v233, v172, v34
	s_waitcnt lgkmcnt(0)
	v_dot4c_i32_i8 v239, v176, v38
	v_dot4c_i32_i8 v228, v183, v34
	;; [unrolled: 1-line block ×31, first 2 shown]
	ds_read2_b32 v[63:64], v171 offset0:64 offset1:96
	ds_read_b128 v[34:37], v170 offset:2048
	ds_read_b128 v[38:41], v170 offset:2064
	s_waitcnt lgkmcnt(1)
	v_dot4c_i32_i8 v236, v172, v34
	s_waitcnt lgkmcnt(0)
	v_dot4c_i32_i8 v235, v176, v38
	v_dot4c_i32_i8 v231, v183, v34
	;; [unrolled: 1-line block ×31, first 2 shown]
	ds_read_b128 v[38:41], v170 offset:3072
	ds_read_b128 v[34:37], v170 offset:3088
	ds_read_u16 v217, v210 offset:33538
	s_waitcnt lgkmcnt(2)
	v_dot4c_i32_i8 v234, v172, v38
	s_waitcnt lgkmcnt(1)
	v_dot4c_i32_i8 v237, v176, v34
	s_waitcnt lgkmcnt(0)
	v_lshrrev_b16 v210, 8, v217
	v_bfe_i32 v217, v217, 0, 8
	v_dot4c_i32_i8 v234, v173, v39
	v_dot4c_i32_i8 v237, v177, v35
	v_bfe_i32 v210, v210, 0, 8
	v_mul_lo_u32 v233, v233, v217
	v_dot4c_i32_i8 v234, v174, v40
	v_dot4c_i32_i8 v237, v178, v36
	v_mul_lo_u32 v235, v235, v210
	v_mul_lo_u32 v211, v211, v210
	v_dot4c_i32_i8 v234, v175, v41
	v_dot4c_i32_i8 v237, v180, v37
	v_mul_lo_u32 v234, v234, v217
	v_mad_u64_u32 v[235:236], null, v236, v217, v[235:236]
	v_mad_u64_u32 v[236:237], null, v237, v210, v[234:235]
                                        ; kill: def $vgpr234 killed $sgpr0 killed $exec
	v_mad_u64_u32 v[237:238], null, v208, v217, v[211:212]
	v_mad_u64_u32 v[233:234], null, v239, v210, v[233:234]
	ds_read_u16 v212, v212 offset:34562
	v_mul_f32_e32 v208, v179, v62
	v_mul_f32_e32 v211, v179, v61
	;; [unrolled: 1-line block ×3, first 2 shown]
	v_cvt_f32_i32_e32 v237, v237
	v_mul_f32_e32 v234, v179, v64
	v_cvt_f32_i32_e32 v233, v233
	v_cvt_f32_i32_e32 v236, v236
	;; [unrolled: 1-line block ×3, first 2 shown]
	v_fma_f32 v3, v211, v237, v3
	v_mov_b32_e32 v237, 0
	v_fmac_f32_e32 v2, v208, v233
	v_mov_b32_e32 v208, 0
	v_mov_b32_e32 v233, 0
	v_fma_f32 v5, v238, v235, v5
	v_fma_f32 v4, v234, v236, v4
	v_mov_b32_e32 v234, 0
	v_dot4c_i32_i8 v208, v183, v38
	v_dot4c_i32_i8 v233, v181, v34
	v_mov_b32_e32 v235, 0
	s_waitcnt lgkmcnt(0)
	v_lshrrev_b16 v211, 8, v212
	v_bfe_i32 v212, v212, 0, 8
	v_dot4c_i32_i8 v208, v184, v39
	v_dot4c_i32_i8 v233, v182, v35
	v_mov_b32_e32 v236, 0
	v_bfe_i32 v211, v211, 0, 8
	v_mul_lo_u32 v228, v228, v212
	v_dot4c_i32_i8 v208, v187, v40
	v_dot4c_i32_i8 v233, v185, v36
	v_mov_b32_e32 v238, 0
	v_mul_lo_u32 v232, v232, v211
	v_mul_lo_u32 v213, v213, v211
	v_dot4c_i32_i8 v208, v189, v41
	v_dot4c_i32_i8 v233, v188, v37
	v_mad_u64_u32 v[227:228], null, v227, v211, v[228:229]
	v_mul_f32_e32 v228, v186, v64
	v_mul_lo_u32 v208, v208, v212
	v_mad_u64_u32 v[231:232], null, v231, v212, v[232:233]
	v_mov_b32_e32 v239, 0
	v_cvt_f32_i32_e32 v227, v227
	v_mad_u64_u32 v[232:233], null, v233, v211, v[208:209]
	v_mad_u64_u32 v[208:209], null, v209, v212, v[213:214]
	v_mul_f32_e32 v213, v186, v61
	v_mul_f32_e32 v209, v186, v62
	;; [unrolled: 1-line block ×3, first 2 shown]
	v_cvt_f32_i32_e32 v231, v231
	v_cvt_f32_i32_e32 v232, v232
	;; [unrolled: 1-line block ×3, first 2 shown]
	v_fmac_f32_e32 v30, v209, v227
	v_mov_b32_e32 v227, 0
	v_fma_f32 v32, v228, v232, v32
	v_mov_b32_e32 v228, 0
	v_fma_f32 v31, v213, v208, v31
	ds_read_u16 v208, v215 offset:35586
	v_dot4c_i32_i8 v227, v190, v38
	v_fma_f32 v33, v233, v231, v33
	v_dot4c_i32_i8 v228, v194, v34
	v_mov_b32_e32 v232, 0
	v_mov_b32_e32 v233, 0
	v_dot4c_i32_i8 v227, v191, v39
	v_dot4c_i32_i8 v228, v195, v35
	;; [unrolled: 1-line block ×6, first 2 shown]
	s_waitcnt lgkmcnt(0)
	v_lshrrev_b16 v209, 8, v208
	v_bfe_i32 v215, v208, 0, 8
	v_bfe_i32 v213, v209, 0, 8
	v_mul_lo_u32 v208, v226, v215
	v_mul_lo_u32 v226, v230, v213
	;; [unrolled: 1-line block ×4, first 2 shown]
                                        ; kill: def $vgpr227 killed $sgpr0 killed $exec
	v_mad_u64_u32 v[226:227], null, v229, v215, v[226:227]
	v_mad_u64_u32 v[227:228], null, v228, v213, v[216:217]
	;; [unrolled: 1-line block ×3, first 2 shown]
	v_mul_f32_e32 v214, v197, v61
                                        ; kill: def $vgpr209 killed $sgpr0 killed $exec
	v_mul_f32_e32 v216, v197, v64
	v_mad_u64_u32 v[208:209], null, v225, v213, v[208:209]
	v_mul_f32_e32 v209, v197, v62
	v_mul_f32_e32 v225, v197, v63
	v_cvt_f32_i32_e32 v228, v228
	v_cvt_f32_i32_e32 v227, v227
	;; [unrolled: 1-line block ×4, first 2 shown]
	v_fma_f32 v27, v214, v228, v27
	v_mov_b32_e32 v214, 0
	v_fma_f32 v28, v216, v227, v28
	v_mov_b32_e32 v227, 0
	v_fmac_f32_e32 v26, v209, v208
	v_fma_f32 v29, v225, v226, v29
	v_dot4c_i32_i8 v214, v204, v38
                                        ; kill: def $vgpr38 killed $sgpr0 killed $exec
	v_mov_b32_e32 v225, 0
	v_mov_b32_e32 v226, 0
	;; [unrolled: 1-line block ×3, first 2 shown]
	v_dot4c_i32_i8 v214, v205, v39
	v_mov_b32_e32 v39, 0
	v_dot4c_i32_i8 v214, v206, v40
	v_dot4c_i32_i8 v39, v200, v34
	ds_read_u16 v34, v219 offset:36610
	v_mov_b32_e32 v219, 0
	v_dot4c_i32_i8 v214, v207, v41
	v_dot4c_i32_i8 v39, v201, v35
	v_mul_f32_e32 v41, v199, v63
	v_mov_b32_e32 v63, 0
	v_dot4c_i32_i8 v39, v202, v36
	v_dot4c_i32_i8 v39, v203, v37
	s_waitcnt lgkmcnt(0)
	v_lshrrev_b16 v35, 8, v34
	v_bfe_i32 v209, v34, 0, 8
	v_bfe_i32 v208, v35, 0, 8
	v_mul_lo_u32 v36, v214, v209
	v_mul_lo_u32 v34, v222, v209
	v_mov_b32_e32 v214, 0
	v_mov_b32_e32 v222, 0
	v_mul_lo_u32 v37, v224, v208
	v_mul_lo_u32 v35, v220, v208
	v_mov_b32_e32 v220, 0
	v_mov_b32_e32 v224, 0
	v_mad_u64_u32 v[37:38], null, v223, v209, v[37:38]
	v_mov_b32_e32 v223, 0
	v_mad_u64_u32 v[38:39], null, v39, v208, v[36:37]
                                        ; kill: def $vgpr36 killed $sgpr0 killed $exec
	v_cvt_f32_i32_e32 v37, v37
	v_mad_u64_u32 v[35:36], null, v218, v209, v[35:36]
	v_mul_f32_e32 v36, v199, v61
	v_mov_b32_e32 v218, 0
	v_fma_f32 v25, v41, v37, v25
	v_cvt_f32_i32_e32 v38, v38
	v_mad_u64_u32 v[39:40], null, v221, v208, v[34:35]
	v_mul_f32_e32 v34, v199, v62
	v_mul_f32_e32 v40, v199, v64
	v_cvt_f32_i32_e32 v35, v35
	v_mov_b32_e32 v221, 0
	v_mov_b32_e32 v64, 0
	v_cvt_f32_i32_e32 v39, v39
	v_fma_f32 v24, v40, v38, v24
	v_fma_f32 v23, v36, v35, v23
	v_fmac_f32_e32 v22, v34, v39
	ds_read2_b32 v[61:62], v171 offset0:128 offset1:160
	ds_read_b128 v[38:41], v170 offset:4096
	ds_read_b128 v[34:37], v170 offset:4112
	s_waitcnt lgkmcnt(1)
	v_dot4c_i32_i8 v214, v172, v38
	v_dot4c_i32_i8 v220, v183, v38
	;; [unrolled: 1-line block ×4, first 2 shown]
	s_waitcnt lgkmcnt(0)
	v_dot4c_i32_i8 v227, v176, v34
	v_dot4c_i32_i8 v214, v173, v39
	;; [unrolled: 1-line block ×10, first 2 shown]
	v_mov_b32_e32 v40, 0
	v_dot4c_i32_i8 v221, v194, v34
	v_dot4c_i32_i8 v227, v177, v35
	;; [unrolled: 1-line block ×17, first 2 shown]
	v_mov_b32_e32 v41, 0
	v_dot4c_i32_i8 v40, v203, v37
	ds_read_b128 v[34:37], v170 offset:5120
	ds_read_b128 v[228:231], v170 offset:5136
	s_waitcnt lgkmcnt(1)
	v_dot4c_i32_i8 v232, v172, v34
	s_waitcnt lgkmcnt(0)
	v_dot4c_i32_i8 v233, v176, v228
	v_dot4c_i32_i8 v225, v183, v34
	;; [unrolled: 1-line block ×31, first 2 shown]
	ds_read2_b32 v[38:39], v171 offset0:192 offset1:224
	ds_read_b128 v[34:37], v170 offset:6144
	ds_read_b128 v[228:231], v170 offset:6160
	v_add_nc_u32_e32 v171, 4, v171
	v_mul_lo_u32 v41, v41, v209
	s_waitcnt lgkmcnt(1)
	v_dot4c_i32_i8 v234, v172, v34
	s_waitcnt lgkmcnt(0)
	v_dot4c_i32_i8 v235, v176, v228
	v_dot4c_i32_i8 v236, v183, v34
	;; [unrolled: 1-line block ×31, first 2 shown]
	ds_read_b128 v[228:231], v170 offset:7168
	ds_read_b128 v[34:37], v170 offset:7184
	v_add_nc_u32_e32 v170, 32, v170
	s_waitcnt lgkmcnt(1)
	v_dot4c_i32_i8 v240, v172, v228
	s_waitcnt lgkmcnt(0)
	v_dot4c_i32_i8 v241, v176, v34
                                        ; kill: def $vgpr176 killed $sgpr0 killed $exec
	v_mul_lo_u32 v172, v232, v217
	v_dot4c_i32_i8 v240, v173, v229
	v_dot4c_i32_i8 v241, v177, v35
	v_mul_lo_u32 v173, v227, v210
	v_dot4c_i32_i8 v240, v174, v230
	v_dot4c_i32_i8 v241, v178, v36
	;; [unrolled: 1-line block ×3, first 2 shown]
	v_mul_lo_u32 v175, v235, v210
	v_dot4c_i32_i8 v241, v180, v37
	v_mul_lo_u32 v174, v240, v217
	v_mad_u64_u32 v[175:176], null, v234, v217, v[175:176]
	v_mad_u64_u32 v[176:177], null, v241, v210, v[174:175]
                                        ; kill: def $vgpr174 killed $sgpr0 killed $exec
	v_cvt_f32_i32_e32 v175, v175
	v_mad_u64_u32 v[173:174], null, v214, v217, v[173:174]
	v_mul_f32_e32 v174, v179, v61
	v_cvt_f32_i32_e32 v176, v176
	v_mad_u64_u32 v[177:178], null, v233, v210, v[172:173]
	v_cvt_f32_i32_e32 v173, v173
	v_mul_f32_e32 v172, v179, v62
	v_mul_f32_e32 v178, v179, v39
	;; [unrolled: 1-line block ×3, first 2 shown]
	v_fma_f32 v19, v174, v173, v19
	v_mov_b32_e32 v174, 0
	v_cvt_f32_i32_e32 v177, v177
	v_fma_f32 v21, v179, v175, v21
	v_mul_lo_u32 v175, v237, v211
	v_fma_f32 v20, v178, v176, v20
	v_dot4c_i32_i8 v174, v183, v228
	v_fmac_f32_e32 v18, v172, v177
	v_mov_b32_e32 v177, 0
                                        ; kill: def $vgpr176 killed $sgpr0 killed $exec
	v_mul_lo_u32 v173, v222, v211
	v_mul_lo_u32 v172, v225, v212
	v_dot4c_i32_i8 v174, v184, v229
	v_mad_u64_u32 v[175:176], null, v236, v212, v[175:176]
	v_dot4c_i32_i8 v177, v181, v34
	v_mul_f32_e32 v179, v186, v38
	v_dot4c_i32_i8 v174, v187, v230
	v_dot4c_i32_i8 v177, v182, v35
	;; [unrolled: 1-line block ×4, first 2 shown]
	v_mul_lo_u32 v174, v174, v212
	v_dot4c_i32_i8 v177, v188, v37
	v_mad_u64_u32 v[176:177], null, v177, v211, v[174:175]
                                        ; kill: def $vgpr174 killed $sgpr0 killed $exec
	v_cvt_f32_i32_e32 v175, v175
	v_mad_u64_u32 v[173:174], null, v220, v212, v[173:174]
	v_mul_f32_e32 v174, v186, v61
	v_fma_f32 v17, v179, v175, v17
	v_mul_lo_u32 v175, v239, v213
	v_cvt_f32_i32_e32 v176, v176
	v_mul_f32_e32 v179, v197, v38
	v_mad_u64_u32 v[177:178], null, v226, v211, v[172:173]
	v_cvt_f32_i32_e32 v173, v173
	v_mul_f32_e32 v172, v186, v62
	v_mul_f32_e32 v178, v186, v39
	v_fma_f32 v15, v174, v173, v15
	v_mov_b32_e32 v174, 0
	v_cvt_f32_i32_e32 v177, v177
	v_fma_f32 v16, v178, v176, v16
                                        ; kill: def $vgpr176 killed $sgpr0 killed $exec
	v_mul_lo_u32 v173, v221, v213
	v_mad_u64_u32 v[175:176], null, v238, v215, v[175:176]
	v_dot4c_i32_i8 v174, v190, v228
	v_fmac_f32_e32 v14, v172, v177
	v_mov_b32_e32 v177, 0
	v_mul_lo_u32 v172, v224, v215
	v_dot4c_i32_i8 v174, v191, v229
	v_dot4c_i32_i8 v177, v194, v34
	;; [unrolled: 1-line block ×6, first 2 shown]
	v_mul_lo_u32 v174, v174, v215
	v_dot4c_i32_i8 v177, v198, v37
	v_mad_u64_u32 v[176:177], null, v177, v213, v[174:175]
                                        ; kill: def $vgpr174 killed $sgpr0 killed $exec
	v_cvt_f32_i32_e32 v175, v175
	v_mad_u64_u32 v[173:174], null, v219, v215, v[173:174]
	v_mul_f32_e32 v174, v197, v61
	v_fma_f32 v13, v179, v175, v13
	v_cvt_f32_i32_e32 v176, v176
	v_mad_u64_u32 v[177:178], null, v223, v213, v[172:173]
	v_mul_f32_e32 v172, v197, v62
	v_cvt_f32_i32_e32 v173, v173
	v_mul_f32_e32 v178, v197, v39
	v_mul_f32_e32 v39, v199, v39
	v_cvt_f32_i32_e32 v177, v177
	v_fma_f32 v11, v174, v173, v11
	v_mov_b32_e32 v173, 0
	v_fma_f32 v12, v178, v176, v12
	v_fmac_f32_e32 v10, v172, v177
	v_mov_b32_e32 v172, 0
	v_dot4c_i32_i8 v173, v200, v34
	v_mul_lo_u32 v34, v218, v208
	v_dot4c_i32_i8 v172, v204, v228
	v_dot4c_i32_i8 v173, v201, v35
                                        ; kill: def $vgpr35 killed $sgpr0 killed $exec
	s_add_i32 s0, s0, 1
	s_cmp_lt_u32 s11, 14
	v_dot4c_i32_i8 v172, v205, v229
	v_dot4c_i32_i8 v173, v202, v36
	v_mad_u64_u32 v[34:35], null, v216, v209, v[34:35]
	v_dot4c_i32_i8 v172, v206, v230
	v_dot4c_i32_i8 v173, v203, v37
	v_mul_lo_u32 v37, v40, v208
	v_mad_u64_u32 v[40:41], null, v64, v208, v[41:42]
	v_dot4c_i32_i8 v172, v207, v231
	v_mul_f32_e32 v41, v199, v61
	v_cvt_f32_i32_e32 v34, v34
	v_mul_lo_u32 v36, v172, v209
	v_cvt_f32_i32_e32 v40, v40
	v_mad_u64_u32 v[35:36], null, v173, v208, v[36:37]
	v_mad_u64_u32 v[36:37], null, v63, v209, v[37:38]
	v_mul_f32_e32 v37, v199, v62
	v_mul_f32_e32 v38, v199, v38
	v_cvt_f32_i32_e32 v35, v35
	v_fmac_f32_e32 v6, v37, v40
	v_cvt_f32_i32_e32 v36, v36
	v_fma_f32 v9, v38, v34, v9
	v_fma_f32 v8, v39, v35, v8
	;; [unrolled: 1-line block ×3, first 2 shown]
	s_cbranch_scc1 .LBB130_9
; %bb.10:                               ;   in Loop: Header=BB130_6 Depth=1
	s_or_b32 s0, s15, 1
	s_cmp_ge_i32 s0, s4
	s_barrier
	buffer_gl0_inv
	s_cbranch_scc1 .LBB130_5
; %bb.11:                               ;   in Loop: Header=BB130_6 Depth=1
	v_add_nc_u32_e32 v170, s9, v127
	v_add_nc_u32_e32 v63, 8, v168
	s_mov_b32 s0, 16
	s_mov_b32 s17, 14
	s_mov_b32 s1, 0
	v_add_nc_u32_e32 v34, v170, v109
	v_add_nc_u32_e32 v36, v170, v111
	;; [unrolled: 1-line block ×5, first 2 shown]
	v_mad_u64_u32 v[63:64], null, v63, 36, s[2:3]
	v_mad_i64_i32 v[34:35], null, v34, 36, v[59:60]
	v_add_nc_u32_e32 v171, v170, v115
	v_mad_i64_i32 v[36:37], null, v36, 36, v[59:60]
	v_add_nc_u32_e32 v172, v170, v116
	;; [unrolled: 2-line block ×3, first 2 shown]
	v_mad_i64_i32 v[40:41], null, v40, 36, v[59:60]
	v_mad_i64_i32 v[61:62], null, v61, 36, v[59:60]
	;; [unrolled: 1-line block ×5, first 2 shown]
	s_clause 0x8
	global_load_dword v63, v[63:64], off
	global_load_dword v34, v[34:35], off offset:4
	global_load_dword v35, v[36:37], off offset:4
	global_load_dword v36, v[38:39], off offset:4
	global_load_dword v37, v[40:41], off offset:4
	global_load_dword v38, v[61:62], off offset:4
	global_load_dword v39, v[170:171], off offset:4
	global_load_dword v40, v[172:173], off offset:4
	global_load_dword v41, v[174:175], off offset:4
	v_mov_b32_e32 v170, v138
	v_mov_b32_e32 v171, v137
	s_waitcnt vmcnt(8)
	v_cvt_f32_f16_e32 v61, v63
	s_waitcnt vmcnt(7)
	ds_write_b32 v169, v34
	s_waitcnt vmcnt(6)
	ds_write_b32 v152, v35
	;; [unrolled: 2-line block ×8, first 2 shown]
	ds_write_b32 v108, v61
	s_waitcnt lgkmcnt(0)
	s_barrier
	buffer_gl0_inv
.LBB130_12:                             ;   Parent Loop BB130_6 Depth=1
                                        ; =>  This Inner Loop Header: Depth=2
	s_add_i32 s11, s17, 2
	ds_read2_b32 v[61:62], v171 offset1:32
	ds_read_b128 v[38:41], v170
	ds_read_b128 v[34:37], v170 offset:16
	s_lshr_b32 s18, s11, 4
	s_and_b32 s19, s11, 0x3ffffff8
	s_add_i32 s16, s17, -14
	v_lshl_add_u32 v199, s19, 2, v118
	s_lshl_b32 s19, s18, 5
	s_lshl_b32 s18, s18, 2
	s_addk_i32 s19, 0x4200
	s_add_i32 s18, s18, 0x9380
	v_add3_u32 v178, s19, v165, v119
	ds_read2_b32 v[63:64], v199 offset1:1
	v_add3_u32 v186, s19, v159, v120
	v_add3_u32 v196, s19, v161, v122
	v_mov_b32_e32 v208, 0
	ds_read2_b32 v[172:173], v178 offset1:1
	v_mov_b32_e32 v211, 0
	v_mov_b32_e32 v209, 0
	;; [unrolled: 1-line block ×15, first 2 shown]
	s_waitcnt lgkmcnt(1)
	v_ashrrev_i32_e32 v63, s16, v63
	v_mov_b32_e32 v232, 0
	v_mov_b32_e32 v229, 0
	;; [unrolled: 1-line block ×3, first 2 shown]
	s_waitcnt lgkmcnt(0)
	v_ashrrev_i32_e32 v172, s1, v172
	v_and_b32_e32 v174, 0x3030303, v63
	v_bfe_u32 v63, v63, 24, 2
	v_ashrrev_i32_e32 v173, s1, v173
	v_mov_b32_e32 v223, 0
	v_lshlrev_b32_e32 v172, 2, v172
	v_lshrrev_b16 v176, 8, v174
	v_lshrrev_b32_e32 v175, 16, v174
	v_lshlrev_b32_e32 v173, 2, v173
	v_mov_b32_e32 v224, 0
	v_and_b32_e32 v172, 0x4040404, v172
	s_and_b32 s20, s0, -16
	v_mov_b32_e32 v234, 0
	v_and_b32_e32 v173, 0x4040404, v173
	s_add_i32 s17, s17, s20
	v_lshrrev_b16 v180, 8, v172
	v_lshrrev_b32_e32 v177, 16, v172
	v_lshrrev_b32_e32 v179, 24, v172
	v_sub_nc_u16 v172, v174, v172
	v_add_nc_u32_e32 v210, s17, v129
	v_sub_nc_u16 v174, v176, v180
	v_lshrrev_b32_e32 v176, 16, v173
	v_sub_nc_u16 v63, v63, v179
	v_lshrrev_b16 v179, 8, v173
	v_mov_b32_e32 v237, 0
	v_lshlrev_b16 v174, 8, v174
	v_add_nc_u32_e32 v212, s17, v130
	v_lshlrev_b16 v63, 8, v63
	v_add_nc_u32_e32 v215, s17, v131
	v_mov_b32_e32 v240, 0
	v_or_b32_sdwa v172, v172, v174 dst_sel:DWORD dst_unused:UNUSED_PAD src0_sel:BYTE_0 src1_sel:DWORD
	v_sub_nc_u16 v174, v175, v177
	v_lshrrev_b32_e32 v177, 24, v173
	v_mov_b32_e32 v241, 0
	v_or_b32_sdwa v63, v174, v63 dst_sel:WORD_1 dst_unused:UNUSED_PAD src0_sel:BYTE_0 src1_sel:DWORD
	v_or_b32_sdwa v172, v172, v63 dst_sel:DWORD dst_unused:UNUSED_PAD src0_sel:WORD_0 src1_sel:DWORD
	v_ashrrev_i32_e32 v63, s16, v64
	v_dot4c_i32_i8 v208, v172, v38
	v_and_b32_e32 v64, 0x3030303, v63
	v_bfe_u32 v63, v63, 24, 2
	v_lshrrev_b16 v175, 8, v64
	v_lshrrev_b32_e32 v174, 16, v64
	v_sub_nc_u16 v64, v64, v173
	v_sub_nc_u16 v63, v63, v177
	v_sub_nc_u16 v173, v175, v179
	v_lshlrev_b16 v63, 8, v63
	v_lshlrev_b16 v173, 8, v173
	v_or_b32_sdwa v64, v64, v173 dst_sel:DWORD dst_unused:UNUSED_PAD src0_sel:BYTE_0 src1_sel:DWORD
	v_sub_nc_u16 v173, v174, v176
	ds_read2_b32 v[174:175], v178 offset0:2 offset1:3
	v_or_b32_sdwa v63, v173, v63 dst_sel:WORD_1 dst_unused:UNUSED_PAD src0_sel:BYTE_0 src1_sel:DWORD
	v_or_b32_sdwa v173, v64, v63 dst_sel:DWORD dst_unused:UNUSED_PAD src0_sel:WORD_0 src1_sel:DWORD
	ds_read2_b32 v[63:64], v199 offset0:2 offset1:3
	v_dot4c_i32_i8 v208, v173, v39
	s_waitcnt lgkmcnt(1)
	v_ashrrev_i32_e32 v174, s1, v174
	v_ashrrev_i32_e32 v175, s1, v175
	v_lshlrev_b32_e32 v174, 2, v174
	v_lshlrev_b32_e32 v175, 2, v175
	s_waitcnt lgkmcnt(0)
	v_ashrrev_i32_e32 v63, s16, v63
	v_and_b32_e32 v174, 0x4040404, v174
	v_and_b32_e32 v175, 0x4040404, v175
	v_and_b32_e32 v176, 0x3030303, v63
	v_bfe_u32 v63, v63, 24, 2
	v_lshrrev_b16 v182, 8, v174
	v_lshrrev_b32_e32 v180, 16, v174
	v_lshrrev_b32_e32 v181, 24, v174
	v_lshrrev_b16 v179, 8, v176
	v_lshrrev_b32_e32 v177, 16, v176
	v_sub_nc_u16 v174, v176, v174
	v_sub_nc_u16 v63, v63, v181
	v_sub_nc_u16 v176, v179, v182
	v_lshrrev_b16 v181, 8, v175
	v_lshrrev_b32_e32 v179, 16, v175
	v_lshlrev_b16 v63, 8, v63
	v_lshlrev_b16 v176, 8, v176
	v_or_b32_sdwa v174, v174, v176 dst_sel:DWORD dst_unused:UNUSED_PAD src0_sel:BYTE_0 src1_sel:DWORD
	v_sub_nc_u16 v176, v177, v180
	v_lshrrev_b32_e32 v180, 24, v175
	v_or_b32_sdwa v63, v176, v63 dst_sel:WORD_1 dst_unused:UNUSED_PAD src0_sel:BYTE_0 src1_sel:DWORD
	v_or_b32_sdwa v174, v174, v63 dst_sel:DWORD dst_unused:UNUSED_PAD src0_sel:WORD_0 src1_sel:DWORD
	v_ashrrev_i32_e32 v63, s16, v64
	v_dot4c_i32_i8 v208, v174, v40
	v_and_b32_e32 v64, 0x3030303, v63
	v_bfe_u32 v63, v63, 24, 2
	v_lshrrev_b16 v177, 8, v64
	v_lshrrev_b32_e32 v176, 16, v64
	v_sub_nc_u16 v64, v64, v175
	v_sub_nc_u16 v63, v63, v180
	v_sub_nc_u16 v175, v177, v181
	v_lshlrev_b16 v63, 8, v63
	v_lshlrev_b16 v175, 8, v175
	v_or_b32_sdwa v64, v64, v175 dst_sel:DWORD dst_unused:UNUSED_PAD src0_sel:BYTE_0 src1_sel:DWORD
	v_sub_nc_u16 v175, v176, v179
	ds_read2_b32 v[176:177], v178 offset0:4 offset1:5
	v_or_b32_sdwa v63, v175, v63 dst_sel:WORD_1 dst_unused:UNUSED_PAD src0_sel:BYTE_0 src1_sel:DWORD
	v_or_b32_sdwa v175, v64, v63 dst_sel:DWORD dst_unused:UNUSED_PAD src0_sel:WORD_0 src1_sel:DWORD
	ds_read2_b32 v[63:64], v199 offset0:4 offset1:5
	v_dot4c_i32_i8 v208, v175, v41
	s_waitcnt lgkmcnt(1)
	v_ashrrev_i32_e32 v176, s1, v176
	v_ashrrev_i32_e32 v177, s1, v177
	v_lshlrev_b32_e32 v176, 2, v176
	v_lshlrev_b32_e32 v177, 2, v177
	s_waitcnt lgkmcnt(0)
	v_ashrrev_i32_e32 v63, s16, v63
	v_and_b32_e32 v176, 0x4040404, v176
	v_and_b32_e32 v177, 0x4040404, v177
	v_and_b32_e32 v179, 0x3030303, v63
	v_bfe_u32 v63, v63, 24, 2
	v_lshrrev_b16 v184, 8, v176
	v_lshrrev_b32_e32 v182, 16, v176
	v_lshrrev_b32_e32 v183, 24, v176
	v_lshrrev_b16 v181, 8, v179
	v_lshrrev_b32_e32 v180, 16, v179
	v_sub_nc_u16 v176, v179, v176
	v_sub_nc_u16 v63, v63, v183
	v_sub_nc_u16 v179, v181, v184
	v_lshrrev_b16 v183, 8, v177
	v_lshrrev_b32_e32 v181, 16, v177
	v_lshlrev_b16 v63, 8, v63
	v_lshlrev_b16 v179, 8, v179
	v_or_b32_sdwa v176, v176, v179 dst_sel:DWORD dst_unused:UNUSED_PAD src0_sel:BYTE_0 src1_sel:DWORD
	v_sub_nc_u16 v179, v180, v182
	v_lshrrev_b32_e32 v182, 24, v177
	;; [unrolled: 46-line block ×3, first 2 shown]
	v_or_b32_sdwa v63, v180, v63 dst_sel:WORD_1 dst_unused:UNUSED_PAD src0_sel:BYTE_0 src1_sel:DWORD
	v_or_b32_sdwa v178, v178, v63 dst_sel:DWORD dst_unused:UNUSED_PAD src0_sel:WORD_0 src1_sel:DWORD
	v_ashrrev_i32_e32 v63, s16, v64
	v_dot4c_i32_i8 v211, v178, v36
	v_and_b32_e32 v64, 0x3030303, v63
	v_bfe_u32 v63, v63, 24, 2
	v_lshrrev_b16 v181, 8, v64
	v_lshrrev_b32_e32 v180, 16, v64
	v_sub_nc_u16 v64, v64, v179
	v_sub_nc_u16 v63, v63, v183
	;; [unrolled: 1-line block ×3, first 2 shown]
	v_lshlrev_b16 v63, 8, v63
	v_lshlrev_b16 v179, 8, v179
	v_or_b32_sdwa v64, v64, v179 dst_sel:DWORD dst_unused:UNUSED_PAD src0_sel:BYTE_0 src1_sel:DWORD
	v_sub_nc_u16 v179, v180, v182
	ds_read2_b32 v[181:182], v186 offset1:1
	v_or_b32_sdwa v63, v179, v63 dst_sel:WORD_1 dst_unused:UNUSED_PAD src0_sel:BYTE_0 src1_sel:DWORD
	v_or_b32_sdwa v180, v64, v63 dst_sel:DWORD dst_unused:UNUSED_PAD src0_sel:WORD_0 src1_sel:DWORD
	v_add3_u32 v63, s18, v166, v167
	v_dot4c_i32_i8 v211, v180, v37
	ds_read_b32 v179, v63
	v_add_nc_u32_e32 v63, 0x1080, v199
	s_waitcnt lgkmcnt(1)
	v_ashrrev_i32_e32 v181, s1, v181
	ds_read2_b32 v[63:64], v63 offset1:1
	v_ashrrev_i32_e32 v182, s1, v182
	v_lshlrev_b32_e32 v181, 2, v181
	v_lshlrev_b32_e32 v182, 2, v182
	v_and_b32_e32 v181, 0x4040404, v181
	v_and_b32_e32 v182, 0x4040404, v182
	v_lshrrev_b16 v189, 8, v181
	v_lshrrev_b32_e32 v187, 16, v181
	v_lshrrev_b32_e32 v188, 24, v181
	s_waitcnt lgkmcnt(0)
	v_ashrrev_i32_e32 v63, s16, v63
	v_and_b32_e32 v183, 0x3030303, v63
	v_bfe_u32 v63, v63, 24, 2
	v_lshrrev_b16 v185, 8, v183
	v_lshrrev_b32_e32 v184, 16, v183
	v_sub_nc_u16 v181, v183, v181
	v_sub_nc_u16 v63, v63, v188
	v_lshrrev_b16 v188, 8, v182
	v_sub_nc_u16 v183, v185, v189
	v_lshrrev_b32_e32 v185, 16, v182
	v_lshlrev_b16 v63, 8, v63
	v_lshlrev_b16 v183, 8, v183
	v_or_b32_sdwa v181, v181, v183 dst_sel:DWORD dst_unused:UNUSED_PAD src0_sel:BYTE_0 src1_sel:DWORD
	v_sub_nc_u16 v183, v184, v187
	v_lshrrev_b32_e32 v187, 24, v182
	v_or_b32_sdwa v63, v183, v63 dst_sel:WORD_1 dst_unused:UNUSED_PAD src0_sel:BYTE_0 src1_sel:DWORD
	v_or_b32_sdwa v183, v181, v63 dst_sel:DWORD dst_unused:UNUSED_PAD src0_sel:WORD_0 src1_sel:DWORD
	v_ashrrev_i32_e32 v63, s16, v64
	v_dot4c_i32_i8 v209, v183, v38
	v_and_b32_e32 v64, 0x3030303, v63
	v_bfe_u32 v63, v63, 24, 2
	v_lshrrev_b16 v184, 8, v64
	v_lshrrev_b32_e32 v181, 16, v64
	v_sub_nc_u16 v64, v64, v182
	v_sub_nc_u16 v63, v63, v187
	;; [unrolled: 1-line block ×4, first 2 shown]
	v_lshlrev_b16 v63, 8, v63
	v_lshlrev_b16 v182, 8, v182
	v_or_b32_sdwa v63, v181, v63 dst_sel:WORD_1 dst_unused:UNUSED_PAD src0_sel:BYTE_0 src1_sel:DWORD
	v_or_b32_sdwa v64, v64, v182 dst_sel:DWORD dst_unused:UNUSED_PAD src0_sel:BYTE_0 src1_sel:DWORD
	ds_read2_b32 v[181:182], v186 offset0:2 offset1:3
	v_or_b32_sdwa v184, v64, v63 dst_sel:DWORD dst_unused:UNUSED_PAD src0_sel:WORD_0 src1_sel:DWORD
	v_add_nc_u32_e32 v63, 0x1088, v199
	v_dot4c_i32_i8 v209, v184, v39
	ds_read2_b32 v[63:64], v63 offset1:1
	s_waitcnt lgkmcnt(1)
	v_ashrrev_i32_e32 v181, s1, v181
	v_ashrrev_i32_e32 v182, s1, v182
	v_lshlrev_b32_e32 v181, 2, v181
	v_lshlrev_b32_e32 v182, 2, v182
	s_waitcnt lgkmcnt(0)
	v_ashrrev_i32_e32 v63, s16, v63
	v_and_b32_e32 v181, 0x4040404, v181
	v_and_b32_e32 v182, 0x4040404, v182
	;; [unrolled: 1-line block ×3, first 2 shown]
	v_bfe_u32 v63, v63, 24, 2
	v_lshrrev_b16 v191, 8, v181
	v_lshrrev_b32_e32 v189, 16, v181
	v_lshrrev_b32_e32 v190, 24, v181
	v_lshrrev_b16 v188, 8, v185
	v_lshrrev_b32_e32 v187, 16, v185
	v_sub_nc_u16 v181, v185, v181
	v_sub_nc_u16 v63, v63, v190
	;; [unrolled: 1-line block ×3, first 2 shown]
	v_lshrrev_b16 v190, 8, v182
	v_lshrrev_b32_e32 v188, 16, v182
	v_lshlrev_b16 v63, 8, v63
	v_lshlrev_b16 v185, 8, v185
	v_or_b32_sdwa v181, v181, v185 dst_sel:DWORD dst_unused:UNUSED_PAD src0_sel:BYTE_0 src1_sel:DWORD
	v_sub_nc_u16 v185, v187, v189
	v_lshrrev_b32_e32 v189, 24, v182
	v_or_b32_sdwa v63, v185, v63 dst_sel:WORD_1 dst_unused:UNUSED_PAD src0_sel:BYTE_0 src1_sel:DWORD
	v_or_b32_sdwa v187, v181, v63 dst_sel:DWORD dst_unused:UNUSED_PAD src0_sel:WORD_0 src1_sel:DWORD
	v_ashrrev_i32_e32 v63, s16, v64
	v_dot4c_i32_i8 v209, v187, v40
	v_and_b32_e32 v64, 0x3030303, v63
	v_bfe_u32 v63, v63, 24, 2
	v_lshrrev_b16 v185, 8, v64
	v_lshrrev_b32_e32 v181, 16, v64
	v_sub_nc_u16 v64, v64, v182
	v_sub_nc_u16 v63, v63, v189
	;; [unrolled: 1-line block ×4, first 2 shown]
	v_lshlrev_b16 v63, 8, v63
	v_lshlrev_b16 v182, 8, v182
	v_or_b32_sdwa v63, v181, v63 dst_sel:WORD_1 dst_unused:UNUSED_PAD src0_sel:BYTE_0 src1_sel:DWORD
	v_or_b32_sdwa v64, v64, v182 dst_sel:DWORD dst_unused:UNUSED_PAD src0_sel:BYTE_0 src1_sel:DWORD
	ds_read2_b32 v[181:182], v186 offset0:4 offset1:5
	v_or_b32_sdwa v189, v64, v63 dst_sel:DWORD dst_unused:UNUSED_PAD src0_sel:WORD_0 src1_sel:DWORD
	v_add_nc_u32_e32 v63, 0x1090, v199
	v_dot4c_i32_i8 v209, v189, v41
	ds_read2_b32 v[63:64], v63 offset1:1
	s_waitcnt lgkmcnt(1)
	v_ashrrev_i32_e32 v181, s1, v181
	v_ashrrev_i32_e32 v182, s1, v182
	v_lshlrev_b32_e32 v181, 2, v181
	v_lshlrev_b32_e32 v182, 2, v182
	s_waitcnt lgkmcnt(0)
	v_ashrrev_i32_e32 v63, s16, v63
	v_and_b32_e32 v181, 0x4040404, v181
	v_and_b32_e32 v182, 0x4040404, v182
	;; [unrolled: 1-line block ×3, first 2 shown]
	v_bfe_u32 v63, v63, 24, 2
	v_lshrrev_b16 v193, 8, v181
	v_lshrrev_b32_e32 v191, 16, v181
	v_lshrrev_b32_e32 v192, 24, v181
	v_lshrrev_b16 v190, 8, v185
	v_lshrrev_b32_e32 v188, 16, v185
	v_sub_nc_u16 v181, v185, v181
	v_sub_nc_u16 v63, v63, v192
	;; [unrolled: 1-line block ×3, first 2 shown]
	v_lshrrev_b16 v192, 8, v182
	v_lshrrev_b32_e32 v190, 16, v182
	v_lshlrev_b16 v63, 8, v63
	v_lshlrev_b16 v185, 8, v185
	v_or_b32_sdwa v181, v181, v185 dst_sel:DWORD dst_unused:UNUSED_PAD src0_sel:BYTE_0 src1_sel:DWORD
	v_sub_nc_u16 v185, v188, v191
	v_lshrrev_b32_e32 v191, 24, v182
	v_or_b32_sdwa v63, v185, v63 dst_sel:WORD_1 dst_unused:UNUSED_PAD src0_sel:BYTE_0 src1_sel:DWORD
	v_or_b32_sdwa v181, v181, v63 dst_sel:DWORD dst_unused:UNUSED_PAD src0_sel:WORD_0 src1_sel:DWORD
	v_ashrrev_i32_e32 v63, s16, v64
	v_dot4c_i32_i8 v213, v181, v34
	v_and_b32_e32 v64, 0x3030303, v63
	v_bfe_u32 v63, v63, 24, 2
	v_lshrrev_b16 v188, 8, v64
	v_lshrrev_b32_e32 v185, 16, v64
	v_sub_nc_u16 v64, v64, v182
	v_sub_nc_u16 v63, v63, v191
	;; [unrolled: 1-line block ×3, first 2 shown]
	v_lshlrev_b16 v63, 8, v63
	v_lshlrev_b16 v182, 8, v182
	v_or_b32_sdwa v64, v64, v182 dst_sel:DWORD dst_unused:UNUSED_PAD src0_sel:BYTE_0 src1_sel:DWORD
	v_sub_nc_u16 v182, v185, v190
	ds_read2_b32 v[185:186], v186 offset0:6 offset1:7
	v_or_b32_sdwa v63, v182, v63 dst_sel:WORD_1 dst_unused:UNUSED_PAD src0_sel:BYTE_0 src1_sel:DWORD
	v_or_b32_sdwa v182, v64, v63 dst_sel:DWORD dst_unused:UNUSED_PAD src0_sel:WORD_0 src1_sel:DWORD
	v_add_nc_u32_e32 v63, 0x1098, v199
	v_dot4c_i32_i8 v213, v182, v35
	ds_read2_b32 v[63:64], v63 offset1:1
	s_waitcnt lgkmcnt(1)
	v_ashrrev_i32_e32 v185, s1, v185
	v_ashrrev_i32_e32 v186, s1, v186
	v_lshlrev_b32_e32 v185, 2, v185
	v_lshlrev_b32_e32 v186, 2, v186
	v_and_b32_e32 v185, 0x4040404, v185
	v_and_b32_e32 v186, 0x4040404, v186
	s_waitcnt lgkmcnt(0)
	v_ashrrev_i32_e32 v63, s16, v63
	v_lshrrev_b16 v194, 8, v185
	v_lshrrev_b32_e32 v192, 16, v185
	v_lshrrev_b32_e32 v193, 24, v185
	v_and_b32_e32 v188, 0x3030303, v63
	v_bfe_u32 v63, v63, 24, 2
	v_lshrrev_b16 v191, 8, v188
	v_lshrrev_b32_e32 v190, 16, v188
	v_sub_nc_u16 v185, v188, v185
	v_sub_nc_u16 v63, v63, v193
	v_lshrrev_b16 v193, 8, v186
	v_sub_nc_u16 v188, v191, v194
	v_lshrrev_b32_e32 v191, 16, v186
	v_lshlrev_b16 v63, 8, v63
	v_lshlrev_b16 v188, 8, v188
	v_or_b32_sdwa v185, v185, v188 dst_sel:DWORD dst_unused:UNUSED_PAD src0_sel:BYTE_0 src1_sel:DWORD
	v_sub_nc_u16 v188, v190, v192
	v_lshrrev_b32_e32 v192, 24, v186
	v_or_b32_sdwa v63, v188, v63 dst_sel:WORD_1 dst_unused:UNUSED_PAD src0_sel:BYTE_0 src1_sel:DWORD
	v_or_b32_sdwa v185, v185, v63 dst_sel:DWORD dst_unused:UNUSED_PAD src0_sel:WORD_0 src1_sel:DWORD
	v_ashrrev_i32_e32 v63, s16, v64
	v_dot4c_i32_i8 v213, v185, v36
	v_and_b32_e32 v64, 0x3030303, v63
	v_bfe_u32 v63, v63, 24, 2
	v_lshrrev_b16 v190, 8, v64
	v_lshrrev_b32_e32 v188, 16, v64
	v_sub_nc_u16 v64, v64, v186
	v_sub_nc_u16 v63, v63, v192
	;; [unrolled: 1-line block ×3, first 2 shown]
	v_lshlrev_b16 v63, 8, v63
	v_lshlrev_b16 v186, 8, v186
	v_or_b32_sdwa v64, v64, v186 dst_sel:DWORD dst_unused:UNUSED_PAD src0_sel:BYTE_0 src1_sel:DWORD
	v_sub_nc_u16 v186, v188, v191
	ds_read2_b32 v[190:191], v196 offset1:1
	v_or_b32_sdwa v63, v186, v63 dst_sel:WORD_1 dst_unused:UNUSED_PAD src0_sel:BYTE_0 src1_sel:DWORD
	v_or_b32_sdwa v188, v64, v63 dst_sel:DWORD dst_unused:UNUSED_PAD src0_sel:WORD_0 src1_sel:DWORD
	v_add3_u32 v63, s18, v160, v121
	v_dot4c_i32_i8 v213, v188, v37
	ds_read_b32 v186, v63
	v_add_nc_u32_e32 v63, 0x2100, v199
	s_waitcnt lgkmcnt(1)
	v_ashrrev_i32_e32 v190, s1, v190
	ds_read2_b32 v[63:64], v63 offset1:1
	v_ashrrev_i32_e32 v191, s1, v191
	v_lshlrev_b32_e32 v190, 2, v190
	v_lshlrev_b32_e32 v191, 2, v191
	v_and_b32_e32 v190, 0x4040404, v190
	v_and_b32_e32 v191, 0x4040404, v191
	v_lshrrev_b16 v198, 8, v190
	v_lshrrev_b32_e32 v195, 16, v190
	v_lshrrev_b32_e32 v197, 24, v190
	s_waitcnt lgkmcnt(0)
	v_ashrrev_i32_e32 v63, s16, v63
	v_and_b32_e32 v192, 0x3030303, v63
	v_bfe_u32 v63, v63, 24, 2
	v_lshrrev_b16 v194, 8, v192
	v_lshrrev_b32_e32 v193, 16, v192
	v_sub_nc_u16 v190, v192, v190
	v_sub_nc_u16 v63, v63, v197
	v_lshrrev_b16 v197, 8, v191
	v_sub_nc_u16 v192, v194, v198
	v_lshrrev_b32_e32 v194, 16, v191
	v_lshlrev_b16 v63, 8, v63
	v_lshlrev_b16 v192, 8, v192
	v_or_b32_sdwa v190, v190, v192 dst_sel:DWORD dst_unused:UNUSED_PAD src0_sel:BYTE_0 src1_sel:DWORD
	v_sub_nc_u16 v192, v193, v195
	v_lshrrev_b32_e32 v195, 24, v191
	v_or_b32_sdwa v63, v192, v63 dst_sel:WORD_1 dst_unused:UNUSED_PAD src0_sel:BYTE_0 src1_sel:DWORD
	v_or_b32_sdwa v190, v190, v63 dst_sel:DWORD dst_unused:UNUSED_PAD src0_sel:WORD_0 src1_sel:DWORD
	v_ashrrev_i32_e32 v63, s16, v64
	v_dot4c_i32_i8 v214, v190, v38
	v_and_b32_e32 v64, 0x3030303, v63
	v_bfe_u32 v63, v63, 24, 2
	v_lshrrev_b16 v193, 8, v64
	v_lshrrev_b32_e32 v192, 16, v64
	v_sub_nc_u16 v64, v64, v191
	v_sub_nc_u16 v63, v63, v195
	v_sub_nc_u16 v191, v193, v197
	v_lshlrev_b16 v63, 8, v63
	v_lshlrev_b16 v191, 8, v191
	v_or_b32_sdwa v64, v64, v191 dst_sel:DWORD dst_unused:UNUSED_PAD src0_sel:BYTE_0 src1_sel:DWORD
	v_sub_nc_u16 v191, v192, v194
	ds_read2_b32 v[192:193], v196 offset0:2 offset1:3
	v_or_b32_sdwa v63, v191, v63 dst_sel:WORD_1 dst_unused:UNUSED_PAD src0_sel:BYTE_0 src1_sel:DWORD
	v_or_b32_sdwa v191, v64, v63 dst_sel:DWORD dst_unused:UNUSED_PAD src0_sel:WORD_0 src1_sel:DWORD
	v_add_nc_u32_e32 v63, 0x2108, v199
	v_dot4c_i32_i8 v214, v191, v39
	ds_read2_b32 v[63:64], v63 offset1:1
	s_waitcnt lgkmcnt(1)
	v_ashrrev_i32_e32 v192, s1, v192
	v_ashrrev_i32_e32 v193, s1, v193
	v_lshlrev_b32_e32 v192, 2, v192
	v_lshlrev_b32_e32 v193, 2, v193
	v_and_b32_e32 v192, 0x4040404, v192
	v_and_b32_e32 v193, 0x4040404, v193
	s_waitcnt lgkmcnt(0)
	v_ashrrev_i32_e32 v63, s16, v63
	v_lshrrev_b16 v201, 8, v192
	v_lshrrev_b32_e32 v198, 16, v192
	v_lshrrev_b32_e32 v200, 24, v192
	v_and_b32_e32 v194, 0x3030303, v63
	v_bfe_u32 v63, v63, 24, 2
	v_lshrrev_b16 v197, 8, v194
	v_lshrrev_b32_e32 v195, 16, v194
	v_sub_nc_u16 v192, v194, v192
	v_sub_nc_u16 v63, v63, v200
	v_lshrrev_b16 v200, 8, v193
	v_sub_nc_u16 v194, v197, v201
	v_lshrrev_b32_e32 v197, 16, v193
	v_lshlrev_b16 v63, 8, v63
	v_lshlrev_b16 v194, 8, v194
	v_or_b32_sdwa v192, v192, v194 dst_sel:DWORD dst_unused:UNUSED_PAD src0_sel:BYTE_0 src1_sel:DWORD
	v_sub_nc_u16 v194, v195, v198
	v_lshrrev_b32_e32 v198, 24, v193
	v_or_b32_sdwa v63, v194, v63 dst_sel:WORD_1 dst_unused:UNUSED_PAD src0_sel:BYTE_0 src1_sel:DWORD
	v_or_b32_sdwa v192, v192, v63 dst_sel:DWORD dst_unused:UNUSED_PAD src0_sel:WORD_0 src1_sel:DWORD
	v_ashrrev_i32_e32 v63, s16, v64
	v_dot4c_i32_i8 v214, v192, v40
	v_and_b32_e32 v64, 0x3030303, v63
	v_bfe_u32 v63, v63, 24, 2
	v_lshrrev_b16 v195, 8, v64
	v_lshrrev_b32_e32 v194, 16, v64
	v_sub_nc_u16 v64, v64, v193
	v_sub_nc_u16 v63, v63, v198
	v_sub_nc_u16 v193, v195, v200
	v_lshlrev_b16 v63, 8, v63
	v_lshlrev_b16 v193, 8, v193
	v_or_b32_sdwa v64, v64, v193 dst_sel:DWORD dst_unused:UNUSED_PAD src0_sel:BYTE_0 src1_sel:DWORD
	v_sub_nc_u16 v193, v194, v197
	ds_read2_b32 v[194:195], v196 offset0:4 offset1:5
	v_or_b32_sdwa v63, v193, v63 dst_sel:WORD_1 dst_unused:UNUSED_PAD src0_sel:BYTE_0 src1_sel:DWORD
	v_or_b32_sdwa v193, v64, v63 dst_sel:DWORD dst_unused:UNUSED_PAD src0_sel:WORD_0 src1_sel:DWORD
	v_add_nc_u32_e32 v63, 0x2110, v199
	v_dot4c_i32_i8 v214, v193, v41
	ds_read2_b32 v[63:64], v63 offset1:1
	s_waitcnt lgkmcnt(1)
	v_ashrrev_i32_e32 v194, s1, v194
	v_ashrrev_i32_e32 v195, s1, v195
	v_lshlrev_b32_e32 v194, 2, v194
	v_lshlrev_b32_e32 v195, 2, v195
	v_and_b32_e32 v194, 0x4040404, v194
	v_and_b32_e32 v195, 0x4040404, v195
	s_waitcnt lgkmcnt(0)
	v_ashrrev_i32_e32 v63, s16, v63
	v_lshrrev_b16 v203, 8, v194
	v_lshrrev_b32_e32 v201, 16, v194
	v_lshrrev_b32_e32 v202, 24, v194
	;; [unrolled: 47-line block ×3, first 2 shown]
	v_and_b32_e32 v198, 0x3030303, v63
	v_bfe_u32 v63, v63, 24, 2
	v_lshrrev_b16 v201, 8, v198
	v_lshrrev_b32_e32 v200, 16, v198
	v_sub_nc_u16 v196, v198, v196
	v_sub_nc_u16 v63, v63, v203
	v_lshrrev_b16 v203, 8, v197
	v_sub_nc_u16 v198, v201, v204
	v_lshrrev_b32_e32 v201, 16, v197
	v_lshlrev_b16 v63, 8, v63
	v_lshlrev_b16 v198, 8, v198
	v_or_b32_sdwa v196, v196, v198 dst_sel:DWORD dst_unused:UNUSED_PAD src0_sel:BYTE_0 src1_sel:DWORD
	v_sub_nc_u16 v198, v200, v202
	v_lshrrev_b32_e32 v202, 24, v197
	v_or_b32_sdwa v63, v198, v63 dst_sel:WORD_1 dst_unused:UNUSED_PAD src0_sel:BYTE_0 src1_sel:DWORD
	v_or_b32_sdwa v196, v196, v63 dst_sel:DWORD dst_unused:UNUSED_PAD src0_sel:WORD_0 src1_sel:DWORD
	v_ashrrev_i32_e32 v63, s16, v64
	v_dot4c_i32_i8 v216, v196, v36
	v_and_b32_e32 v64, 0x3030303, v63
	v_bfe_u32 v63, v63, 24, 2
	v_lshrrev_b16 v200, 8, v64
	v_lshrrev_b32_e32 v198, 16, v64
	v_sub_nc_u16 v64, v64, v197
	v_sub_nc_u16 v63, v63, v202
	;; [unrolled: 1-line block ×3, first 2 shown]
	v_add3_u32 v203, s19, v163, v124
	v_lshlrev_b16 v63, 8, v63
	v_lshlrev_b16 v197, 8, v197
	ds_read2_b32 v[204:205], v203 offset1:1
	v_or_b32_sdwa v64, v64, v197 dst_sel:DWORD dst_unused:UNUSED_PAD src0_sel:BYTE_0 src1_sel:DWORD
	v_sub_nc_u16 v197, v198, v201
	v_or_b32_sdwa v63, v197, v63 dst_sel:WORD_1 dst_unused:UNUSED_PAD src0_sel:BYTE_0 src1_sel:DWORD
	v_or_b32_sdwa v198, v64, v63 dst_sel:DWORD dst_unused:UNUSED_PAD src0_sel:WORD_0 src1_sel:DWORD
	v_add3_u32 v63, s18, v162, v123
	v_dot4c_i32_i8 v216, v198, v37
	ds_read_b32 v197, v63
	v_add_nc_u32_e32 v63, 0x3180, v199
	s_waitcnt lgkmcnt(1)
	v_ashrrev_i32_e32 v204, s1, v204
	ds_read2_b32 v[63:64], v63 offset1:1
	v_lshlrev_b32_e32 v204, 2, v204
	v_and_b32_e32 v204, 0x4040404, v204
	v_lshrrev_b32_e32 v207, 24, v204
	v_lshrrev_b16 v217, 8, v204
	v_lshrrev_b32_e32 v206, 16, v204
	s_waitcnt lgkmcnt(0)
	v_ashrrev_i32_e32 v200, s16, v63
	v_and_b32_e32 v201, 0x3030303, v200
	v_bfe_u32 v200, v200, 24, 2
	v_lshrrev_b16 v202, 8, v201
	v_lshrrev_b32_e32 v63, 16, v201
	v_sub_nc_u16 v200, v200, v207
	v_sub_nc_u16 v201, v201, v204
	;; [unrolled: 1-line block ×4, first 2 shown]
	v_lshlrev_b16 v200, 8, v200
	v_lshlrev_b16 v202, 8, v202
	v_or_b32_sdwa v63, v63, v200 dst_sel:WORD_1 dst_unused:UNUSED_PAD src0_sel:BYTE_0 src1_sel:DWORD
	v_or_b32_sdwa v201, v201, v202 dst_sel:DWORD dst_unused:UNUSED_PAD src0_sel:BYTE_0 src1_sel:DWORD
	v_ashrrev_i32_e32 v202, s1, v205
	v_or_b32_sdwa v204, v201, v63 dst_sel:DWORD dst_unused:UNUSED_PAD src0_sel:WORD_0 src1_sel:DWORD
	v_ashrrev_i32_e32 v63, s16, v64
	v_lshlrev_b32_e32 v202, 2, v202
	v_and_b32_e32 v64, 0x3030303, v63
	v_and_b32_e32 v202, 0x4040404, v202
	v_bfe_u32 v63, v63, 24, 2
	v_lshrrev_b16 v201, 8, v64
	v_lshrrev_b32_e32 v206, 24, v202
	v_lshrrev_b16 v207, 8, v202
	v_lshrrev_b32_e32 v200, 16, v64
	v_lshrrev_b32_e32 v205, 16, v202
	v_sub_nc_u16 v64, v64, v202
	v_sub_nc_u16 v63, v63, v206
	;; [unrolled: 1-line block ×4, first 2 shown]
	v_lshlrev_b16 v63, 8, v63
	v_lshlrev_b16 v201, 8, v201
	v_or_b32_sdwa v63, v200, v63 dst_sel:WORD_1 dst_unused:UNUSED_PAD src0_sel:BYTE_0 src1_sel:DWORD
	v_or_b32_sdwa v64, v64, v201 dst_sel:DWORD dst_unused:UNUSED_PAD src0_sel:BYTE_0 src1_sel:DWORD
	ds_read2_b32 v[200:201], v203 offset0:2 offset1:3
	v_or_b32_sdwa v205, v64, v63 dst_sel:DWORD dst_unused:UNUSED_PAD src0_sel:WORD_0 src1_sel:DWORD
	v_add_nc_u32_e32 v63, 0x3188, v199
	ds_read2_b32 v[63:64], v63 offset1:1
	s_waitcnt lgkmcnt(1)
	v_ashrrev_i32_e32 v200, s1, v200
	v_ashrrev_i32_e32 v201, s1, v201
	v_lshlrev_b32_e32 v200, 2, v200
	v_lshlrev_b32_e32 v201, 2, v201
	s_waitcnt lgkmcnt(0)
	v_ashrrev_i32_e32 v63, s16, v63
	v_and_b32_e32 v200, 0x4040404, v200
	v_and_b32_e32 v201, 0x4040404, v201
	;; [unrolled: 1-line block ×3, first 2 shown]
	v_lshrrev_b16 v219, 8, v200
	v_bfe_u32 v63, v63, 24, 2
	v_lshrrev_b32_e32 v217, 16, v200
	v_lshrrev_b32_e32 v218, 24, v200
	v_lshrrev_b16 v207, 8, v202
	v_lshrrev_b32_e32 v206, 16, v202
	v_sub_nc_u16 v200, v202, v200
	v_sub_nc_u16 v63, v63, v218
	;; [unrolled: 1-line block ×3, first 2 shown]
	v_lshrrev_b16 v218, 8, v201
	v_lshrrev_b32_e32 v207, 16, v201
	v_lshlrev_b16 v63, 8, v63
	v_lshlrev_b16 v202, 8, v202
	v_or_b32_sdwa v200, v200, v202 dst_sel:DWORD dst_unused:UNUSED_PAD src0_sel:BYTE_0 src1_sel:DWORD
	v_sub_nc_u16 v202, v206, v217
	v_lshrrev_b32_e32 v217, 24, v201
	v_or_b32_sdwa v63, v202, v63 dst_sel:WORD_1 dst_unused:UNUSED_PAD src0_sel:BYTE_0 src1_sel:DWORD
	v_or_b32_sdwa v206, v200, v63 dst_sel:DWORD dst_unused:UNUSED_PAD src0_sel:WORD_0 src1_sel:DWORD
	v_ashrrev_i32_e32 v63, s16, v64
	v_and_b32_e32 v64, 0x3030303, v63
	v_bfe_u32 v63, v63, 24, 2
	v_lshrrev_b16 v202, 8, v64
	v_lshrrev_b32_e32 v200, 16, v64
	v_sub_nc_u16 v64, v64, v201
	v_sub_nc_u16 v63, v63, v217
	;; [unrolled: 1-line block ×4, first 2 shown]
	v_lshlrev_b16 v63, 8, v63
	v_lshlrev_b16 v201, 8, v201
	v_or_b32_sdwa v63, v200, v63 dst_sel:WORD_1 dst_unused:UNUSED_PAD src0_sel:BYTE_0 src1_sel:DWORD
	v_or_b32_sdwa v64, v64, v201 dst_sel:DWORD dst_unused:UNUSED_PAD src0_sel:BYTE_0 src1_sel:DWORD
	ds_read2_b32 v[200:201], v203 offset0:4 offset1:5
	v_or_b32_sdwa v207, v64, v63 dst_sel:DWORD dst_unused:UNUSED_PAD src0_sel:WORD_0 src1_sel:DWORD
	v_add_nc_u32_e32 v63, 0x3190, v199
	ds_read2_b32 v[63:64], v63 offset1:1
	s_waitcnt lgkmcnt(1)
	v_ashrrev_i32_e32 v200, s1, v200
	v_ashrrev_i32_e32 v201, s1, v201
	v_lshlrev_b32_e32 v200, 2, v200
	v_lshlrev_b32_e32 v201, 2, v201
	s_waitcnt lgkmcnt(0)
	v_ashrrev_i32_e32 v63, s16, v63
	v_and_b32_e32 v200, 0x4040404, v200
	v_and_b32_e32 v201, 0x4040404, v201
	;; [unrolled: 1-line block ×3, first 2 shown]
	v_bfe_u32 v63, v63, 24, 2
	v_lshrrev_b16 v221, 8, v200
	v_lshrrev_b32_e32 v219, 16, v200
	v_lshrrev_b32_e32 v220, 24, v200
	v_lshrrev_b16 v218, 8, v202
	v_lshrrev_b32_e32 v217, 16, v202
	v_sub_nc_u16 v200, v202, v200
	v_sub_nc_u16 v63, v63, v220
	;; [unrolled: 1-line block ×3, first 2 shown]
	v_lshrrev_b16 v220, 8, v201
	v_lshrrev_b32_e32 v218, 16, v201
	v_lshlrev_b16 v63, 8, v63
	v_lshlrev_b16 v202, 8, v202
	v_or_b32_sdwa v200, v200, v202 dst_sel:DWORD dst_unused:UNUSED_PAD src0_sel:BYTE_0 src1_sel:DWORD
	v_sub_nc_u16 v202, v217, v219
	v_lshrrev_b32_e32 v219, 24, v201
	v_or_b32_sdwa v63, v202, v63 dst_sel:WORD_1 dst_unused:UNUSED_PAD src0_sel:BYTE_0 src1_sel:DWORD
	v_or_b32_sdwa v200, v200, v63 dst_sel:DWORD dst_unused:UNUSED_PAD src0_sel:WORD_0 src1_sel:DWORD
	v_ashrrev_i32_e32 v63, s16, v64
	v_and_b32_e32 v64, 0x3030303, v63
	v_bfe_u32 v63, v63, 24, 2
	v_lshrrev_b16 v217, 8, v64
	v_lshrrev_b32_e32 v202, 16, v64
	v_sub_nc_u16 v64, v64, v201
	v_sub_nc_u16 v63, v63, v219
	;; [unrolled: 1-line block ×3, first 2 shown]
	v_lshlrev_b16 v63, 8, v63
	v_lshlrev_b16 v201, 8, v201
	v_or_b32_sdwa v64, v64, v201 dst_sel:DWORD dst_unused:UNUSED_PAD src0_sel:BYTE_0 src1_sel:DWORD
	v_sub_nc_u16 v201, v202, v218
	ds_read2_b32 v[202:203], v203 offset0:6 offset1:7
	v_or_b32_sdwa v63, v201, v63 dst_sel:WORD_1 dst_unused:UNUSED_PAD src0_sel:BYTE_0 src1_sel:DWORD
	v_or_b32_sdwa v201, v64, v63 dst_sel:DWORD dst_unused:UNUSED_PAD src0_sel:WORD_0 src1_sel:DWORD
	v_add_nc_u32_e32 v63, 0x3198, v199
	ds_read2_b32 v[63:64], v63 offset1:1
	s_waitcnt lgkmcnt(1)
	v_ashrrev_i32_e32 v202, s1, v202
	v_ashrrev_i32_e32 v203, s1, v203
	s_add_i32 s1, s1, 1
	v_lshlrev_b32_e32 v202, 2, v202
	v_lshlrev_b32_e32 v203, 2, v203
	v_and_b32_e32 v202, 0x4040404, v202
	v_and_b32_e32 v203, 0x4040404, v203
	s_waitcnt lgkmcnt(0)
	v_ashrrev_i32_e32 v63, s16, v63
	v_lshrrev_b16 v221, 8, v202
	v_lshrrev_b32_e32 v219, 16, v202
	v_lshrrev_b32_e32 v220, 24, v202
	v_and_b32_e32 v199, 0x3030303, v63
	v_bfe_u32 v63, v63, 24, 2
	v_lshrrev_b16 v218, 8, v199
	v_lshrrev_b32_e32 v217, 16, v199
	v_sub_nc_u16 v199, v199, v202
	v_sub_nc_u16 v63, v63, v220
	v_lshrrev_b16 v220, 8, v203
	v_sub_nc_u16 v202, v218, v221
	v_lshrrev_b32_e32 v218, 16, v203
	v_mov_b32_e32 v221, 0
	v_lshlrev_b16 v63, 8, v63
	v_lshlrev_b16 v202, 8, v202
	v_or_b32_sdwa v199, v199, v202 dst_sel:DWORD dst_unused:UNUSED_PAD src0_sel:BYTE_0 src1_sel:DWORD
	v_sub_nc_u16 v202, v217, v219
	v_lshrrev_b32_e32 v219, 24, v203
	v_or_b32_sdwa v63, v202, v63 dst_sel:WORD_1 dst_unused:UNUSED_PAD src0_sel:BYTE_0 src1_sel:DWORD
	v_or_b32_sdwa v202, v199, v63 dst_sel:DWORD dst_unused:UNUSED_PAD src0_sel:WORD_0 src1_sel:DWORD
	v_ashrrev_i32_e32 v63, s16, v64
	v_and_b32_e32 v64, 0x3030303, v63
	v_bfe_u32 v63, v63, 24, 2
	v_lshrrev_b32_e32 v199, 16, v64
	v_lshrrev_b16 v217, 8, v64
	v_sub_nc_u16 v64, v64, v203
	v_sub_nc_u16 v63, v63, v219
	v_add_nc_u32_e32 v219, s17, v132
	v_sub_nc_u16 v199, v199, v218
	v_sub_nc_u16 v203, v217, v220
	v_mov_b32_e32 v218, 0
	v_mov_b32_e32 v220, 0
	v_lshlrev_b16 v63, 8, v63
	s_mov_b32 s17, s11
	v_lshlrev_b16 v203, 8, v203
	v_dot4c_i32_i8 v218, v204, v38
	v_dot4c_i32_i8 v220, v200, v34
	v_or_b32_sdwa v63, v199, v63 dst_sel:WORD_1 dst_unused:UNUSED_PAD src0_sel:BYTE_0 src1_sel:DWORD
	v_or_b32_sdwa v64, v64, v203 dst_sel:DWORD dst_unused:UNUSED_PAD src0_sel:BYTE_0 src1_sel:DWORD
	v_dot4c_i32_i8 v218, v205, v39
	v_dot4c_i32_i8 v220, v201, v35
	v_or_b32_sdwa v203, v64, v63 dst_sel:DWORD dst_unused:UNUSED_PAD src0_sel:WORD_0 src1_sel:DWORD
	v_add3_u32 v63, s18, v164, v125
	v_dot4c_i32_i8 v218, v206, v40
	v_dot4c_i32_i8 v220, v202, v36
	ds_read_b32 v199, v63
	v_dot4c_i32_i8 v218, v207, v41
	v_dot4c_i32_i8 v220, v203, v37
	ds_read_b128 v[34:37], v170 offset:1024
	ds_read_b128 v[38:41], v170 offset:1040
	s_waitcnt lgkmcnt(1)
	v_dot4c_i32_i8 v233, v172, v34
	s_waitcnt lgkmcnt(0)
	v_dot4c_i32_i8 v239, v176, v38
	v_dot4c_i32_i8 v228, v183, v34
	;; [unrolled: 1-line block ×31, first 2 shown]
	ds_read2_b32 v[63:64], v171 offset0:64 offset1:96
	ds_read_b128 v[34:37], v170 offset:2048
	ds_read_b128 v[38:41], v170 offset:2064
	s_waitcnt lgkmcnt(1)
	v_dot4c_i32_i8 v236, v172, v34
	s_waitcnt lgkmcnt(0)
	v_dot4c_i32_i8 v235, v176, v38
	v_dot4c_i32_i8 v231, v183, v34
	;; [unrolled: 1-line block ×31, first 2 shown]
	ds_read_b128 v[38:41], v170 offset:3072
	ds_read_b128 v[34:37], v170 offset:3088
	ds_read_u16 v217, v210 offset:33522
	s_waitcnt lgkmcnt(2)
	v_dot4c_i32_i8 v234, v172, v38
	s_waitcnt lgkmcnt(1)
	v_dot4c_i32_i8 v237, v176, v34
	s_waitcnt lgkmcnt(0)
	v_lshrrev_b16 v210, 8, v217
	v_bfe_i32 v217, v217, 0, 8
	v_dot4c_i32_i8 v234, v173, v39
	v_dot4c_i32_i8 v237, v177, v35
	v_bfe_i32 v210, v210, 0, 8
	v_mul_lo_u32 v233, v233, v217
	v_dot4c_i32_i8 v234, v174, v40
	v_dot4c_i32_i8 v237, v178, v36
	v_mul_lo_u32 v235, v235, v210
	v_mul_lo_u32 v211, v211, v210
	v_dot4c_i32_i8 v234, v175, v41
	v_dot4c_i32_i8 v237, v180, v37
	v_mul_lo_u32 v234, v234, v217
	v_mad_u64_u32 v[235:236], null, v236, v217, v[235:236]
	v_mad_u64_u32 v[236:237], null, v237, v210, v[234:235]
                                        ; kill: def $vgpr234 killed $sgpr0 killed $exec
	v_mad_u64_u32 v[237:238], null, v208, v217, v[211:212]
	v_mad_u64_u32 v[233:234], null, v239, v210, v[233:234]
	ds_read_u16 v212, v212 offset:34546
	v_mul_f32_e32 v208, v179, v62
	v_mul_f32_e32 v211, v179, v61
	;; [unrolled: 1-line block ×3, first 2 shown]
	v_cvt_f32_i32_e32 v237, v237
	v_mul_f32_e32 v234, v179, v64
	v_cvt_f32_i32_e32 v233, v233
	v_cvt_f32_i32_e32 v236, v236
	;; [unrolled: 1-line block ×3, first 2 shown]
	v_fma_f32 v3, v211, v237, v3
	v_mov_b32_e32 v237, 0
	v_fmac_f32_e32 v2, v208, v233
	v_mov_b32_e32 v208, 0
	v_mov_b32_e32 v233, 0
	v_fma_f32 v5, v238, v235, v5
	v_fma_f32 v4, v234, v236, v4
	v_mov_b32_e32 v234, 0
	v_dot4c_i32_i8 v208, v183, v38
	v_dot4c_i32_i8 v233, v181, v34
	v_mov_b32_e32 v235, 0
	s_waitcnt lgkmcnt(0)
	v_lshrrev_b16 v211, 8, v212
	v_bfe_i32 v212, v212, 0, 8
	v_dot4c_i32_i8 v208, v184, v39
	v_dot4c_i32_i8 v233, v182, v35
	v_mov_b32_e32 v236, 0
	v_bfe_i32 v211, v211, 0, 8
	v_mul_lo_u32 v228, v228, v212
	v_dot4c_i32_i8 v208, v187, v40
	v_dot4c_i32_i8 v233, v185, v36
	v_mov_b32_e32 v238, 0
	v_mul_lo_u32 v232, v232, v211
	v_mul_lo_u32 v213, v213, v211
	v_dot4c_i32_i8 v208, v189, v41
	v_dot4c_i32_i8 v233, v188, v37
	v_mad_u64_u32 v[227:228], null, v227, v211, v[228:229]
	v_mul_f32_e32 v228, v186, v64
	v_mul_lo_u32 v208, v208, v212
	v_mad_u64_u32 v[231:232], null, v231, v212, v[232:233]
	v_mov_b32_e32 v239, 0
	v_cvt_f32_i32_e32 v227, v227
	v_mad_u64_u32 v[232:233], null, v233, v211, v[208:209]
	v_mad_u64_u32 v[208:209], null, v209, v212, v[213:214]
	v_mul_f32_e32 v213, v186, v61
	v_mul_f32_e32 v209, v186, v62
	;; [unrolled: 1-line block ×3, first 2 shown]
	v_cvt_f32_i32_e32 v231, v231
	v_cvt_f32_i32_e32 v232, v232
	;; [unrolled: 1-line block ×3, first 2 shown]
	v_fmac_f32_e32 v30, v209, v227
	v_mov_b32_e32 v227, 0
	v_fma_f32 v32, v228, v232, v32
	v_mov_b32_e32 v228, 0
	v_fma_f32 v31, v213, v208, v31
	ds_read_u16 v208, v215 offset:35570
	v_dot4c_i32_i8 v227, v190, v38
	v_fma_f32 v33, v233, v231, v33
	v_dot4c_i32_i8 v228, v194, v34
	v_mov_b32_e32 v232, 0
	v_mov_b32_e32 v233, 0
	v_dot4c_i32_i8 v227, v191, v39
	v_dot4c_i32_i8 v228, v195, v35
	;; [unrolled: 1-line block ×6, first 2 shown]
	s_waitcnt lgkmcnt(0)
	v_lshrrev_b16 v209, 8, v208
	v_bfe_i32 v215, v208, 0, 8
	v_bfe_i32 v213, v209, 0, 8
	v_mul_lo_u32 v208, v226, v215
	v_mul_lo_u32 v226, v230, v213
	;; [unrolled: 1-line block ×4, first 2 shown]
                                        ; kill: def $vgpr227 killed $sgpr0 killed $exec
	v_mad_u64_u32 v[226:227], null, v229, v215, v[226:227]
	v_mad_u64_u32 v[227:228], null, v228, v213, v[216:217]
	;; [unrolled: 1-line block ×3, first 2 shown]
	v_mul_f32_e32 v214, v197, v61
                                        ; kill: def $vgpr209 killed $sgpr0 killed $exec
	v_mul_f32_e32 v216, v197, v64
	v_mad_u64_u32 v[208:209], null, v225, v213, v[208:209]
	v_mul_f32_e32 v209, v197, v62
	v_mul_f32_e32 v225, v197, v63
	v_cvt_f32_i32_e32 v228, v228
	v_cvt_f32_i32_e32 v227, v227
	;; [unrolled: 1-line block ×4, first 2 shown]
	v_fma_f32 v27, v214, v228, v27
	v_mov_b32_e32 v214, 0
	v_fma_f32 v28, v216, v227, v28
	v_mov_b32_e32 v227, 0
	v_fmac_f32_e32 v26, v209, v208
	v_fma_f32 v29, v225, v226, v29
	v_dot4c_i32_i8 v214, v204, v38
                                        ; kill: def $vgpr38 killed $sgpr0 killed $exec
	v_mov_b32_e32 v225, 0
	v_mov_b32_e32 v226, 0
	;; [unrolled: 1-line block ×3, first 2 shown]
	v_dot4c_i32_i8 v214, v205, v39
	v_mov_b32_e32 v39, 0
	v_dot4c_i32_i8 v214, v206, v40
	v_dot4c_i32_i8 v39, v200, v34
	ds_read_u16 v34, v219 offset:36594
	v_mov_b32_e32 v219, 0
	v_dot4c_i32_i8 v214, v207, v41
	v_dot4c_i32_i8 v39, v201, v35
	v_mul_f32_e32 v41, v199, v63
	v_mov_b32_e32 v63, 0
	v_dot4c_i32_i8 v39, v202, v36
	v_dot4c_i32_i8 v39, v203, v37
	s_waitcnt lgkmcnt(0)
	v_lshrrev_b16 v35, 8, v34
	v_bfe_i32 v209, v34, 0, 8
	v_bfe_i32 v208, v35, 0, 8
	v_mul_lo_u32 v36, v214, v209
	v_mul_lo_u32 v34, v222, v209
	v_mov_b32_e32 v214, 0
	v_mov_b32_e32 v222, 0
	v_mul_lo_u32 v37, v224, v208
	v_mul_lo_u32 v35, v220, v208
	v_mov_b32_e32 v220, 0
	v_mov_b32_e32 v224, 0
	v_mad_u64_u32 v[37:38], null, v223, v209, v[37:38]
	v_mov_b32_e32 v223, 0
	v_mad_u64_u32 v[38:39], null, v39, v208, v[36:37]
                                        ; kill: def $vgpr36 killed $sgpr0 killed $exec
	v_cvt_f32_i32_e32 v37, v37
	v_mad_u64_u32 v[35:36], null, v218, v209, v[35:36]
	v_mul_f32_e32 v36, v199, v61
	v_mov_b32_e32 v218, 0
	v_fma_f32 v25, v41, v37, v25
	v_cvt_f32_i32_e32 v38, v38
	v_mad_u64_u32 v[39:40], null, v221, v208, v[34:35]
	v_mul_f32_e32 v34, v199, v62
	v_mul_f32_e32 v40, v199, v64
	v_cvt_f32_i32_e32 v35, v35
	v_mov_b32_e32 v221, 0
	v_mov_b32_e32 v64, 0
	v_cvt_f32_i32_e32 v39, v39
	v_fma_f32 v24, v40, v38, v24
	v_fma_f32 v23, v36, v35, v23
	v_fmac_f32_e32 v22, v34, v39
	ds_read2_b32 v[61:62], v171 offset0:128 offset1:160
	ds_read_b128 v[38:41], v170 offset:4096
	ds_read_b128 v[34:37], v170 offset:4112
	s_waitcnt lgkmcnt(1)
	v_dot4c_i32_i8 v214, v172, v38
	v_dot4c_i32_i8 v220, v183, v38
	;; [unrolled: 1-line block ×4, first 2 shown]
	s_waitcnt lgkmcnt(0)
	v_dot4c_i32_i8 v227, v176, v34
	v_dot4c_i32_i8 v214, v173, v39
	;; [unrolled: 1-line block ×10, first 2 shown]
	v_mov_b32_e32 v40, 0
	v_dot4c_i32_i8 v221, v194, v34
	v_dot4c_i32_i8 v227, v177, v35
	;; [unrolled: 1-line block ×17, first 2 shown]
	v_mov_b32_e32 v41, 0
	v_dot4c_i32_i8 v40, v203, v37
	ds_read_b128 v[34:37], v170 offset:5120
	ds_read_b128 v[228:231], v170 offset:5136
	s_waitcnt lgkmcnt(1)
	v_dot4c_i32_i8 v232, v172, v34
	s_waitcnt lgkmcnt(0)
	v_dot4c_i32_i8 v233, v176, v228
	v_dot4c_i32_i8 v225, v183, v34
	;; [unrolled: 1-line block ×31, first 2 shown]
	ds_read2_b32 v[38:39], v171 offset0:192 offset1:224
	ds_read_b128 v[34:37], v170 offset:6144
	ds_read_b128 v[228:231], v170 offset:6160
	v_add_nc_u32_e32 v171, 4, v171
	v_mul_lo_u32 v41, v41, v209
	s_waitcnt lgkmcnt(1)
	v_dot4c_i32_i8 v234, v172, v34
	s_waitcnt lgkmcnt(0)
	v_dot4c_i32_i8 v235, v176, v228
	v_dot4c_i32_i8 v236, v183, v34
	;; [unrolled: 1-line block ×31, first 2 shown]
	ds_read_b128 v[228:231], v170 offset:7168
	ds_read_b128 v[34:37], v170 offset:7184
	v_add_nc_u32_e32 v170, 32, v170
	s_waitcnt lgkmcnt(1)
	v_dot4c_i32_i8 v240, v172, v228
	s_waitcnt lgkmcnt(0)
	v_dot4c_i32_i8 v241, v176, v34
                                        ; kill: def $vgpr176 killed $sgpr0 killed $exec
	v_mul_lo_u32 v172, v232, v217
	v_dot4c_i32_i8 v240, v173, v229
	v_dot4c_i32_i8 v241, v177, v35
	v_mul_lo_u32 v173, v227, v210
	v_dot4c_i32_i8 v240, v174, v230
	v_dot4c_i32_i8 v241, v178, v36
	;; [unrolled: 1-line block ×3, first 2 shown]
	v_mul_lo_u32 v175, v235, v210
	v_dot4c_i32_i8 v241, v180, v37
	v_mul_lo_u32 v174, v240, v217
	v_mad_u64_u32 v[175:176], null, v234, v217, v[175:176]
	v_mad_u64_u32 v[176:177], null, v241, v210, v[174:175]
                                        ; kill: def $vgpr174 killed $sgpr0 killed $exec
	v_cvt_f32_i32_e32 v175, v175
	v_mad_u64_u32 v[173:174], null, v214, v217, v[173:174]
	v_mul_f32_e32 v174, v179, v61
	v_cvt_f32_i32_e32 v176, v176
	v_mad_u64_u32 v[177:178], null, v233, v210, v[172:173]
	v_cvt_f32_i32_e32 v173, v173
	v_mul_f32_e32 v172, v179, v62
	v_mul_f32_e32 v178, v179, v39
	;; [unrolled: 1-line block ×3, first 2 shown]
	v_fma_f32 v19, v174, v173, v19
	v_mov_b32_e32 v174, 0
	v_cvt_f32_i32_e32 v177, v177
	v_fma_f32 v21, v179, v175, v21
	v_mul_lo_u32 v175, v237, v211
	v_fma_f32 v20, v178, v176, v20
	v_dot4c_i32_i8 v174, v183, v228
	v_fmac_f32_e32 v18, v172, v177
	v_mov_b32_e32 v177, 0
                                        ; kill: def $vgpr176 killed $sgpr0 killed $exec
	v_mul_lo_u32 v173, v222, v211
	v_mul_lo_u32 v172, v225, v212
	v_dot4c_i32_i8 v174, v184, v229
	v_mad_u64_u32 v[175:176], null, v236, v212, v[175:176]
	v_dot4c_i32_i8 v177, v181, v34
	v_mul_f32_e32 v179, v186, v38
	v_dot4c_i32_i8 v174, v187, v230
	v_dot4c_i32_i8 v177, v182, v35
	;; [unrolled: 1-line block ×4, first 2 shown]
	v_mul_lo_u32 v174, v174, v212
	v_dot4c_i32_i8 v177, v188, v37
	v_mad_u64_u32 v[176:177], null, v177, v211, v[174:175]
                                        ; kill: def $vgpr174 killed $sgpr0 killed $exec
	v_cvt_f32_i32_e32 v175, v175
	v_mad_u64_u32 v[173:174], null, v220, v212, v[173:174]
	v_mul_f32_e32 v174, v186, v61
	v_fma_f32 v17, v179, v175, v17
	v_mul_lo_u32 v175, v239, v213
	v_cvt_f32_i32_e32 v176, v176
	v_mul_f32_e32 v179, v197, v38
	v_mad_u64_u32 v[177:178], null, v226, v211, v[172:173]
	v_cvt_f32_i32_e32 v173, v173
	v_mul_f32_e32 v172, v186, v62
	v_mul_f32_e32 v178, v186, v39
	v_fma_f32 v15, v174, v173, v15
	v_mov_b32_e32 v174, 0
	v_cvt_f32_i32_e32 v177, v177
	v_fma_f32 v16, v178, v176, v16
                                        ; kill: def $vgpr176 killed $sgpr0 killed $exec
	v_mul_lo_u32 v173, v221, v213
	v_mad_u64_u32 v[175:176], null, v238, v215, v[175:176]
	v_dot4c_i32_i8 v174, v190, v228
	v_fmac_f32_e32 v14, v172, v177
	v_mov_b32_e32 v177, 0
	v_mul_lo_u32 v172, v224, v215
	v_dot4c_i32_i8 v174, v191, v229
	v_dot4c_i32_i8 v177, v194, v34
	;; [unrolled: 1-line block ×6, first 2 shown]
	v_mul_lo_u32 v174, v174, v215
	v_dot4c_i32_i8 v177, v198, v37
	v_mad_u64_u32 v[176:177], null, v177, v213, v[174:175]
                                        ; kill: def $vgpr174 killed $sgpr0 killed $exec
	v_cvt_f32_i32_e32 v175, v175
	v_mad_u64_u32 v[173:174], null, v219, v215, v[173:174]
	v_mul_f32_e32 v174, v197, v61
	v_fma_f32 v13, v179, v175, v13
	v_cvt_f32_i32_e32 v176, v176
	v_mad_u64_u32 v[177:178], null, v223, v213, v[172:173]
	v_mul_f32_e32 v172, v197, v62
	v_cvt_f32_i32_e32 v173, v173
	v_mul_f32_e32 v178, v197, v39
	v_mul_f32_e32 v39, v199, v39
	v_cvt_f32_i32_e32 v177, v177
	v_fma_f32 v11, v174, v173, v11
	v_mov_b32_e32 v173, 0
	v_fma_f32 v12, v178, v176, v12
	v_fmac_f32_e32 v10, v172, v177
	v_mov_b32_e32 v172, 0
	v_dot4c_i32_i8 v173, v200, v34
	v_mul_lo_u32 v34, v218, v208
	v_dot4c_i32_i8 v172, v204, v228
	v_dot4c_i32_i8 v173, v201, v35
                                        ; kill: def $vgpr35 killed $sgpr0 killed $exec
	s_add_i32 s0, s0, 2
	s_cmp_lt_u32 s11, 22
	v_dot4c_i32_i8 v172, v205, v229
	v_dot4c_i32_i8 v173, v202, v36
	v_mad_u64_u32 v[34:35], null, v216, v209, v[34:35]
	v_dot4c_i32_i8 v172, v206, v230
	v_dot4c_i32_i8 v173, v203, v37
	v_mul_lo_u32 v37, v40, v208
	v_mad_u64_u32 v[40:41], null, v64, v208, v[41:42]
	v_dot4c_i32_i8 v172, v207, v231
	v_mul_f32_e32 v41, v199, v61
	v_cvt_f32_i32_e32 v34, v34
	v_mul_lo_u32 v36, v172, v209
	v_cvt_f32_i32_e32 v40, v40
	v_mad_u64_u32 v[35:36], null, v173, v208, v[36:37]
	v_mad_u64_u32 v[36:37], null, v63, v209, v[37:38]
	v_mul_f32_e32 v37, v199, v62
	v_mul_f32_e32 v38, v199, v38
	v_cvt_f32_i32_e32 v35, v35
	v_fmac_f32_e32 v6, v37, v40
	v_cvt_f32_i32_e32 v36, v36
	v_fma_f32 v9, v38, v34, v9
	v_fma_f32 v8, v39, v35, v8
	;; [unrolled: 1-line block ×3, first 2 shown]
	s_cbranch_scc1 .LBB130_12
; %bb.13:                               ;   in Loop: Header=BB130_6 Depth=1
	v_add_nc_u32_e32 v170, s9, v128
	v_add_nc_u32_e32 v63, 12, v168
	s_barrier
	buffer_gl0_inv
	v_add_nc_u32_e32 v34, v170, v109
	v_add_nc_u32_e32 v36, v170, v111
	;; [unrolled: 1-line block ×5, first 2 shown]
	v_mad_u64_u32 v[63:64], null, v63, 36, s[2:3]
	v_mad_i64_i32 v[34:35], null, v34, 36, v[59:60]
	v_add_nc_u32_e32 v168, v170, v115
	v_mad_i64_i32 v[36:37], null, v36, 36, v[59:60]
	v_add_nc_u32_e32 v172, v170, v116
	;; [unrolled: 2-line block ×3, first 2 shown]
	v_mad_i64_i32 v[40:41], null, v40, 36, v[59:60]
	v_mad_i64_i32 v[61:62], null, v61, 36, v[59:60]
	;; [unrolled: 1-line block ×5, first 2 shown]
	s_clause 0x8
	global_load_dword v63, v[63:64], off
	global_load_dword v34, v[34:35], off offset:4
	global_load_dword v35, v[36:37], off offset:4
	;; [unrolled: 1-line block ×8, first 2 shown]
	v_mov_b32_e32 v168, v138
	v_mov_b32_e32 v170, v137
	s_mov_b32 s0, 24
	s_mov_b32 s16, 22
	;; [unrolled: 1-line block ×3, first 2 shown]
	s_waitcnt vmcnt(8)
	v_cvt_f32_f16_e32 v61, v63
	s_waitcnt vmcnt(7)
	ds_write_b32 v169, v34
	s_waitcnt vmcnt(6)
	ds_write_b32 v152, v35
	;; [unrolled: 2-line block ×8, first 2 shown]
	ds_write_b32 v108, v61
	s_waitcnt lgkmcnt(0)
	s_barrier
	buffer_gl0_inv
.LBB130_14:                             ;   Parent Loop BB130_6 Depth=1
                                        ; =>  This Inner Loop Header: Depth=2
	s_add_i32 s9, s16, 2
	ds_read2_b32 v[61:62], v170 offset1:32
	ds_read_b128 v[38:41], v168
	ds_read_b128 v[34:37], v168 offset:16
	s_lshr_b32 s17, s9, 4
	s_and_b32 s18, s9, 0x3ffffff8
	s_sub_i32 s11, s16, 22
	v_lshl_add_u32 v197, s18, 2, v118
	s_lshl_b32 s18, s17, 5
	s_lshl_b32 s17, s17, 2
	s_addk_i32 s18, 0x4200
	s_add_i32 s17, s17, 0x9380
	v_add3_u32 v176, s18, v165, v119
	ds_read2_b32 v[63:64], v197 offset1:1
	v_add3_u32 v184, s18, v159, v120
	v_add3_u32 v194, s18, v161, v122
	v_mov_b32_e32 v206, 0
	ds_read2_b32 v[171:172], v176 offset1:1
	v_mov_b32_e32 v209, 0
	v_mov_b32_e32 v207, 0
	;; [unrolled: 1-line block ×15, first 2 shown]
	s_waitcnt lgkmcnt(1)
	v_ashrrev_i32_e32 v63, s11, v63
	v_mov_b32_e32 v230, 0
	v_mov_b32_e32 v227, 0
	;; [unrolled: 1-line block ×3, first 2 shown]
	s_waitcnt lgkmcnt(0)
	v_ashrrev_i32_e32 v171, s1, v171
	v_and_b32_e32 v169, 0x3030303, v63
	v_bfe_u32 v63, v63, 24, 2
	v_ashrrev_i32_e32 v172, s1, v172
	v_mov_b32_e32 v221, 0
	v_lshlrev_b32_e32 v171, 2, v171
	v_lshrrev_b16 v174, 8, v169
	v_lshrrev_b32_e32 v173, 16, v169
	v_lshlrev_b32_e32 v172, 2, v172
	v_mov_b32_e32 v222, 0
	v_and_b32_e32 v171, 0x4040404, v171
	s_and_b32 s19, s0, -16
	v_mov_b32_e32 v232, 0
	v_and_b32_e32 v172, 0x4040404, v172
	s_add_i32 s16, s16, s19
	v_lshrrev_b16 v178, 8, v171
	v_lshrrev_b32_e32 v175, 16, v171
	v_lshrrev_b32_e32 v177, 24, v171
	v_sub_nc_u16 v169, v169, v171
	v_add_nc_u32_e32 v208, s16, v129
	v_sub_nc_u16 v171, v174, v178
	v_lshrrev_b32_e32 v174, 16, v172
	v_sub_nc_u16 v63, v63, v177
	v_lshrrev_b16 v177, 8, v172
	v_mov_b32_e32 v235, 0
	v_lshlrev_b16 v171, 8, v171
	v_add_nc_u32_e32 v210, s16, v130
	v_lshlrev_b16 v63, 8, v63
	v_add_nc_u32_e32 v213, s16, v131
	v_mov_b32_e32 v238, 0
	v_or_b32_sdwa v169, v169, v171 dst_sel:DWORD dst_unused:UNUSED_PAD src0_sel:BYTE_0 src1_sel:DWORD
	v_sub_nc_u16 v171, v173, v175
	v_lshrrev_b32_e32 v175, 24, v172
	v_mov_b32_e32 v239, 0
	v_or_b32_sdwa v63, v171, v63 dst_sel:WORD_1 dst_unused:UNUSED_PAD src0_sel:BYTE_0 src1_sel:DWORD
	v_or_b32_sdwa v169, v169, v63 dst_sel:DWORD dst_unused:UNUSED_PAD src0_sel:WORD_0 src1_sel:DWORD
	v_ashrrev_i32_e32 v63, s11, v64
	v_dot4c_i32_i8 v206, v169, v38
	v_and_b32_e32 v64, 0x3030303, v63
	v_bfe_u32 v63, v63, 24, 2
	v_lshrrev_b16 v173, 8, v64
	v_lshrrev_b32_e32 v171, 16, v64
	v_sub_nc_u16 v64, v64, v172
	v_sub_nc_u16 v63, v63, v175
	;; [unrolled: 1-line block ×4, first 2 shown]
	v_lshlrev_b16 v63, 8, v63
	v_lshlrev_b16 v172, 8, v172
	v_or_b32_sdwa v63, v171, v63 dst_sel:WORD_1 dst_unused:UNUSED_PAD src0_sel:BYTE_0 src1_sel:DWORD
	v_or_b32_sdwa v64, v64, v172 dst_sel:DWORD dst_unused:UNUSED_PAD src0_sel:BYTE_0 src1_sel:DWORD
	ds_read2_b32 v[172:173], v176 offset0:2 offset1:3
	v_or_b32_sdwa v171, v64, v63 dst_sel:DWORD dst_unused:UNUSED_PAD src0_sel:WORD_0 src1_sel:DWORD
	ds_read2_b32 v[63:64], v197 offset0:2 offset1:3
	v_dot4c_i32_i8 v206, v171, v39
	s_waitcnt lgkmcnt(1)
	v_ashrrev_i32_e32 v172, s1, v172
	v_ashrrev_i32_e32 v173, s1, v173
	s_waitcnt lgkmcnt(0)
	v_ashrrev_i32_e32 v63, s11, v63
	v_lshlrev_b32_e32 v172, 2, v172
	v_lshlrev_b32_e32 v173, 2, v173
	v_and_b32_e32 v174, 0x3030303, v63
	v_and_b32_e32 v172, 0x4040404, v172
	v_bfe_u32 v63, v63, 24, 2
	v_and_b32_e32 v173, 0x4040404, v173
	v_lshrrev_b16 v177, 8, v174
	v_lshrrev_b16 v180, 8, v172
	v_lshrrev_b32_e32 v175, 16, v174
	v_lshrrev_b32_e32 v178, 16, v172
	;; [unrolled: 1-line block ×3, first 2 shown]
	v_sub_nc_u16 v172, v174, v172
	v_sub_nc_u16 v174, v177, v180
	v_lshrrev_b32_e32 v177, 16, v173
	v_sub_nc_u16 v63, v63, v179
	v_lshrrev_b16 v179, 8, v173
	v_lshlrev_b16 v174, 8, v174
	v_lshlrev_b16 v63, 8, v63
	v_or_b32_sdwa v172, v172, v174 dst_sel:DWORD dst_unused:UNUSED_PAD src0_sel:BYTE_0 src1_sel:DWORD
	v_sub_nc_u16 v174, v175, v178
	v_lshrrev_b32_e32 v178, 24, v173
	v_or_b32_sdwa v63, v174, v63 dst_sel:WORD_1 dst_unused:UNUSED_PAD src0_sel:BYTE_0 src1_sel:DWORD
	v_or_b32_sdwa v172, v172, v63 dst_sel:DWORD dst_unused:UNUSED_PAD src0_sel:WORD_0 src1_sel:DWORD
	v_ashrrev_i32_e32 v63, s11, v64
	v_dot4c_i32_i8 v206, v172, v40
	v_and_b32_e32 v64, 0x3030303, v63
	v_bfe_u32 v63, v63, 24, 2
	v_lshrrev_b16 v175, 8, v64
	v_lshrrev_b32_e32 v174, 16, v64
	v_sub_nc_u16 v64, v64, v173
	v_sub_nc_u16 v63, v63, v178
	;; [unrolled: 1-line block ×3, first 2 shown]
	v_lshlrev_b16 v63, 8, v63
	v_lshlrev_b16 v173, 8, v173
	v_or_b32_sdwa v64, v64, v173 dst_sel:DWORD dst_unused:UNUSED_PAD src0_sel:BYTE_0 src1_sel:DWORD
	v_sub_nc_u16 v173, v174, v177
	ds_read2_b32 v[174:175], v176 offset0:4 offset1:5
	v_or_b32_sdwa v63, v173, v63 dst_sel:WORD_1 dst_unused:UNUSED_PAD src0_sel:BYTE_0 src1_sel:DWORD
	v_or_b32_sdwa v173, v64, v63 dst_sel:DWORD dst_unused:UNUSED_PAD src0_sel:WORD_0 src1_sel:DWORD
	ds_read2_b32 v[63:64], v197 offset0:4 offset1:5
	v_dot4c_i32_i8 v206, v173, v41
	s_waitcnt lgkmcnt(1)
	v_ashrrev_i32_e32 v174, s1, v174
	v_ashrrev_i32_e32 v175, s1, v175
	v_lshlrev_b32_e32 v174, 2, v174
	v_lshlrev_b32_e32 v175, 2, v175
	s_waitcnt lgkmcnt(0)
	v_ashrrev_i32_e32 v63, s11, v63
	v_and_b32_e32 v174, 0x4040404, v174
	v_and_b32_e32 v175, 0x4040404, v175
	;; [unrolled: 1-line block ×3, first 2 shown]
	v_bfe_u32 v63, v63, 24, 2
	v_lshrrev_b16 v182, 8, v174
	v_lshrrev_b32_e32 v180, 16, v174
	v_lshrrev_b32_e32 v181, 24, v174
	v_lshrrev_b16 v179, 8, v177
	v_lshrrev_b32_e32 v178, 16, v177
	v_sub_nc_u16 v174, v177, v174
	v_sub_nc_u16 v63, v63, v181
	;; [unrolled: 1-line block ×3, first 2 shown]
	v_lshrrev_b16 v181, 8, v175
	v_lshrrev_b32_e32 v179, 16, v175
	v_lshlrev_b16 v63, 8, v63
	v_lshlrev_b16 v177, 8, v177
	v_or_b32_sdwa v174, v174, v177 dst_sel:DWORD dst_unused:UNUSED_PAD src0_sel:BYTE_0 src1_sel:DWORD
	v_sub_nc_u16 v177, v178, v180
	v_lshrrev_b32_e32 v180, 24, v175
	v_or_b32_sdwa v63, v177, v63 dst_sel:WORD_1 dst_unused:UNUSED_PAD src0_sel:BYTE_0 src1_sel:DWORD
	v_or_b32_sdwa v174, v174, v63 dst_sel:DWORD dst_unused:UNUSED_PAD src0_sel:WORD_0 src1_sel:DWORD
	v_ashrrev_i32_e32 v63, s11, v64
	v_dot4c_i32_i8 v209, v174, v34
	v_and_b32_e32 v64, 0x3030303, v63
	v_bfe_u32 v63, v63, 24, 2
	v_lshrrev_b16 v178, 8, v64
	v_lshrrev_b32_e32 v177, 16, v64
	v_sub_nc_u16 v64, v64, v175
	v_sub_nc_u16 v63, v63, v180
	;; [unrolled: 1-line block ×3, first 2 shown]
	v_lshlrev_b16 v63, 8, v63
	v_lshlrev_b16 v175, 8, v175
	v_or_b32_sdwa v64, v64, v175 dst_sel:DWORD dst_unused:UNUSED_PAD src0_sel:BYTE_0 src1_sel:DWORD
	v_sub_nc_u16 v175, v177, v179
	ds_read2_b32 v[176:177], v176 offset0:6 offset1:7
	v_or_b32_sdwa v63, v175, v63 dst_sel:WORD_1 dst_unused:UNUSED_PAD src0_sel:BYTE_0 src1_sel:DWORD
	v_or_b32_sdwa v175, v64, v63 dst_sel:DWORD dst_unused:UNUSED_PAD src0_sel:WORD_0 src1_sel:DWORD
	ds_read2_b32 v[63:64], v197 offset0:6 offset1:7
	v_dot4c_i32_i8 v209, v175, v35
	s_waitcnt lgkmcnt(1)
	v_ashrrev_i32_e32 v176, s1, v176
	v_ashrrev_i32_e32 v177, s1, v177
	v_lshlrev_b32_e32 v176, 2, v176
	v_lshlrev_b32_e32 v177, 2, v177
	s_waitcnt lgkmcnt(0)
	v_ashrrev_i32_e32 v63, s11, v63
	v_and_b32_e32 v176, 0x4040404, v176
	v_and_b32_e32 v177, 0x4040404, v177
	v_and_b32_e32 v178, 0x3030303, v63
	v_bfe_u32 v63, v63, 24, 2
	v_lshrrev_b16 v183, 8, v176
	v_lshrrev_b32_e32 v181, 16, v176
	v_lshrrev_b32_e32 v182, 24, v176
	v_lshrrev_b16 v180, 8, v178
	v_lshrrev_b32_e32 v179, 16, v178
	v_sub_nc_u16 v176, v178, v176
	v_sub_nc_u16 v63, v63, v182
	;; [unrolled: 1-line block ×3, first 2 shown]
	v_lshrrev_b16 v182, 8, v177
	v_lshrrev_b32_e32 v180, 16, v177
	v_lshlrev_b16 v63, 8, v63
	v_lshlrev_b16 v178, 8, v178
	v_or_b32_sdwa v176, v176, v178 dst_sel:DWORD dst_unused:UNUSED_PAD src0_sel:BYTE_0 src1_sel:DWORD
	v_sub_nc_u16 v178, v179, v181
	v_lshrrev_b32_e32 v181, 24, v177
	v_or_b32_sdwa v63, v178, v63 dst_sel:WORD_1 dst_unused:UNUSED_PAD src0_sel:BYTE_0 src1_sel:DWORD
	v_or_b32_sdwa v176, v176, v63 dst_sel:DWORD dst_unused:UNUSED_PAD src0_sel:WORD_0 src1_sel:DWORD
	v_ashrrev_i32_e32 v63, s11, v64
	v_dot4c_i32_i8 v209, v176, v36
	v_and_b32_e32 v64, 0x3030303, v63
	v_bfe_u32 v63, v63, 24, 2
	v_lshrrev_b16 v179, 8, v64
	v_lshrrev_b32_e32 v178, 16, v64
	v_sub_nc_u16 v64, v64, v177
	v_sub_nc_u16 v63, v63, v181
	;; [unrolled: 1-line block ×3, first 2 shown]
	v_lshlrev_b16 v63, 8, v63
	v_lshlrev_b16 v177, 8, v177
	v_or_b32_sdwa v64, v64, v177 dst_sel:DWORD dst_unused:UNUSED_PAD src0_sel:BYTE_0 src1_sel:DWORD
	v_sub_nc_u16 v177, v178, v180
	ds_read2_b32 v[179:180], v184 offset1:1
	v_or_b32_sdwa v63, v177, v63 dst_sel:WORD_1 dst_unused:UNUSED_PAD src0_sel:BYTE_0 src1_sel:DWORD
	v_or_b32_sdwa v178, v64, v63 dst_sel:DWORD dst_unused:UNUSED_PAD src0_sel:WORD_0 src1_sel:DWORD
	v_add3_u32 v63, s17, v166, v167
	v_dot4c_i32_i8 v209, v178, v37
	ds_read_b32 v177, v63
	v_add_nc_u32_e32 v63, 0x1080, v197
	s_waitcnt lgkmcnt(1)
	v_ashrrev_i32_e32 v179, s1, v179
	ds_read2_b32 v[63:64], v63 offset1:1
	v_ashrrev_i32_e32 v180, s1, v180
	v_lshlrev_b32_e32 v179, 2, v179
	v_lshlrev_b32_e32 v180, 2, v180
	v_and_b32_e32 v179, 0x4040404, v179
	v_and_b32_e32 v180, 0x4040404, v180
	v_lshrrev_b16 v187, 8, v179
	v_lshrrev_b32_e32 v185, 16, v179
	v_lshrrev_b32_e32 v186, 24, v179
	s_waitcnt lgkmcnt(0)
	v_ashrrev_i32_e32 v63, s11, v63
	v_and_b32_e32 v181, 0x3030303, v63
	v_bfe_u32 v63, v63, 24, 2
	v_lshrrev_b16 v183, 8, v181
	v_lshrrev_b32_e32 v182, 16, v181
	v_sub_nc_u16 v179, v181, v179
	v_sub_nc_u16 v63, v63, v186
	v_lshrrev_b16 v186, 8, v180
	v_sub_nc_u16 v181, v183, v187
	v_lshrrev_b32_e32 v183, 16, v180
	v_lshlrev_b16 v63, 8, v63
	v_lshlrev_b16 v181, 8, v181
	v_or_b32_sdwa v179, v179, v181 dst_sel:DWORD dst_unused:UNUSED_PAD src0_sel:BYTE_0 src1_sel:DWORD
	v_sub_nc_u16 v181, v182, v185
	v_lshrrev_b32_e32 v185, 24, v180
	v_or_b32_sdwa v63, v181, v63 dst_sel:WORD_1 dst_unused:UNUSED_PAD src0_sel:BYTE_0 src1_sel:DWORD
	v_or_b32_sdwa v181, v179, v63 dst_sel:DWORD dst_unused:UNUSED_PAD src0_sel:WORD_0 src1_sel:DWORD
	v_ashrrev_i32_e32 v63, s11, v64
	v_dot4c_i32_i8 v207, v181, v38
	v_and_b32_e32 v64, 0x3030303, v63
	v_bfe_u32 v63, v63, 24, 2
	v_lshrrev_b16 v182, 8, v64
	v_lshrrev_b32_e32 v179, 16, v64
	v_sub_nc_u16 v64, v64, v180
	v_sub_nc_u16 v63, v63, v185
	;; [unrolled: 1-line block ×4, first 2 shown]
	v_lshlrev_b16 v63, 8, v63
	v_lshlrev_b16 v180, 8, v180
	v_or_b32_sdwa v63, v179, v63 dst_sel:WORD_1 dst_unused:UNUSED_PAD src0_sel:BYTE_0 src1_sel:DWORD
	v_or_b32_sdwa v64, v64, v180 dst_sel:DWORD dst_unused:UNUSED_PAD src0_sel:BYTE_0 src1_sel:DWORD
	ds_read2_b32 v[179:180], v184 offset0:2 offset1:3
	v_or_b32_sdwa v182, v64, v63 dst_sel:DWORD dst_unused:UNUSED_PAD src0_sel:WORD_0 src1_sel:DWORD
	v_add_nc_u32_e32 v63, 0x1088, v197
	v_dot4c_i32_i8 v207, v182, v39
	ds_read2_b32 v[63:64], v63 offset1:1
	s_waitcnt lgkmcnt(1)
	v_ashrrev_i32_e32 v179, s1, v179
	v_ashrrev_i32_e32 v180, s1, v180
	v_lshlrev_b32_e32 v179, 2, v179
	v_lshlrev_b32_e32 v180, 2, v180
	s_waitcnt lgkmcnt(0)
	v_ashrrev_i32_e32 v63, s11, v63
	v_and_b32_e32 v179, 0x4040404, v179
	v_and_b32_e32 v180, 0x4040404, v180
	;; [unrolled: 1-line block ×3, first 2 shown]
	v_bfe_u32 v63, v63, 24, 2
	v_lshrrev_b16 v189, 8, v179
	v_lshrrev_b32_e32 v187, 16, v179
	v_lshrrev_b32_e32 v188, 24, v179
	v_lshrrev_b16 v186, 8, v183
	v_lshrrev_b32_e32 v185, 16, v183
	v_sub_nc_u16 v179, v183, v179
	v_sub_nc_u16 v63, v63, v188
	;; [unrolled: 1-line block ×3, first 2 shown]
	v_lshrrev_b16 v188, 8, v180
	v_lshrrev_b32_e32 v186, 16, v180
	v_lshlrev_b16 v63, 8, v63
	v_lshlrev_b16 v183, 8, v183
	v_or_b32_sdwa v179, v179, v183 dst_sel:DWORD dst_unused:UNUSED_PAD src0_sel:BYTE_0 src1_sel:DWORD
	v_sub_nc_u16 v183, v185, v187
	v_lshrrev_b32_e32 v187, 24, v180
	v_or_b32_sdwa v63, v183, v63 dst_sel:WORD_1 dst_unused:UNUSED_PAD src0_sel:BYTE_0 src1_sel:DWORD
	v_or_b32_sdwa v185, v179, v63 dst_sel:DWORD dst_unused:UNUSED_PAD src0_sel:WORD_0 src1_sel:DWORD
	v_ashrrev_i32_e32 v63, s11, v64
	v_dot4c_i32_i8 v207, v185, v40
	v_and_b32_e32 v64, 0x3030303, v63
	v_bfe_u32 v63, v63, 24, 2
	v_lshrrev_b16 v183, 8, v64
	v_lshrrev_b32_e32 v179, 16, v64
	v_sub_nc_u16 v64, v64, v180
	v_sub_nc_u16 v63, v63, v187
	;; [unrolled: 1-line block ×4, first 2 shown]
	v_lshlrev_b16 v63, 8, v63
	v_lshlrev_b16 v180, 8, v180
	v_or_b32_sdwa v63, v179, v63 dst_sel:WORD_1 dst_unused:UNUSED_PAD src0_sel:BYTE_0 src1_sel:DWORD
	v_or_b32_sdwa v64, v64, v180 dst_sel:DWORD dst_unused:UNUSED_PAD src0_sel:BYTE_0 src1_sel:DWORD
	ds_read2_b32 v[179:180], v184 offset0:4 offset1:5
	v_or_b32_sdwa v187, v64, v63 dst_sel:DWORD dst_unused:UNUSED_PAD src0_sel:WORD_0 src1_sel:DWORD
	v_add_nc_u32_e32 v63, 0x1090, v197
	v_dot4c_i32_i8 v207, v187, v41
	ds_read2_b32 v[63:64], v63 offset1:1
	s_waitcnt lgkmcnt(1)
	v_ashrrev_i32_e32 v179, s1, v179
	v_ashrrev_i32_e32 v180, s1, v180
	v_lshlrev_b32_e32 v179, 2, v179
	v_lshlrev_b32_e32 v180, 2, v180
	s_waitcnt lgkmcnt(0)
	v_ashrrev_i32_e32 v63, s11, v63
	v_and_b32_e32 v179, 0x4040404, v179
	v_and_b32_e32 v180, 0x4040404, v180
	;; [unrolled: 1-line block ×3, first 2 shown]
	v_bfe_u32 v63, v63, 24, 2
	v_lshrrev_b16 v191, 8, v179
	v_lshrrev_b32_e32 v189, 16, v179
	v_lshrrev_b32_e32 v190, 24, v179
	v_lshrrev_b16 v188, 8, v183
	v_lshrrev_b32_e32 v186, 16, v183
	v_sub_nc_u16 v179, v183, v179
	v_sub_nc_u16 v63, v63, v190
	;; [unrolled: 1-line block ×3, first 2 shown]
	v_lshrrev_b16 v190, 8, v180
	v_lshrrev_b32_e32 v188, 16, v180
	v_lshlrev_b16 v63, 8, v63
	v_lshlrev_b16 v183, 8, v183
	v_or_b32_sdwa v179, v179, v183 dst_sel:DWORD dst_unused:UNUSED_PAD src0_sel:BYTE_0 src1_sel:DWORD
	v_sub_nc_u16 v183, v186, v189
	v_lshrrev_b32_e32 v189, 24, v180
	v_or_b32_sdwa v63, v183, v63 dst_sel:WORD_1 dst_unused:UNUSED_PAD src0_sel:BYTE_0 src1_sel:DWORD
	v_or_b32_sdwa v179, v179, v63 dst_sel:DWORD dst_unused:UNUSED_PAD src0_sel:WORD_0 src1_sel:DWORD
	v_ashrrev_i32_e32 v63, s11, v64
	v_dot4c_i32_i8 v211, v179, v34
	v_and_b32_e32 v64, 0x3030303, v63
	v_bfe_u32 v63, v63, 24, 2
	v_lshrrev_b16 v186, 8, v64
	v_lshrrev_b32_e32 v183, 16, v64
	v_sub_nc_u16 v64, v64, v180
	v_sub_nc_u16 v63, v63, v189
	;; [unrolled: 1-line block ×3, first 2 shown]
	v_lshlrev_b16 v63, 8, v63
	v_lshlrev_b16 v180, 8, v180
	v_or_b32_sdwa v64, v64, v180 dst_sel:DWORD dst_unused:UNUSED_PAD src0_sel:BYTE_0 src1_sel:DWORD
	v_sub_nc_u16 v180, v183, v188
	ds_read2_b32 v[183:184], v184 offset0:6 offset1:7
	v_or_b32_sdwa v63, v180, v63 dst_sel:WORD_1 dst_unused:UNUSED_PAD src0_sel:BYTE_0 src1_sel:DWORD
	v_or_b32_sdwa v180, v64, v63 dst_sel:DWORD dst_unused:UNUSED_PAD src0_sel:WORD_0 src1_sel:DWORD
	v_add_nc_u32_e32 v63, 0x1098, v197
	v_dot4c_i32_i8 v211, v180, v35
	ds_read2_b32 v[63:64], v63 offset1:1
	s_waitcnt lgkmcnt(1)
	v_ashrrev_i32_e32 v183, s1, v183
	v_ashrrev_i32_e32 v184, s1, v184
	v_lshlrev_b32_e32 v183, 2, v183
	v_lshlrev_b32_e32 v184, 2, v184
	v_and_b32_e32 v183, 0x4040404, v183
	v_and_b32_e32 v184, 0x4040404, v184
	s_waitcnt lgkmcnt(0)
	v_ashrrev_i32_e32 v63, s11, v63
	v_lshrrev_b16 v192, 8, v183
	v_lshrrev_b32_e32 v190, 16, v183
	v_lshrrev_b32_e32 v191, 24, v183
	v_and_b32_e32 v186, 0x3030303, v63
	v_bfe_u32 v63, v63, 24, 2
	v_lshrrev_b16 v189, 8, v186
	v_lshrrev_b32_e32 v188, 16, v186
	v_sub_nc_u16 v183, v186, v183
	v_sub_nc_u16 v63, v63, v191
	v_lshrrev_b16 v191, 8, v184
	v_sub_nc_u16 v186, v189, v192
	v_lshrrev_b32_e32 v189, 16, v184
	v_lshlrev_b16 v63, 8, v63
	v_lshlrev_b16 v186, 8, v186
	v_or_b32_sdwa v183, v183, v186 dst_sel:DWORD dst_unused:UNUSED_PAD src0_sel:BYTE_0 src1_sel:DWORD
	v_sub_nc_u16 v186, v188, v190
	v_lshrrev_b32_e32 v190, 24, v184
	v_or_b32_sdwa v63, v186, v63 dst_sel:WORD_1 dst_unused:UNUSED_PAD src0_sel:BYTE_0 src1_sel:DWORD
	v_or_b32_sdwa v183, v183, v63 dst_sel:DWORD dst_unused:UNUSED_PAD src0_sel:WORD_0 src1_sel:DWORD
	v_ashrrev_i32_e32 v63, s11, v64
	v_dot4c_i32_i8 v211, v183, v36
	v_and_b32_e32 v64, 0x3030303, v63
	v_bfe_u32 v63, v63, 24, 2
	v_lshrrev_b16 v188, 8, v64
	v_lshrrev_b32_e32 v186, 16, v64
	v_sub_nc_u16 v64, v64, v184
	v_sub_nc_u16 v63, v63, v190
	;; [unrolled: 1-line block ×3, first 2 shown]
	v_lshlrev_b16 v63, 8, v63
	v_lshlrev_b16 v184, 8, v184
	v_or_b32_sdwa v64, v64, v184 dst_sel:DWORD dst_unused:UNUSED_PAD src0_sel:BYTE_0 src1_sel:DWORD
	v_sub_nc_u16 v184, v186, v189
	ds_read2_b32 v[188:189], v194 offset1:1
	v_or_b32_sdwa v63, v184, v63 dst_sel:WORD_1 dst_unused:UNUSED_PAD src0_sel:BYTE_0 src1_sel:DWORD
	v_or_b32_sdwa v186, v64, v63 dst_sel:DWORD dst_unused:UNUSED_PAD src0_sel:WORD_0 src1_sel:DWORD
	v_add3_u32 v63, s17, v160, v121
	v_dot4c_i32_i8 v211, v186, v37
	ds_read_b32 v184, v63
	v_add_nc_u32_e32 v63, 0x2100, v197
	s_waitcnt lgkmcnt(1)
	v_ashrrev_i32_e32 v188, s1, v188
	ds_read2_b32 v[63:64], v63 offset1:1
	v_ashrrev_i32_e32 v189, s1, v189
	v_lshlrev_b32_e32 v188, 2, v188
	v_lshlrev_b32_e32 v189, 2, v189
	v_and_b32_e32 v188, 0x4040404, v188
	v_and_b32_e32 v189, 0x4040404, v189
	v_lshrrev_b16 v196, 8, v188
	v_lshrrev_b32_e32 v193, 16, v188
	v_lshrrev_b32_e32 v195, 24, v188
	s_waitcnt lgkmcnt(0)
	v_ashrrev_i32_e32 v63, s11, v63
	v_and_b32_e32 v190, 0x3030303, v63
	v_bfe_u32 v63, v63, 24, 2
	v_lshrrev_b16 v192, 8, v190
	v_lshrrev_b32_e32 v191, 16, v190
	v_sub_nc_u16 v188, v190, v188
	v_sub_nc_u16 v63, v63, v195
	v_lshrrev_b16 v195, 8, v189
	v_sub_nc_u16 v190, v192, v196
	v_lshrrev_b32_e32 v192, 16, v189
	v_lshlrev_b16 v63, 8, v63
	v_lshlrev_b16 v190, 8, v190
	v_or_b32_sdwa v188, v188, v190 dst_sel:DWORD dst_unused:UNUSED_PAD src0_sel:BYTE_0 src1_sel:DWORD
	v_sub_nc_u16 v190, v191, v193
	v_lshrrev_b32_e32 v193, 24, v189
	v_or_b32_sdwa v63, v190, v63 dst_sel:WORD_1 dst_unused:UNUSED_PAD src0_sel:BYTE_0 src1_sel:DWORD
	v_or_b32_sdwa v188, v188, v63 dst_sel:DWORD dst_unused:UNUSED_PAD src0_sel:WORD_0 src1_sel:DWORD
	v_ashrrev_i32_e32 v63, s11, v64
	v_dot4c_i32_i8 v212, v188, v38
	v_and_b32_e32 v64, 0x3030303, v63
	v_bfe_u32 v63, v63, 24, 2
	v_lshrrev_b16 v191, 8, v64
	v_lshrrev_b32_e32 v190, 16, v64
	v_sub_nc_u16 v64, v64, v189
	v_sub_nc_u16 v63, v63, v193
	v_sub_nc_u16 v189, v191, v195
	v_lshlrev_b16 v63, 8, v63
	v_lshlrev_b16 v189, 8, v189
	v_or_b32_sdwa v64, v64, v189 dst_sel:DWORD dst_unused:UNUSED_PAD src0_sel:BYTE_0 src1_sel:DWORD
	v_sub_nc_u16 v189, v190, v192
	ds_read2_b32 v[190:191], v194 offset0:2 offset1:3
	v_or_b32_sdwa v63, v189, v63 dst_sel:WORD_1 dst_unused:UNUSED_PAD src0_sel:BYTE_0 src1_sel:DWORD
	v_or_b32_sdwa v189, v64, v63 dst_sel:DWORD dst_unused:UNUSED_PAD src0_sel:WORD_0 src1_sel:DWORD
	v_add_nc_u32_e32 v63, 0x2108, v197
	v_dot4c_i32_i8 v212, v189, v39
	ds_read2_b32 v[63:64], v63 offset1:1
	s_waitcnt lgkmcnt(1)
	v_ashrrev_i32_e32 v190, s1, v190
	v_ashrrev_i32_e32 v191, s1, v191
	v_lshlrev_b32_e32 v190, 2, v190
	v_lshlrev_b32_e32 v191, 2, v191
	v_and_b32_e32 v190, 0x4040404, v190
	v_and_b32_e32 v191, 0x4040404, v191
	s_waitcnt lgkmcnt(0)
	v_ashrrev_i32_e32 v63, s11, v63
	v_lshrrev_b16 v199, 8, v190
	v_lshrrev_b32_e32 v196, 16, v190
	v_lshrrev_b32_e32 v198, 24, v190
	v_and_b32_e32 v192, 0x3030303, v63
	v_bfe_u32 v63, v63, 24, 2
	v_lshrrev_b16 v195, 8, v192
	v_lshrrev_b32_e32 v193, 16, v192
	v_sub_nc_u16 v190, v192, v190
	v_sub_nc_u16 v63, v63, v198
	v_lshrrev_b16 v198, 8, v191
	v_sub_nc_u16 v192, v195, v199
	v_lshrrev_b32_e32 v195, 16, v191
	v_lshlrev_b16 v63, 8, v63
	v_lshlrev_b16 v192, 8, v192
	v_or_b32_sdwa v190, v190, v192 dst_sel:DWORD dst_unused:UNUSED_PAD src0_sel:BYTE_0 src1_sel:DWORD
	v_sub_nc_u16 v192, v193, v196
	v_lshrrev_b32_e32 v196, 24, v191
	v_or_b32_sdwa v63, v192, v63 dst_sel:WORD_1 dst_unused:UNUSED_PAD src0_sel:BYTE_0 src1_sel:DWORD
	v_or_b32_sdwa v190, v190, v63 dst_sel:DWORD dst_unused:UNUSED_PAD src0_sel:WORD_0 src1_sel:DWORD
	v_ashrrev_i32_e32 v63, s11, v64
	v_dot4c_i32_i8 v212, v190, v40
	v_and_b32_e32 v64, 0x3030303, v63
	v_bfe_u32 v63, v63, 24, 2
	v_lshrrev_b16 v193, 8, v64
	v_lshrrev_b32_e32 v192, 16, v64
	v_sub_nc_u16 v64, v64, v191
	v_sub_nc_u16 v63, v63, v196
	v_sub_nc_u16 v191, v193, v198
	v_lshlrev_b16 v63, 8, v63
	v_lshlrev_b16 v191, 8, v191
	v_or_b32_sdwa v64, v64, v191 dst_sel:DWORD dst_unused:UNUSED_PAD src0_sel:BYTE_0 src1_sel:DWORD
	v_sub_nc_u16 v191, v192, v195
	ds_read2_b32 v[192:193], v194 offset0:4 offset1:5
	v_or_b32_sdwa v63, v191, v63 dst_sel:WORD_1 dst_unused:UNUSED_PAD src0_sel:BYTE_0 src1_sel:DWORD
	v_or_b32_sdwa v191, v64, v63 dst_sel:DWORD dst_unused:UNUSED_PAD src0_sel:WORD_0 src1_sel:DWORD
	v_add_nc_u32_e32 v63, 0x2110, v197
	v_dot4c_i32_i8 v212, v191, v41
	ds_read2_b32 v[63:64], v63 offset1:1
	s_waitcnt lgkmcnt(1)
	v_ashrrev_i32_e32 v192, s1, v192
	v_ashrrev_i32_e32 v193, s1, v193
	v_lshlrev_b32_e32 v192, 2, v192
	v_lshlrev_b32_e32 v193, 2, v193
	v_and_b32_e32 v192, 0x4040404, v192
	v_and_b32_e32 v193, 0x4040404, v193
	s_waitcnt lgkmcnt(0)
	v_ashrrev_i32_e32 v63, s11, v63
	v_lshrrev_b16 v201, 8, v192
	v_lshrrev_b32_e32 v199, 16, v192
	v_lshrrev_b32_e32 v200, 24, v192
	;; [unrolled: 47-line block ×3, first 2 shown]
	v_and_b32_e32 v196, 0x3030303, v63
	v_bfe_u32 v63, v63, 24, 2
	v_lshrrev_b16 v199, 8, v196
	v_lshrrev_b32_e32 v198, 16, v196
	v_sub_nc_u16 v194, v196, v194
	v_sub_nc_u16 v63, v63, v201
	v_lshrrev_b16 v201, 8, v195
	v_sub_nc_u16 v196, v199, v202
	v_lshrrev_b32_e32 v199, 16, v195
	v_lshlrev_b16 v63, 8, v63
	v_lshlrev_b16 v196, 8, v196
	v_or_b32_sdwa v194, v194, v196 dst_sel:DWORD dst_unused:UNUSED_PAD src0_sel:BYTE_0 src1_sel:DWORD
	v_sub_nc_u16 v196, v198, v200
	v_lshrrev_b32_e32 v200, 24, v195
	v_or_b32_sdwa v63, v196, v63 dst_sel:WORD_1 dst_unused:UNUSED_PAD src0_sel:BYTE_0 src1_sel:DWORD
	v_or_b32_sdwa v194, v194, v63 dst_sel:DWORD dst_unused:UNUSED_PAD src0_sel:WORD_0 src1_sel:DWORD
	v_ashrrev_i32_e32 v63, s11, v64
	v_dot4c_i32_i8 v214, v194, v36
	v_and_b32_e32 v64, 0x3030303, v63
	v_bfe_u32 v63, v63, 24, 2
	v_lshrrev_b16 v198, 8, v64
	v_lshrrev_b32_e32 v196, 16, v64
	v_sub_nc_u16 v64, v64, v195
	v_sub_nc_u16 v63, v63, v200
	;; [unrolled: 1-line block ×3, first 2 shown]
	v_add3_u32 v201, s18, v163, v124
	v_lshlrev_b16 v63, 8, v63
	v_lshlrev_b16 v195, 8, v195
	ds_read2_b32 v[202:203], v201 offset1:1
	v_or_b32_sdwa v64, v64, v195 dst_sel:DWORD dst_unused:UNUSED_PAD src0_sel:BYTE_0 src1_sel:DWORD
	v_sub_nc_u16 v195, v196, v199
	v_or_b32_sdwa v63, v195, v63 dst_sel:WORD_1 dst_unused:UNUSED_PAD src0_sel:BYTE_0 src1_sel:DWORD
	v_or_b32_sdwa v196, v64, v63 dst_sel:DWORD dst_unused:UNUSED_PAD src0_sel:WORD_0 src1_sel:DWORD
	v_add3_u32 v63, s17, v162, v123
	v_dot4c_i32_i8 v214, v196, v37
	ds_read_b32 v195, v63
	v_add_nc_u32_e32 v63, 0x3180, v197
	s_waitcnt lgkmcnt(1)
	v_ashrrev_i32_e32 v202, s1, v202
	ds_read2_b32 v[63:64], v63 offset1:1
	v_lshlrev_b32_e32 v202, 2, v202
	v_and_b32_e32 v202, 0x4040404, v202
	v_lshrrev_b32_e32 v205, 24, v202
	v_lshrrev_b16 v215, 8, v202
	v_lshrrev_b32_e32 v204, 16, v202
	s_waitcnt lgkmcnt(0)
	v_ashrrev_i32_e32 v198, s11, v63
	v_and_b32_e32 v199, 0x3030303, v198
	v_bfe_u32 v198, v198, 24, 2
	v_lshrrev_b16 v200, 8, v199
	v_lshrrev_b32_e32 v63, 16, v199
	v_sub_nc_u16 v198, v198, v205
	v_sub_nc_u16 v199, v199, v202
	;; [unrolled: 1-line block ×4, first 2 shown]
	v_lshlrev_b16 v198, 8, v198
	v_lshlrev_b16 v200, 8, v200
	v_or_b32_sdwa v63, v63, v198 dst_sel:WORD_1 dst_unused:UNUSED_PAD src0_sel:BYTE_0 src1_sel:DWORD
	v_or_b32_sdwa v199, v199, v200 dst_sel:DWORD dst_unused:UNUSED_PAD src0_sel:BYTE_0 src1_sel:DWORD
	v_ashrrev_i32_e32 v200, s1, v203
	v_or_b32_sdwa v202, v199, v63 dst_sel:DWORD dst_unused:UNUSED_PAD src0_sel:WORD_0 src1_sel:DWORD
	v_ashrrev_i32_e32 v63, s11, v64
	v_lshlrev_b32_e32 v200, 2, v200
	v_and_b32_e32 v64, 0x3030303, v63
	v_and_b32_e32 v200, 0x4040404, v200
	v_bfe_u32 v63, v63, 24, 2
	v_lshrrev_b16 v199, 8, v64
	v_lshrrev_b32_e32 v204, 24, v200
	v_lshrrev_b16 v205, 8, v200
	v_lshrrev_b32_e32 v198, 16, v64
	v_lshrrev_b32_e32 v203, 16, v200
	v_sub_nc_u16 v64, v64, v200
	v_sub_nc_u16 v63, v63, v204
	;; [unrolled: 1-line block ×4, first 2 shown]
	v_lshlrev_b16 v63, 8, v63
	v_lshlrev_b16 v199, 8, v199
	v_or_b32_sdwa v63, v198, v63 dst_sel:WORD_1 dst_unused:UNUSED_PAD src0_sel:BYTE_0 src1_sel:DWORD
	v_or_b32_sdwa v64, v64, v199 dst_sel:DWORD dst_unused:UNUSED_PAD src0_sel:BYTE_0 src1_sel:DWORD
	ds_read2_b32 v[198:199], v201 offset0:2 offset1:3
	v_or_b32_sdwa v203, v64, v63 dst_sel:DWORD dst_unused:UNUSED_PAD src0_sel:WORD_0 src1_sel:DWORD
	v_add_nc_u32_e32 v63, 0x3188, v197
	ds_read2_b32 v[63:64], v63 offset1:1
	s_waitcnt lgkmcnt(1)
	v_ashrrev_i32_e32 v198, s1, v198
	v_ashrrev_i32_e32 v199, s1, v199
	v_lshlrev_b32_e32 v198, 2, v198
	v_lshlrev_b32_e32 v199, 2, v199
	s_waitcnt lgkmcnt(0)
	v_ashrrev_i32_e32 v63, s11, v63
	v_and_b32_e32 v198, 0x4040404, v198
	v_and_b32_e32 v199, 0x4040404, v199
	;; [unrolled: 1-line block ×3, first 2 shown]
	v_lshrrev_b16 v217, 8, v198
	v_bfe_u32 v63, v63, 24, 2
	v_lshrrev_b32_e32 v215, 16, v198
	v_lshrrev_b32_e32 v216, 24, v198
	v_lshrrev_b16 v205, 8, v200
	v_lshrrev_b32_e32 v204, 16, v200
	v_sub_nc_u16 v198, v200, v198
	v_sub_nc_u16 v63, v63, v216
	v_sub_nc_u16 v200, v205, v217
	v_lshrrev_b16 v216, 8, v199
	v_lshrrev_b32_e32 v205, 16, v199
	v_lshlrev_b16 v63, 8, v63
	v_lshlrev_b16 v200, 8, v200
	v_or_b32_sdwa v198, v198, v200 dst_sel:DWORD dst_unused:UNUSED_PAD src0_sel:BYTE_0 src1_sel:DWORD
	v_sub_nc_u16 v200, v204, v215
	v_lshrrev_b32_e32 v215, 24, v199
	v_or_b32_sdwa v63, v200, v63 dst_sel:WORD_1 dst_unused:UNUSED_PAD src0_sel:BYTE_0 src1_sel:DWORD
	v_or_b32_sdwa v204, v198, v63 dst_sel:DWORD dst_unused:UNUSED_PAD src0_sel:WORD_0 src1_sel:DWORD
	v_ashrrev_i32_e32 v63, s11, v64
	v_and_b32_e32 v64, 0x3030303, v63
	v_bfe_u32 v63, v63, 24, 2
	v_lshrrev_b16 v200, 8, v64
	v_lshrrev_b32_e32 v198, 16, v64
	v_sub_nc_u16 v64, v64, v199
	v_sub_nc_u16 v63, v63, v215
	;; [unrolled: 1-line block ×4, first 2 shown]
	v_lshlrev_b16 v63, 8, v63
	v_lshlrev_b16 v199, 8, v199
	v_or_b32_sdwa v63, v198, v63 dst_sel:WORD_1 dst_unused:UNUSED_PAD src0_sel:BYTE_0 src1_sel:DWORD
	v_or_b32_sdwa v64, v64, v199 dst_sel:DWORD dst_unused:UNUSED_PAD src0_sel:BYTE_0 src1_sel:DWORD
	ds_read2_b32 v[198:199], v201 offset0:4 offset1:5
	v_or_b32_sdwa v205, v64, v63 dst_sel:DWORD dst_unused:UNUSED_PAD src0_sel:WORD_0 src1_sel:DWORD
	v_add_nc_u32_e32 v63, 0x3190, v197
	ds_read2_b32 v[63:64], v63 offset1:1
	s_waitcnt lgkmcnt(1)
	v_ashrrev_i32_e32 v198, s1, v198
	v_ashrrev_i32_e32 v199, s1, v199
	v_lshlrev_b32_e32 v198, 2, v198
	v_lshlrev_b32_e32 v199, 2, v199
	s_waitcnt lgkmcnt(0)
	v_ashrrev_i32_e32 v63, s11, v63
	v_and_b32_e32 v198, 0x4040404, v198
	v_and_b32_e32 v199, 0x4040404, v199
	;; [unrolled: 1-line block ×3, first 2 shown]
	v_bfe_u32 v63, v63, 24, 2
	v_lshrrev_b16 v219, 8, v198
	v_lshrrev_b32_e32 v217, 16, v198
	v_lshrrev_b32_e32 v218, 24, v198
	v_lshrrev_b16 v216, 8, v200
	v_lshrrev_b32_e32 v215, 16, v200
	v_sub_nc_u16 v198, v200, v198
	v_sub_nc_u16 v63, v63, v218
	;; [unrolled: 1-line block ×3, first 2 shown]
	v_lshrrev_b16 v218, 8, v199
	v_lshrrev_b32_e32 v216, 16, v199
	v_lshlrev_b16 v63, 8, v63
	v_lshlrev_b16 v200, 8, v200
	v_or_b32_sdwa v198, v198, v200 dst_sel:DWORD dst_unused:UNUSED_PAD src0_sel:BYTE_0 src1_sel:DWORD
	v_sub_nc_u16 v200, v215, v217
	v_lshrrev_b32_e32 v217, 24, v199
	v_or_b32_sdwa v63, v200, v63 dst_sel:WORD_1 dst_unused:UNUSED_PAD src0_sel:BYTE_0 src1_sel:DWORD
	v_or_b32_sdwa v198, v198, v63 dst_sel:DWORD dst_unused:UNUSED_PAD src0_sel:WORD_0 src1_sel:DWORD
	v_ashrrev_i32_e32 v63, s11, v64
	v_and_b32_e32 v64, 0x3030303, v63
	v_bfe_u32 v63, v63, 24, 2
	v_lshrrev_b16 v215, 8, v64
	v_lshrrev_b32_e32 v200, 16, v64
	v_sub_nc_u16 v64, v64, v199
	v_sub_nc_u16 v63, v63, v217
	;; [unrolled: 1-line block ×3, first 2 shown]
	v_lshlrev_b16 v63, 8, v63
	v_lshlrev_b16 v199, 8, v199
	v_or_b32_sdwa v64, v64, v199 dst_sel:DWORD dst_unused:UNUSED_PAD src0_sel:BYTE_0 src1_sel:DWORD
	v_sub_nc_u16 v199, v200, v216
	ds_read2_b32 v[200:201], v201 offset0:6 offset1:7
	v_or_b32_sdwa v63, v199, v63 dst_sel:WORD_1 dst_unused:UNUSED_PAD src0_sel:BYTE_0 src1_sel:DWORD
	v_or_b32_sdwa v199, v64, v63 dst_sel:DWORD dst_unused:UNUSED_PAD src0_sel:WORD_0 src1_sel:DWORD
	v_add_nc_u32_e32 v63, 0x3198, v197
	ds_read2_b32 v[63:64], v63 offset1:1
	s_waitcnt lgkmcnt(1)
	v_ashrrev_i32_e32 v200, s1, v200
	v_ashrrev_i32_e32 v201, s1, v201
	s_add_i32 s1, s1, 1
	v_lshlrev_b32_e32 v200, 2, v200
	v_lshlrev_b32_e32 v201, 2, v201
	v_and_b32_e32 v200, 0x4040404, v200
	v_and_b32_e32 v201, 0x4040404, v201
	s_waitcnt lgkmcnt(0)
	v_ashrrev_i32_e32 v63, s11, v63
	v_lshrrev_b16 v219, 8, v200
	v_lshrrev_b32_e32 v217, 16, v200
	v_lshrrev_b32_e32 v218, 24, v200
	v_and_b32_e32 v197, 0x3030303, v63
	v_bfe_u32 v63, v63, 24, 2
	v_lshrrev_b16 v216, 8, v197
	v_lshrrev_b32_e32 v215, 16, v197
	v_sub_nc_u16 v197, v197, v200
	v_sub_nc_u16 v63, v63, v218
	v_lshrrev_b16 v218, 8, v201
	v_sub_nc_u16 v200, v216, v219
	v_lshrrev_b32_e32 v216, 16, v201
	v_mov_b32_e32 v219, 0
	v_lshlrev_b16 v63, 8, v63
	v_lshlrev_b16 v200, 8, v200
	v_or_b32_sdwa v197, v197, v200 dst_sel:DWORD dst_unused:UNUSED_PAD src0_sel:BYTE_0 src1_sel:DWORD
	v_sub_nc_u16 v200, v215, v217
	v_lshrrev_b32_e32 v217, 24, v201
	v_or_b32_sdwa v63, v200, v63 dst_sel:WORD_1 dst_unused:UNUSED_PAD src0_sel:BYTE_0 src1_sel:DWORD
	v_or_b32_sdwa v200, v197, v63 dst_sel:DWORD dst_unused:UNUSED_PAD src0_sel:WORD_0 src1_sel:DWORD
	v_ashrrev_i32_e32 v63, s11, v64
	v_and_b32_e32 v64, 0x3030303, v63
	v_bfe_u32 v63, v63, 24, 2
	v_lshrrev_b32_e32 v197, 16, v64
	v_lshrrev_b16 v215, 8, v64
	v_sub_nc_u16 v64, v64, v201
	v_sub_nc_u16 v63, v63, v217
	v_add_nc_u32_e32 v217, s16, v132
	v_sub_nc_u16 v197, v197, v216
	v_sub_nc_u16 v201, v215, v218
	v_mov_b32_e32 v216, 0
	v_mov_b32_e32 v218, 0
	v_lshlrev_b16 v63, 8, v63
	s_mov_b32 s16, s9
	v_lshlrev_b16 v201, 8, v201
	v_dot4c_i32_i8 v216, v202, v38
	v_dot4c_i32_i8 v218, v198, v34
	v_or_b32_sdwa v63, v197, v63 dst_sel:WORD_1 dst_unused:UNUSED_PAD src0_sel:BYTE_0 src1_sel:DWORD
	v_or_b32_sdwa v64, v64, v201 dst_sel:DWORD dst_unused:UNUSED_PAD src0_sel:BYTE_0 src1_sel:DWORD
	v_dot4c_i32_i8 v216, v203, v39
	v_dot4c_i32_i8 v218, v199, v35
	v_or_b32_sdwa v201, v64, v63 dst_sel:DWORD dst_unused:UNUSED_PAD src0_sel:WORD_0 src1_sel:DWORD
	v_add3_u32 v63, s17, v164, v125
	v_dot4c_i32_i8 v216, v204, v40
	v_dot4c_i32_i8 v218, v200, v36
	ds_read_b32 v197, v63
	v_dot4c_i32_i8 v216, v205, v41
	v_dot4c_i32_i8 v218, v201, v37
	ds_read_b128 v[34:37], v168 offset:1024
	ds_read_b128 v[38:41], v168 offset:1040
	s_waitcnt lgkmcnt(1)
	v_dot4c_i32_i8 v231, v169, v34
	s_waitcnt lgkmcnt(0)
	v_dot4c_i32_i8 v237, v174, v38
	v_dot4c_i32_i8 v226, v181, v34
	;; [unrolled: 1-line block ×31, first 2 shown]
	ds_read2_b32 v[63:64], v170 offset0:64 offset1:96
	ds_read_b128 v[34:37], v168 offset:2048
	ds_read_b128 v[38:41], v168 offset:2064
	s_waitcnt lgkmcnt(1)
	v_dot4c_i32_i8 v234, v169, v34
	s_waitcnt lgkmcnt(0)
	v_dot4c_i32_i8 v233, v174, v38
	v_dot4c_i32_i8 v229, v181, v34
	;; [unrolled: 1-line block ×31, first 2 shown]
	ds_read_b128 v[38:41], v168 offset:3072
	ds_read_b128 v[34:37], v168 offset:3088
	ds_read_u16 v215, v208 offset:33522
	s_waitcnt lgkmcnt(2)
	v_dot4c_i32_i8 v232, v169, v38
	s_waitcnt lgkmcnt(1)
	v_dot4c_i32_i8 v235, v174, v34
	s_waitcnt lgkmcnt(0)
	v_lshrrev_b16 v208, 8, v215
	v_bfe_i32 v215, v215, 0, 8
	v_dot4c_i32_i8 v232, v171, v39
	v_dot4c_i32_i8 v235, v175, v35
	v_bfe_i32 v208, v208, 0, 8
	v_mul_lo_u32 v231, v231, v215
	v_dot4c_i32_i8 v232, v172, v40
	v_dot4c_i32_i8 v235, v176, v36
	v_mul_lo_u32 v233, v233, v208
	v_mul_lo_u32 v209, v209, v208
	v_dot4c_i32_i8 v232, v173, v41
	v_dot4c_i32_i8 v235, v178, v37
	v_mul_lo_u32 v232, v232, v215
	v_mad_u64_u32 v[233:234], null, v234, v215, v[233:234]
	v_mad_u64_u32 v[234:235], null, v235, v208, v[232:233]
                                        ; kill: def $vgpr232 killed $sgpr0 killed $exec
	v_mad_u64_u32 v[235:236], null, v206, v215, v[209:210]
	v_mad_u64_u32 v[231:232], null, v237, v208, v[231:232]
	ds_read_u16 v210, v210 offset:34546
	v_mul_f32_e32 v206, v177, v62
	v_mul_f32_e32 v209, v177, v61
	;; [unrolled: 1-line block ×3, first 2 shown]
	v_cvt_f32_i32_e32 v235, v235
	v_mul_f32_e32 v232, v177, v64
	v_cvt_f32_i32_e32 v231, v231
	v_cvt_f32_i32_e32 v234, v234
	;; [unrolled: 1-line block ×3, first 2 shown]
	v_fma_f32 v3, v209, v235, v3
	v_mov_b32_e32 v235, 0
	v_fmac_f32_e32 v2, v206, v231
	v_mov_b32_e32 v206, 0
	v_mov_b32_e32 v231, 0
	v_fma_f32 v5, v236, v233, v5
	v_fma_f32 v4, v232, v234, v4
	v_mov_b32_e32 v232, 0
	v_dot4c_i32_i8 v206, v181, v38
	v_dot4c_i32_i8 v231, v179, v34
	v_mov_b32_e32 v233, 0
	s_waitcnt lgkmcnt(0)
	v_lshrrev_b16 v209, 8, v210
	v_bfe_i32 v210, v210, 0, 8
	v_dot4c_i32_i8 v206, v182, v39
	v_dot4c_i32_i8 v231, v180, v35
	v_mov_b32_e32 v234, 0
	v_bfe_i32 v209, v209, 0, 8
	v_mul_lo_u32 v226, v226, v210
	v_dot4c_i32_i8 v206, v185, v40
	v_dot4c_i32_i8 v231, v183, v36
	v_mov_b32_e32 v236, 0
	v_mul_lo_u32 v230, v230, v209
	v_mul_lo_u32 v211, v211, v209
	v_dot4c_i32_i8 v206, v187, v41
	v_dot4c_i32_i8 v231, v186, v37
	v_mad_u64_u32 v[225:226], null, v225, v209, v[226:227]
	v_mul_f32_e32 v226, v184, v64
	v_mul_lo_u32 v206, v206, v210
	v_mad_u64_u32 v[229:230], null, v229, v210, v[230:231]
	v_mov_b32_e32 v237, 0
	v_cvt_f32_i32_e32 v225, v225
	v_mad_u64_u32 v[230:231], null, v231, v209, v[206:207]
	v_mad_u64_u32 v[206:207], null, v207, v210, v[211:212]
	v_mul_f32_e32 v211, v184, v61
	v_mul_f32_e32 v207, v184, v62
	;; [unrolled: 1-line block ×3, first 2 shown]
	v_cvt_f32_i32_e32 v229, v229
	v_cvt_f32_i32_e32 v230, v230
	;; [unrolled: 1-line block ×3, first 2 shown]
	v_fmac_f32_e32 v30, v207, v225
	v_mov_b32_e32 v225, 0
	v_fma_f32 v32, v226, v230, v32
	v_mov_b32_e32 v226, 0
	v_fma_f32 v31, v211, v206, v31
	ds_read_u16 v206, v213 offset:35570
	v_dot4c_i32_i8 v225, v188, v38
	v_fma_f32 v33, v231, v229, v33
	v_dot4c_i32_i8 v226, v192, v34
	v_mov_b32_e32 v230, 0
	v_mov_b32_e32 v231, 0
	v_dot4c_i32_i8 v225, v189, v39
	v_dot4c_i32_i8 v226, v193, v35
	;; [unrolled: 1-line block ×6, first 2 shown]
	s_waitcnt lgkmcnt(0)
	v_lshrrev_b16 v207, 8, v206
	v_bfe_i32 v213, v206, 0, 8
	v_bfe_i32 v211, v207, 0, 8
	v_mul_lo_u32 v206, v224, v213
	v_mul_lo_u32 v224, v228, v211
	;; [unrolled: 1-line block ×4, first 2 shown]
                                        ; kill: def $vgpr225 killed $sgpr0 killed $exec
	v_mad_u64_u32 v[224:225], null, v227, v213, v[224:225]
	v_mad_u64_u32 v[225:226], null, v226, v211, v[214:215]
	v_mad_u64_u32 v[226:227], null, v212, v213, v[207:208]
	v_mul_f32_e32 v212, v195, v61
                                        ; kill: def $vgpr207 killed $sgpr0 killed $exec
	v_mul_f32_e32 v214, v195, v64
	v_mad_u64_u32 v[206:207], null, v223, v211, v[206:207]
	v_mul_f32_e32 v207, v195, v62
	v_mul_f32_e32 v223, v195, v63
	v_cvt_f32_i32_e32 v226, v226
	v_cvt_f32_i32_e32 v225, v225
	;; [unrolled: 1-line block ×4, first 2 shown]
	v_fma_f32 v27, v212, v226, v27
	v_mov_b32_e32 v212, 0
	v_fma_f32 v28, v214, v225, v28
	v_mov_b32_e32 v225, 0
	v_fmac_f32_e32 v26, v207, v206
	v_fma_f32 v29, v223, v224, v29
	v_dot4c_i32_i8 v212, v202, v38
                                        ; kill: def $vgpr38 killed $sgpr0 killed $exec
	v_mov_b32_e32 v223, 0
	v_mov_b32_e32 v224, 0
	;; [unrolled: 1-line block ×3, first 2 shown]
	v_dot4c_i32_i8 v212, v203, v39
	v_mov_b32_e32 v39, 0
	v_dot4c_i32_i8 v212, v204, v40
	v_dot4c_i32_i8 v39, v198, v34
	ds_read_u16 v34, v217 offset:36594
	v_mov_b32_e32 v217, 0
	v_dot4c_i32_i8 v212, v205, v41
	v_dot4c_i32_i8 v39, v199, v35
	v_mul_f32_e32 v41, v197, v63
	v_mov_b32_e32 v63, 0
	v_dot4c_i32_i8 v39, v200, v36
	v_dot4c_i32_i8 v39, v201, v37
	s_waitcnt lgkmcnt(0)
	v_lshrrev_b16 v35, 8, v34
	v_bfe_i32 v207, v34, 0, 8
	v_bfe_i32 v206, v35, 0, 8
	v_mul_lo_u32 v36, v212, v207
	v_mul_lo_u32 v34, v220, v207
	v_mov_b32_e32 v212, 0
	v_mov_b32_e32 v220, 0
	v_mul_lo_u32 v37, v222, v206
	v_mul_lo_u32 v35, v218, v206
	v_mov_b32_e32 v218, 0
	v_mov_b32_e32 v222, 0
	v_mad_u64_u32 v[37:38], null, v221, v207, v[37:38]
	v_mov_b32_e32 v221, 0
	v_mad_u64_u32 v[38:39], null, v39, v206, v[36:37]
                                        ; kill: def $vgpr36 killed $sgpr0 killed $exec
	v_cvt_f32_i32_e32 v37, v37
	v_mad_u64_u32 v[35:36], null, v216, v207, v[35:36]
	v_mul_f32_e32 v36, v197, v61
	v_mov_b32_e32 v216, 0
	v_fma_f32 v25, v41, v37, v25
	v_cvt_f32_i32_e32 v38, v38
	v_mad_u64_u32 v[39:40], null, v219, v206, v[34:35]
	v_mul_f32_e32 v34, v197, v62
	v_mul_f32_e32 v40, v197, v64
	v_cvt_f32_i32_e32 v35, v35
	v_mov_b32_e32 v219, 0
	v_mov_b32_e32 v64, 0
	v_cvt_f32_i32_e32 v39, v39
	v_fma_f32 v24, v40, v38, v24
	v_fma_f32 v23, v36, v35, v23
	v_fmac_f32_e32 v22, v34, v39
	ds_read2_b32 v[61:62], v170 offset0:128 offset1:160
	ds_read_b128 v[38:41], v168 offset:4096
	ds_read_b128 v[34:37], v168 offset:4112
	s_waitcnt lgkmcnt(1)
	v_dot4c_i32_i8 v212, v169, v38
	v_dot4c_i32_i8 v218, v181, v38
	;; [unrolled: 1-line block ×4, first 2 shown]
	s_waitcnt lgkmcnt(0)
	v_dot4c_i32_i8 v225, v174, v34
	v_dot4c_i32_i8 v212, v171, v39
	;; [unrolled: 1-line block ×10, first 2 shown]
	v_mov_b32_e32 v40, 0
	v_dot4c_i32_i8 v219, v192, v34
	v_dot4c_i32_i8 v225, v175, v35
	;; [unrolled: 1-line block ×17, first 2 shown]
	v_mov_b32_e32 v41, 0
	v_dot4c_i32_i8 v40, v201, v37
	ds_read_b128 v[34:37], v168 offset:5120
	ds_read_b128 v[226:229], v168 offset:5136
	s_waitcnt lgkmcnt(1)
	v_dot4c_i32_i8 v230, v169, v34
	s_waitcnt lgkmcnt(0)
	v_dot4c_i32_i8 v231, v174, v226
	v_dot4c_i32_i8 v223, v181, v34
	;; [unrolled: 1-line block ×31, first 2 shown]
	ds_read2_b32 v[38:39], v170 offset0:192 offset1:224
	ds_read_b128 v[34:37], v168 offset:6144
	ds_read_b128 v[226:229], v168 offset:6160
	v_mul_lo_u32 v41, v41, v207
	s_waitcnt lgkmcnt(1)
	v_dot4c_i32_i8 v232, v169, v34
	s_waitcnt lgkmcnt(0)
	v_dot4c_i32_i8 v233, v174, v226
	v_dot4c_i32_i8 v234, v181, v34
	;; [unrolled: 1-line block ×31, first 2 shown]
	ds_read_b128 v[226:229], v168 offset:7168
	ds_read_b128 v[34:37], v168 offset:7184
	v_add_nc_u32_e32 v168, 32, v168
	s_waitcnt lgkmcnt(1)
	v_dot4c_i32_i8 v238, v169, v226
	s_waitcnt lgkmcnt(0)
	v_dot4c_i32_i8 v239, v174, v34
                                        ; kill: def $vgpr174 killed $sgpr0 killed $exec
	v_mul_lo_u32 v169, v230, v215
	v_dot4c_i32_i8 v238, v171, v227
	v_dot4c_i32_i8 v239, v175, v35
	v_mul_lo_u32 v171, v225, v208
	v_dot4c_i32_i8 v238, v172, v228
	v_dot4c_i32_i8 v239, v176, v36
	;; [unrolled: 1-line block ×3, first 2 shown]
	v_mul_lo_u32 v173, v233, v208
	v_dot4c_i32_i8 v239, v178, v37
	v_mul_lo_u32 v172, v238, v215
	v_mad_u64_u32 v[173:174], null, v232, v215, v[173:174]
	v_mad_u64_u32 v[174:175], null, v239, v208, v[172:173]
                                        ; kill: def $vgpr172 killed $sgpr0 killed $exec
	v_mad_u64_u32 v[175:176], null, v231, v208, v[169:170]
	v_mad_u64_u32 v[171:172], null, v212, v215, v[171:172]
	v_mul_f32_e32 v172, v177, v61
	v_mul_f32_e32 v169, v177, v62
	;; [unrolled: 1-line block ×4, first 2 shown]
	v_cvt_f32_i32_e32 v175, v175
	v_cvt_f32_i32_e32 v173, v173
	;; [unrolled: 1-line block ×4, first 2 shown]
	v_fmac_f32_e32 v18, v169, v175
	v_mov_b32_e32 v175, 0
	v_fma_f32 v19, v172, v171, v19
	v_mov_b32_e32 v172, 0
	v_fma_f32 v21, v177, v173, v21
	v_mul_lo_u32 v173, v235, v209
	v_dot4c_i32_i8 v175, v179, v34
	v_fma_f32 v20, v176, v174, v20
	v_dot4c_i32_i8 v172, v181, v226
                                        ; kill: def $vgpr174 killed $sgpr0 killed $exec
	v_mul_lo_u32 v171, v220, v209
	v_mul_lo_u32 v169, v223, v210
	v_dot4c_i32_i8 v175, v180, v35
	v_mul_f32_e32 v177, v184, v38
	v_dot4c_i32_i8 v172, v182, v227
	v_mad_u64_u32 v[173:174], null, v234, v210, v[173:174]
	v_dot4c_i32_i8 v175, v183, v36
	v_dot4c_i32_i8 v172, v185, v228
	;; [unrolled: 1-line block ×4, first 2 shown]
	v_mul_lo_u32 v172, v172, v210
	v_mad_u64_u32 v[174:175], null, v175, v209, v[172:173]
                                        ; kill: def $vgpr172 killed $sgpr0 killed $exec
	v_mad_u64_u32 v[175:176], null, v224, v209, v[169:170]
	v_mad_u64_u32 v[171:172], null, v218, v210, v[171:172]
	v_mul_f32_e32 v172, v184, v61
	v_mul_f32_e32 v169, v184, v62
	v_cvt_f32_i32_e32 v173, v173
	v_mul_f32_e32 v176, v184, v39
	v_cvt_f32_i32_e32 v175, v175
	v_cvt_f32_i32_e32 v174, v174
	;; [unrolled: 1-line block ×3, first 2 shown]
	v_fma_f32 v17, v177, v173, v17
	v_mul_lo_u32 v173, v237, v211
	v_fmac_f32_e32 v14, v169, v175
	v_mov_b32_e32 v175, 0
	v_fma_f32 v15, v172, v171, v15
	v_mov_b32_e32 v172, 0
	v_fma_f32 v16, v176, v174, v16
                                        ; kill: def $vgpr174 killed $sgpr0 killed $exec
	v_mul_lo_u32 v169, v222, v213
	v_dot4c_i32_i8 v175, v192, v34
	v_mad_u64_u32 v[173:174], null, v236, v213, v[173:174]
	v_dot4c_i32_i8 v172, v188, v226
	v_mul_lo_u32 v171, v219, v211
	v_dot4c_i32_i8 v175, v193, v35
	v_mul_f32_e32 v177, v195, v38
	v_dot4c_i32_i8 v172, v189, v227
	v_dot4c_i32_i8 v175, v194, v36
	;; [unrolled: 1-line block ×5, first 2 shown]
	v_mul_lo_u32 v172, v172, v213
	v_mad_u64_u32 v[174:175], null, v175, v211, v[172:173]
	v_mad_u64_u32 v[175:176], null, v221, v211, v[169:170]
                                        ; kill: def $vgpr172 killed $sgpr0 killed $exec
	v_mul_f32_e32 v169, v195, v62
	v_mad_u64_u32 v[171:172], null, v217, v213, v[171:172]
	v_mul_f32_e32 v172, v195, v61
	v_mul_f32_e32 v176, v195, v39
	v_cvt_f32_i32_e32 v174, v174
	v_cvt_f32_i32_e32 v175, v175
	;; [unrolled: 1-line block ×3, first 2 shown]
	v_mul_f32_e32 v39, v197, v39
	v_cvt_f32_i32_e32 v171, v171
	v_fma_f32 v12, v176, v174, v12
	v_fmac_f32_e32 v10, v169, v175
	v_mov_b32_e32 v169, 0
	v_fma_f32 v13, v177, v173, v13
	v_fma_f32 v11, v172, v171, v11
	v_mov_b32_e32 v171, 0
	v_add_nc_u32_e32 v170, 4, v170
	v_dot4c_i32_i8 v169, v202, v226
	v_dot4c_i32_i8 v171, v198, v34
	v_mul_lo_u32 v34, v216, v206
	v_dot4c_i32_i8 v169, v203, v227
	v_dot4c_i32_i8 v171, v199, v35
                                        ; kill: def $vgpr35 killed $sgpr0 killed $exec
	s_add_i32 s0, s0, 2
	v_dot4c_i32_i8 v169, v204, v228
	s_cmp_lt_u32 s9, 30
	v_mad_u64_u32 v[34:35], null, v214, v207, v[34:35]
	v_dot4c_i32_i8 v171, v200, v36
	v_dot4c_i32_i8 v169, v205, v229
	;; [unrolled: 1-line block ×3, first 2 shown]
	v_mul_lo_u32 v37, v40, v206
	v_mul_lo_u32 v36, v169, v207
	v_mad_u64_u32 v[40:41], null, v64, v206, v[41:42]
	v_mul_f32_e32 v41, v197, v61
	v_cvt_f32_i32_e32 v34, v34
	v_mad_u64_u32 v[35:36], null, v171, v206, v[36:37]
	v_mad_u64_u32 v[36:37], null, v63, v207, v[37:38]
	v_mul_f32_e32 v37, v197, v62
	v_mul_f32_e32 v38, v197, v38
	v_cvt_f32_i32_e32 v40, v40
	v_cvt_f32_i32_e32 v35, v35
	;; [unrolled: 1-line block ×3, first 2 shown]
	v_fma_f32 v9, v38, v34, v9
	v_fmac_f32_e32 v6, v37, v40
	v_fma_f32 v8, v39, v35, v8
	v_fma_f32 v7, v41, v36, v7
	s_cbranch_scc1 .LBB130_14
; %bb.15:                               ;   in Loop: Header=BB130_6 Depth=1
	s_barrier
	buffer_gl0_inv
	s_branch .LBB130_5
.LBB130_16:
	v_mov_b32_e32 v6, 0
	v_mov_b32_e32 v9, v6
	;; [unrolled: 1-line block ×32, first 2 shown]
	s_mov_b32 s0, exec_lo
	v_cmpx_gt_u32_e64 s10, v34
	s_cbranch_execnz .LBB130_19
.LBB130_17:
	s_endpgm
.LBB130_18:
	v_mov_b32_e32 v34, v65
	s_mov_b32 s0, exec_lo
	v_cmpx_gt_u32_e64 s10, v34
	s_cbranch_execz .LBB130_17
.LBB130_19:
	v_add_nc_u32_e32 v0, s6, v0
	v_mul_lo_u32 v34, v34, s14
	v_cmp_gt_u32_e32 vcc_lo, s14, v0
	s_and_saveexec_b32 s1, vcc_lo
	s_cbranch_execz .LBB130_21
; %bb.20:
	v_add_nc_u32_e32 v35, v0, v34
	v_mov_b32_e32 v36, 0
	v_lshlrev_b64 v[35:36], 2, v[35:36]
	s_waitcnt lgkmcnt(0)
	v_add_co_u32 v35, s0, s12, v35
	v_add_co_ci_u32_e64 v36, null, s13, v36, s0
	global_store_dword v[35:36], v3, off
.LBB130_21:
	s_or_b32 exec_lo, exec_lo, s1
	v_add_nc_u32_e32 v3, 32, v0
	v_cmp_gt_u32_e64 s0, s14, v3
	s_and_saveexec_b32 s2, s0
	s_cbranch_execz .LBB130_23
; %bb.22:
	v_add_nc_u32_e32 v35, v3, v34
	v_mov_b32_e32 v36, 0
	v_lshlrev_b64 v[35:36], 2, v[35:36]
	s_waitcnt lgkmcnt(0)
	v_add_co_u32 v35, s1, s12, v35
	v_add_co_ci_u32_e64 v36, null, s13, v36, s1
	global_store_dword v[35:36], v31, off
.LBB130_23:
	s_or_b32 exec_lo, exec_lo, s2
	v_add_nc_u32_e32 v31, 64, v0
	v_cmp_gt_u32_e64 s1, s14, v31
	s_and_saveexec_b32 s3, s1
	;; [unrolled: 14-line block ×3, first 2 shown]
	s_cbranch_execz .LBB130_27
; %bb.26:
	v_add_nc_u32_e32 v34, v27, v34
	v_mov_b32_e32 v35, 0
	v_lshlrev_b64 v[34:35], 2, v[34:35]
	s_waitcnt lgkmcnt(0)
	v_add_co_u32 v34, s3, s12, v34
	v_add_co_ci_u32_e64 v35, null, s13, v35, s3
	global_store_dword v[34:35], v23, off
.LBB130_27:
	s_or_b32 exec_lo, exec_lo, s4
	v_add3_u32 v23, v1, s7, 8
	v_cmp_gt_u32_e64 s3, s10, v23
	s_and_b32 exec_lo, exec_lo, s3
	s_cbranch_execz .LBB130_17
; %bb.28:
	v_mul_lo_u32 v23, v23, s14
	s_and_saveexec_b32 s4, vcc_lo
	s_cbranch_execnz .LBB130_68
; %bb.29:
	s_or_b32 exec_lo, exec_lo, s4
	s_and_saveexec_b32 s4, s0
	s_cbranch_execnz .LBB130_69
.LBB130_30:
	s_or_b32 exec_lo, exec_lo, s4
	s_and_saveexec_b32 s4, s1
	s_cbranch_execnz .LBB130_70
.LBB130_31:
	s_or_b32 exec_lo, exec_lo, s4
	s_and_saveexec_b32 s4, s2
	s_cbranch_execz .LBB130_33
.LBB130_32:
	v_add_nc_u32_e32 v34, v23, v27
	v_mov_b32_e32 v35, 0
	v_lshlrev_b64 v[34:35], 2, v[34:35]
	s_waitcnt lgkmcnt(0)
	v_add_co_u32 v34, s3, s12, v34
	v_add_co_ci_u32_e64 v35, null, s13, v35, s3
	global_store_dword v[34:35], v22, off
.LBB130_33:
	s_or_b32 exec_lo, exec_lo, s4
	v_add3_u32 v2, v1, s7, 16
	v_cmp_gt_u32_e64 s3, s10, v2
	s_and_b32 exec_lo, exec_lo, s3
	s_cbranch_execz .LBB130_17
; %bb.34:
	v_mul_lo_u32 v2, v2, s14
	s_and_saveexec_b32 s4, vcc_lo
	s_cbranch_execnz .LBB130_71
; %bb.35:
	s_or_b32 exec_lo, exec_lo, s4
	s_and_saveexec_b32 s4, s0
	s_cbranch_execnz .LBB130_72
.LBB130_36:
	s_or_b32 exec_lo, exec_lo, s4
	s_and_saveexec_b32 s4, s1
	s_cbranch_execnz .LBB130_73
.LBB130_37:
	s_or_b32 exec_lo, exec_lo, s4
	s_and_saveexec_b32 s4, s2
	s_cbranch_execz .LBB130_39
.LBB130_38:
	v_add_nc_u32_e32 v22, v2, v27
	v_mov_b32_e32 v23, 0
	v_lshlrev_b64 v[22:23], 2, v[22:23]
	s_waitcnt lgkmcnt(0)
	v_add_co_u32 v22, s3, s12, v22
	v_add_co_ci_u32_e64 v23, null, s13, v23, s3
	global_store_dword v[22:23], v25, off
.LBB130_39:
	s_or_b32 exec_lo, exec_lo, s4
	v_add3_u32 v2, v1, s7, 24
	v_cmp_gt_u32_e64 s3, s10, v2
	s_and_b32 exec_lo, exec_lo, s3
	s_cbranch_execz .LBB130_17
; %bb.40:
	v_mul_lo_u32 v2, v2, s14
	s_and_saveexec_b32 s4, vcc_lo
	s_cbranch_execnz .LBB130_74
; %bb.41:
	s_or_b32 exec_lo, exec_lo, s4
	s_and_saveexec_b32 s4, s0
	s_cbranch_execnz .LBB130_75
.LBB130_42:
	s_or_b32 exec_lo, exec_lo, s4
	s_and_saveexec_b32 s4, s1
	s_cbranch_execnz .LBB130_76
.LBB130_43:
	s_or_b32 exec_lo, exec_lo, s4
	s_and_saveexec_b32 s4, s2
	s_cbranch_execz .LBB130_45
.LBB130_44:
	v_add_nc_u32_e32 v4, v2, v27
	v_mov_b32_e32 v5, 0
	v_lshlrev_b64 v[4:5], 2, v[4:5]
	s_waitcnt lgkmcnt(0)
	v_add_co_u32 v4, s3, s12, v4
	v_add_co_ci_u32_e64 v5, null, s13, v5, s3
	global_store_dword v[4:5], v24, off
.LBB130_45:
	s_or_b32 exec_lo, exec_lo, s4
	v_add3_u32 v2, v1, s7, 32
	v_cmp_gt_u32_e64 s3, s10, v2
	s_and_b32 exec_lo, exec_lo, s3
	s_cbranch_execz .LBB130_17
; %bb.46:
	v_mul_lo_u32 v2, v2, s14
	s_and_saveexec_b32 s4, vcc_lo
	s_cbranch_execnz .LBB130_77
; %bb.47:
	s_or_b32 exec_lo, exec_lo, s4
	s_and_saveexec_b32 s4, s0
	s_cbranch_execnz .LBB130_78
.LBB130_48:
	s_or_b32 exec_lo, exec_lo, s4
	s_and_saveexec_b32 s4, s1
	s_cbranch_execnz .LBB130_79
.LBB130_49:
	s_or_b32 exec_lo, exec_lo, s4
	s_and_saveexec_b32 s4, s2
	s_cbranch_execz .LBB130_51
.LBB130_50:
	v_add_nc_u32_e32 v4, v2, v27
	v_mov_b32_e32 v5, 0
	v_lshlrev_b64 v[4:5], 2, v[4:5]
	s_waitcnt lgkmcnt(0)
	v_add_co_u32 v4, s3, s12, v4
	v_add_co_ci_u32_e64 v5, null, s13, v5, s3
	global_store_dword v[4:5], v7, off
.LBB130_51:
	s_or_b32 exec_lo, exec_lo, s4
	v_add3_u32 v2, v1, s7, 40
	v_cmp_gt_u32_e64 s3, s10, v2
	s_and_b32 exec_lo, exec_lo, s3
	s_cbranch_execz .LBB130_17
; %bb.52:
	v_mul_lo_u32 v2, v2, s14
	s_and_saveexec_b32 s4, vcc_lo
	s_cbranch_execnz .LBB130_80
; %bb.53:
	s_or_b32 exec_lo, exec_lo, s4
	s_and_saveexec_b32 s4, s0
	s_cbranch_execnz .LBB130_81
.LBB130_54:
	s_or_b32 exec_lo, exec_lo, s4
	s_and_saveexec_b32 s4, s1
	s_cbranch_execnz .LBB130_82
.LBB130_55:
	s_or_b32 exec_lo, exec_lo, s4
	s_and_saveexec_b32 s4, s2
	s_cbranch_execz .LBB130_57
.LBB130_56:
	v_add_nc_u32_e32 v4, v2, v27
	v_mov_b32_e32 v5, 0
	v_lshlrev_b64 v[4:5], 2, v[4:5]
	s_waitcnt lgkmcnt(0)
	v_add_co_u32 v4, s3, s12, v4
	v_add_co_ci_u32_e64 v5, null, s13, v5, s3
	global_store_dword v[4:5], v6, off
.LBB130_57:
	s_or_b32 exec_lo, exec_lo, s4
	v_add3_u32 v2, v1, s7, 48
	v_cmp_gt_u32_e64 s3, s10, v2
	s_and_b32 exec_lo, exec_lo, s3
	s_cbranch_execz .LBB130_17
; %bb.58:
	v_mul_lo_u32 v2, v2, s14
	s_and_saveexec_b32 s4, vcc_lo
	s_cbranch_execnz .LBB130_83
; %bb.59:
	s_or_b32 exec_lo, exec_lo, s4
	s_and_saveexec_b32 s4, s0
	s_cbranch_execnz .LBB130_84
.LBB130_60:
	s_or_b32 exec_lo, exec_lo, s4
	s_and_saveexec_b32 s4, s1
	s_cbranch_execnz .LBB130_85
.LBB130_61:
	s_or_b32 exec_lo, exec_lo, s4
	s_and_saveexec_b32 s4, s2
	s_cbranch_execz .LBB130_63
.LBB130_62:
	v_add_nc_u32_e32 v4, v2, v27
	v_mov_b32_e32 v5, 0
	v_lshlrev_b64 v[4:5], 2, v[4:5]
	s_waitcnt lgkmcnt(0)
	v_add_co_u32 v4, s3, s12, v4
	v_add_co_ci_u32_e64 v5, null, s13, v5, s3
	global_store_dword v[4:5], v9, off
.LBB130_63:
	s_or_b32 exec_lo, exec_lo, s4
	v_add3_u32 v1, v1, s7, 56
	v_cmp_gt_u32_e64 s3, s10, v1
	s_and_b32 exec_lo, exec_lo, s3
	s_cbranch_execz .LBB130_17
; %bb.64:
	v_mul_lo_u32 v1, v1, s14
	s_and_saveexec_b32 s3, vcc_lo
	s_cbranch_execnz .LBB130_86
; %bb.65:
	s_or_b32 exec_lo, exec_lo, s3
	s_and_saveexec_b32 s3, s0
	s_cbranch_execnz .LBB130_87
.LBB130_66:
	s_or_b32 exec_lo, exec_lo, s3
	s_and_saveexec_b32 s0, s1
	s_cbranch_execnz .LBB130_88
.LBB130_67:
	s_or_b32 exec_lo, exec_lo, s0
	s_and_b32 exec_lo, exec_lo, s2
	s_cbranch_execz .LBB130_17
	s_branch .LBB130_89
.LBB130_68:
	v_add_nc_u32_e32 v34, v23, v0
	v_mov_b32_e32 v35, 0
	v_lshlrev_b64 v[34:35], 2, v[34:35]
	s_waitcnt lgkmcnt(0)
	v_add_co_u32 v34, s3, s12, v34
	v_add_co_ci_u32_e64 v35, null, s13, v35, s3
	global_store_dword v[34:35], v2, off
	s_or_b32 exec_lo, exec_lo, s4
	s_and_saveexec_b32 s4, s0
	s_cbranch_execz .LBB130_30
.LBB130_69:
	v_add_nc_u32_e32 v34, v23, v3
	v_mov_b32_e32 v35, 0
	v_lshlrev_b64 v[34:35], 2, v[34:35]
	s_waitcnt lgkmcnt(0)
	v_add_co_u32 v34, s3, s12, v34
	v_add_co_ci_u32_e64 v35, null, s13, v35, s3
	global_store_dword v[34:35], v30, off
	s_or_b32 exec_lo, exec_lo, s4
	s_and_saveexec_b32 s4, s1
	s_cbranch_execz .LBB130_31
.LBB130_70:
	v_add_nc_u32_e32 v34, v23, v31
	v_mov_b32_e32 v35, 0
	v_lshlrev_b64 v[34:35], 2, v[34:35]
	s_waitcnt lgkmcnt(0)
	v_add_co_u32 v34, s3, s12, v34
	v_add_co_ci_u32_e64 v35, null, s13, v35, s3
	global_store_dword v[34:35], v26, off
	s_or_b32 exec_lo, exec_lo, s4
	s_and_saveexec_b32 s4, s2
	s_cbranch_execnz .LBB130_32
	s_branch .LBB130_33
.LBB130_71:
	v_add_nc_u32_e32 v22, v2, v0
	v_mov_b32_e32 v23, 0
	v_lshlrev_b64 v[22:23], 2, v[22:23]
	s_waitcnt lgkmcnt(0)
	v_add_co_u32 v22, s3, s12, v22
	v_add_co_ci_u32_e64 v23, null, s13, v23, s3
	global_store_dword v[22:23], v5, off
	s_or_b32 exec_lo, exec_lo, s4
	s_and_saveexec_b32 s4, s0
	s_cbranch_execz .LBB130_36
.LBB130_72:
	v_add_nc_u32_e32 v22, v2, v3
	v_mov_b32_e32 v23, 0
	v_lshlrev_b64 v[22:23], 2, v[22:23]
	s_waitcnt lgkmcnt(0)
	v_add_co_u32 v22, s3, s12, v22
	v_add_co_ci_u32_e64 v23, null, s13, v23, s3
	global_store_dword v[22:23], v33, off
	s_or_b32 exec_lo, exec_lo, s4
	s_and_saveexec_b32 s4, s1
	s_cbranch_execz .LBB130_37
.LBB130_73:
	v_add_nc_u32_e32 v22, v2, v31
	v_mov_b32_e32 v23, 0
	v_lshlrev_b64 v[22:23], 2, v[22:23]
	s_waitcnt lgkmcnt(0)
	v_add_co_u32 v22, s3, s12, v22
	v_add_co_ci_u32_e64 v23, null, s13, v23, s3
	global_store_dword v[22:23], v29, off
	s_or_b32 exec_lo, exec_lo, s4
	s_and_saveexec_b32 s4, s2
	s_cbranch_execnz .LBB130_38
	s_branch .LBB130_39
.LBB130_74:
	v_add_nc_u32_e32 v22, v2, v0
	v_mov_b32_e32 v23, 0
	v_lshlrev_b64 v[22:23], 2, v[22:23]
	s_waitcnt lgkmcnt(0)
	v_add_co_u32 v22, s3, s12, v22
	v_add_co_ci_u32_e64 v23, null, s13, v23, s3
	global_store_dword v[22:23], v4, off
	s_or_b32 exec_lo, exec_lo, s4
	s_and_saveexec_b32 s4, s0
	s_cbranch_execz .LBB130_42
.LBB130_75:
	v_add_nc_u32_e32 v4, v2, v3
	v_mov_b32_e32 v5, 0
	v_lshlrev_b64 v[4:5], 2, v[4:5]
	s_waitcnt lgkmcnt(0)
	v_add_co_u32 v4, s3, s12, v4
	v_add_co_ci_u32_e64 v5, null, s13, v5, s3
	global_store_dword v[4:5], v32, off
	s_or_b32 exec_lo, exec_lo, s4
	s_and_saveexec_b32 s4, s1
	s_cbranch_execz .LBB130_43
.LBB130_76:
	v_add_nc_u32_e32 v4, v2, v31
	v_mov_b32_e32 v5, 0
	v_lshlrev_b64 v[4:5], 2, v[4:5]
	s_waitcnt lgkmcnt(0)
	v_add_co_u32 v4, s3, s12, v4
	v_add_co_ci_u32_e64 v5, null, s13, v5, s3
	global_store_dword v[4:5], v28, off
	s_or_b32 exec_lo, exec_lo, s4
	s_and_saveexec_b32 s4, s2
	s_cbranch_execnz .LBB130_44
	s_branch .LBB130_45
.LBB130_77:
	v_add_nc_u32_e32 v4, v2, v0
	v_mov_b32_e32 v5, 0
	v_lshlrev_b64 v[4:5], 2, v[4:5]
	s_waitcnt lgkmcnt(0)
	v_add_co_u32 v4, s3, s12, v4
	v_add_co_ci_u32_e64 v5, null, s13, v5, s3
	global_store_dword v[4:5], v19, off
	s_or_b32 exec_lo, exec_lo, s4
	s_and_saveexec_b32 s4, s0
	s_cbranch_execz .LBB130_48
.LBB130_78:
	v_add_nc_u32_e32 v4, v2, v3
	v_mov_b32_e32 v5, 0
	v_lshlrev_b64 v[4:5], 2, v[4:5]
	s_waitcnt lgkmcnt(0)
	v_add_co_u32 v4, s3, s12, v4
	v_add_co_ci_u32_e64 v5, null, s13, v5, s3
	global_store_dword v[4:5], v15, off
	s_or_b32 exec_lo, exec_lo, s4
	s_and_saveexec_b32 s4, s1
	s_cbranch_execz .LBB130_49
.LBB130_79:
	v_add_nc_u32_e32 v4, v2, v31
	v_mov_b32_e32 v5, 0
	v_lshlrev_b64 v[4:5], 2, v[4:5]
	s_waitcnt lgkmcnt(0)
	v_add_co_u32 v4, s3, s12, v4
	v_add_co_ci_u32_e64 v5, null, s13, v5, s3
	global_store_dword v[4:5], v11, off
	s_or_b32 exec_lo, exec_lo, s4
	s_and_saveexec_b32 s4, s2
	s_cbranch_execnz .LBB130_50
	s_branch .LBB130_51
.LBB130_80:
	v_add_nc_u32_e32 v4, v2, v0
	v_mov_b32_e32 v5, 0
	v_lshlrev_b64 v[4:5], 2, v[4:5]
	s_waitcnt lgkmcnt(0)
	v_add_co_u32 v4, s3, s12, v4
	v_add_co_ci_u32_e64 v5, null, s13, v5, s3
	global_store_dword v[4:5], v18, off
	s_or_b32 exec_lo, exec_lo, s4
	s_and_saveexec_b32 s4, s0
	s_cbranch_execz .LBB130_54
.LBB130_81:
	v_add_nc_u32_e32 v4, v2, v3
	v_mov_b32_e32 v5, 0
	v_lshlrev_b64 v[4:5], 2, v[4:5]
	s_waitcnt lgkmcnt(0)
	v_add_co_u32 v4, s3, s12, v4
	v_add_co_ci_u32_e64 v5, null, s13, v5, s3
	global_store_dword v[4:5], v14, off
	s_or_b32 exec_lo, exec_lo, s4
	s_and_saveexec_b32 s4, s1
	s_cbranch_execz .LBB130_55
.LBB130_82:
	v_add_nc_u32_e32 v4, v2, v31
	v_mov_b32_e32 v5, 0
	v_lshlrev_b64 v[4:5], 2, v[4:5]
	s_waitcnt lgkmcnt(0)
	v_add_co_u32 v4, s3, s12, v4
	v_add_co_ci_u32_e64 v5, null, s13, v5, s3
	global_store_dword v[4:5], v10, off
	s_or_b32 exec_lo, exec_lo, s4
	s_and_saveexec_b32 s4, s2
	s_cbranch_execnz .LBB130_56
	s_branch .LBB130_57
.LBB130_83:
	v_add_nc_u32_e32 v4, v2, v0
	v_mov_b32_e32 v5, 0
	v_lshlrev_b64 v[4:5], 2, v[4:5]
	s_waitcnt lgkmcnt(0)
	v_add_co_u32 v4, s3, s12, v4
	v_add_co_ci_u32_e64 v5, null, s13, v5, s3
	global_store_dword v[4:5], v21, off
	s_or_b32 exec_lo, exec_lo, s4
	s_and_saveexec_b32 s4, s0
	s_cbranch_execz .LBB130_60
.LBB130_84:
	v_add_nc_u32_e32 v4, v2, v3
	v_mov_b32_e32 v5, 0
	v_lshlrev_b64 v[4:5], 2, v[4:5]
	s_waitcnt lgkmcnt(0)
	v_add_co_u32 v4, s3, s12, v4
	v_add_co_ci_u32_e64 v5, null, s13, v5, s3
	global_store_dword v[4:5], v17, off
	s_or_b32 exec_lo, exec_lo, s4
	s_and_saveexec_b32 s4, s1
	s_cbranch_execz .LBB130_61
.LBB130_85:
	v_add_nc_u32_e32 v4, v2, v31
	v_mov_b32_e32 v5, 0
	v_lshlrev_b64 v[4:5], 2, v[4:5]
	s_waitcnt lgkmcnt(0)
	v_add_co_u32 v4, s3, s12, v4
	v_add_co_ci_u32_e64 v5, null, s13, v5, s3
	global_store_dword v[4:5], v13, off
	s_or_b32 exec_lo, exec_lo, s4
	s_and_saveexec_b32 s4, s2
	s_cbranch_execnz .LBB130_62
	s_branch .LBB130_63
.LBB130_86:
	v_add_nc_u32_e32 v4, v1, v0
	v_mov_b32_e32 v5, 0
	v_lshlrev_b64 v[4:5], 2, v[4:5]
	s_waitcnt lgkmcnt(0)
	v_add_co_u32 v4, vcc_lo, s12, v4
	v_add_co_ci_u32_e64 v5, null, s13, v5, vcc_lo
	global_store_dword v[4:5], v20, off
	s_or_b32 exec_lo, exec_lo, s3
	s_and_saveexec_b32 s3, s0
	s_cbranch_execz .LBB130_66
.LBB130_87:
	v_add_nc_u32_e32 v2, v1, v3
	v_mov_b32_e32 v3, 0
	v_lshlrev_b64 v[2:3], 2, v[2:3]
	s_waitcnt lgkmcnt(0)
	v_add_co_u32 v2, vcc_lo, s12, v2
	v_add_co_ci_u32_e64 v3, null, s13, v3, vcc_lo
	global_store_dword v[2:3], v16, off
	s_or_b32 exec_lo, exec_lo, s3
	s_and_saveexec_b32 s0, s1
	s_cbranch_execz .LBB130_67
.LBB130_88:
	v_add_nc_u32_e32 v2, v1, v31
	v_mov_b32_e32 v3, 0
	v_lshlrev_b64 v[2:3], 2, v[2:3]
	s_waitcnt lgkmcnt(0)
	v_add_co_u32 v2, vcc_lo, s12, v2
	v_add_co_ci_u32_e64 v3, null, s13, v3, vcc_lo
	global_store_dword v[2:3], v12, off
	s_or_b32 exec_lo, exec_lo, s0
	s_and_b32 exec_lo, exec_lo, s2
	s_cbranch_execz .LBB130_17
.LBB130_89:
	v_add_nc_u32_e32 v0, v1, v27
	v_mov_b32_e32 v1, 0
	v_lshlrev_b64 v[0:1], 2, v[0:1]
	s_waitcnt lgkmcnt(0)
	v_add_co_u32 v0, vcc_lo, s12, v0
	v_add_co_ci_u32_e64 v1, null, s13, v1, vcc_lo
	global_store_dword v[0:1], v8, off
	s_endpgm
	.section	.rodata,"a",@progbits
	.p2align	6, 0x0
	.amdhsa_kernel _ZL12mul_mat_q3_KIfLb1EEvPKvS1_PT_iiiii
		.amdhsa_group_segment_fixed_size 39840
		.amdhsa_private_segment_fixed_size 0
		.amdhsa_kernarg_size 44
		.amdhsa_user_sgpr_count 6
		.amdhsa_user_sgpr_private_segment_buffer 1
		.amdhsa_user_sgpr_dispatch_ptr 0
		.amdhsa_user_sgpr_queue_ptr 0
		.amdhsa_user_sgpr_kernarg_segment_ptr 1
		.amdhsa_user_sgpr_dispatch_id 0
		.amdhsa_user_sgpr_flat_scratch_init 0
		.amdhsa_user_sgpr_private_segment_size 0
		.amdhsa_wavefront_size32 1
		.amdhsa_uses_dynamic_stack 0
		.amdhsa_system_sgpr_private_segment_wavefront_offset 0
		.amdhsa_system_sgpr_workgroup_id_x 1
		.amdhsa_system_sgpr_workgroup_id_y 1
		.amdhsa_system_sgpr_workgroup_id_z 0
		.amdhsa_system_sgpr_workgroup_info 0
		.amdhsa_system_vgpr_workitem_id 1
		.amdhsa_next_free_vgpr 242
		.amdhsa_next_free_sgpr 21
		.amdhsa_reserve_vcc 1
		.amdhsa_reserve_flat_scratch 0
		.amdhsa_float_round_mode_32 0
		.amdhsa_float_round_mode_16_64 0
		.amdhsa_float_denorm_mode_32 3
		.amdhsa_float_denorm_mode_16_64 3
		.amdhsa_dx10_clamp 1
		.amdhsa_ieee_mode 1
		.amdhsa_fp16_overflow 0
		.amdhsa_workgroup_processor_mode 1
		.amdhsa_memory_ordered 1
		.amdhsa_forward_progress 1
		.amdhsa_shared_vgpr_count 0
		.amdhsa_exception_fp_ieee_invalid_op 0
		.amdhsa_exception_fp_denorm_src 0
		.amdhsa_exception_fp_ieee_div_zero 0
		.amdhsa_exception_fp_ieee_overflow 0
		.amdhsa_exception_fp_ieee_underflow 0
		.amdhsa_exception_fp_ieee_inexact 0
		.amdhsa_exception_int_div_zero 0
	.end_amdhsa_kernel
	.section	.text._ZL12mul_mat_q3_KIfLb1EEvPKvS1_PT_iiiii,"axG",@progbits,_ZL12mul_mat_q3_KIfLb1EEvPKvS1_PT_iiiii,comdat
.Lfunc_end130:
	.size	_ZL12mul_mat_q3_KIfLb1EEvPKvS1_PT_iiiii, .Lfunc_end130-_ZL12mul_mat_q3_KIfLb1EEvPKvS1_PT_iiiii
                                        ; -- End function
	.set _ZL12mul_mat_q3_KIfLb1EEvPKvS1_PT_iiiii.num_vgpr, 242
	.set _ZL12mul_mat_q3_KIfLb1EEvPKvS1_PT_iiiii.num_agpr, 0
	.set _ZL12mul_mat_q3_KIfLb1EEvPKvS1_PT_iiiii.numbered_sgpr, 21
	.set _ZL12mul_mat_q3_KIfLb1EEvPKvS1_PT_iiiii.num_named_barrier, 0
	.set _ZL12mul_mat_q3_KIfLb1EEvPKvS1_PT_iiiii.private_seg_size, 0
	.set _ZL12mul_mat_q3_KIfLb1EEvPKvS1_PT_iiiii.uses_vcc, 1
	.set _ZL12mul_mat_q3_KIfLb1EEvPKvS1_PT_iiiii.uses_flat_scratch, 0
	.set _ZL12mul_mat_q3_KIfLb1EEvPKvS1_PT_iiiii.has_dyn_sized_stack, 0
	.set _ZL12mul_mat_q3_KIfLb1EEvPKvS1_PT_iiiii.has_recursion, 0
	.set _ZL12mul_mat_q3_KIfLb1EEvPKvS1_PT_iiiii.has_indirect_call, 0
	.section	.AMDGPU.csdata,"",@progbits
; Kernel info:
; codeLenInByte = 38680
; TotalNumSgprs: 23
; NumVgprs: 242
; ScratchSize: 0
; MemoryBound: 0
; FloatMode: 240
; IeeeMode: 1
; LDSByteSize: 39840 bytes/workgroup (compile time only)
; SGPRBlocks: 0
; VGPRBlocks: 30
; NumSGPRsForWavesPerEU: 23
; NumVGPRsForWavesPerEU: 242
; Occupancy: 4
; WaveLimiterHint : 0
; COMPUTE_PGM_RSRC2:SCRATCH_EN: 0
; COMPUTE_PGM_RSRC2:USER_SGPR: 6
; COMPUTE_PGM_RSRC2:TRAP_HANDLER: 0
; COMPUTE_PGM_RSRC2:TGID_X_EN: 1
; COMPUTE_PGM_RSRC2:TGID_Y_EN: 1
; COMPUTE_PGM_RSRC2:TGID_Z_EN: 0
; COMPUTE_PGM_RSRC2:TIDIG_COMP_CNT: 1
	.section	.text._ZL12mul_mat_q4_KIfLb0EEvPKvS1_PT_iiiii,"axG",@progbits,_ZL12mul_mat_q4_KIfLb0EEvPKvS1_PT_iiiii,comdat
	.globl	_ZL12mul_mat_q4_KIfLb0EEvPKvS1_PT_iiiii ; -- Begin function _ZL12mul_mat_q4_KIfLb0EEvPKvS1_PT_iiiii
	.p2align	8
	.type	_ZL12mul_mat_q4_KIfLb0EEvPKvS1_PT_iiiii,@function
_ZL12mul_mat_q4_KIfLb0EEvPKvS1_PT_iiiii: ; @_ZL12mul_mat_q4_KIfLb0EEvPKvS1_PT_iiiii
; %bb.0:
	s_clause 0x1
	s_load_dword s14, s[4:5], 0x18
	s_load_dwordx4 s[8:11], s[4:5], 0x20
	s_lshl_b32 s7, s7, 6
	v_add_nc_u32_e32 v27, s7, v1
	s_waitcnt lgkmcnt(0)
	s_cmpk_gt_i32 s14, 0xff
	s_cbranch_scc1 .LBB131_2
; %bb.1:
	v_add_nc_u32_e32 v2, s7, v1
	s_mov_b32 s0, 0
	s_branch .LBB131_3
.LBB131_2:
	s_mov_b32 s0, -1
                                        ; implicit-def: $vgpr2
.LBB131_3:
	s_load_dwordx2 s[12:13], s[4:5], 0x10
	v_mov_b32_e32 v17, 0
	v_mov_b32_e32 v21, 0
	;; [unrolled: 1-line block ×32, first 2 shown]
	s_andn2_b32 vcc_lo, exec_lo, s0
	s_lshl_b32 s6, s6, 7
	s_cbranch_vccnz .LBB131_11
; %bb.4:
	s_load_dwordx4 s[0:3], s[4:5], 0x0
	s_ashr_i32 s4, s14, 31
	s_ashr_i32 s5, s9, 31
	s_lshr_b32 s4, s4, 24
	s_lshr_b32 s5, s5, 27
	s_add_i32 s14, s14, s4
	s_add_i32 s5, s9, s5
	s_ashr_i32 s4, s14, 8
	s_ashr_i32 s14, s5, 5
	s_mul_i32 s9, s4, s6
	v_add_nc_u32_e32 v9, 24, v27
	s_mul_i32 s5, s9, 0x90
	s_mul_hi_i32 s9, s9, 0x90
	v_add_nc_u32_e32 v11, 32, v27
	v_add_nc_u32_e32 v13, 40, v27
	;; [unrolled: 1-line block ×3, first 2 shown]
	v_cvt_f64_u32_e32 v[3:4], v27
	v_add_nc_u32_e32 v7, 16, v27
	v_add_nc_u32_e32 v5, 8, v27
	v_cvt_f64_u32_e32 v[9:10], v9
	s_waitcnt lgkmcnt(0)
	s_add_u32 s5, s0, s5
	s_addc_u32 s9, s1, s9
	s_add_i32 s16, s8, -1
	v_cvt_f64_u32_e32 v[11:12], v11
	v_cvt_f64_i32_e32 v[19:20], s16
	v_cvt_f64_u32_e32 v[13:14], v13
	v_cvt_f64_u32_e32 v[15:16], v15
	v_add_nc_u32_e32 v17, 56, v27
	v_cvt_f64_u32_e32 v[7:8], v7
	v_cvt_f64_u32_e32 v[5:6], v5
	s_lshl_b32 s15, s4, 3
	v_lshlrev_b32_e32 v30, 3, v1
	v_cvt_f64_u32_e32 v[17:18], v17
	v_mad_i32_i24 v38, s4, v1, s15
	v_lshrrev_b32_e32 v31, 2, v0
	v_lshlrev_b32_e32 v42, 5, v1
	v_and_b32_e32 v2, 3, v0
	v_lshlrev_b32_e32 v21, 2, v0
	v_add_nc_u32_e32 v40, s15, v38
	v_add_nc_u32_e32 v33, v31, v30
	;; [unrolled: 1-line block ×4, first 2 shown]
	v_cmp_gt_u32_e32 vcc_lo, 2, v2
	v_add_nc_u32_e32 v44, s15, v40
	v_add_nc_u16 v30, v31, v30
	v_lshrrev_b32_e32 v37, 3, v32
	v_min_f64 v[3:4], v[3:4], v[19:20]
	v_min_f64 v[9:10], v[9:10], v[19:20]
	;; [unrolled: 1-line block ×7, first 2 shown]
	v_add_nc_u32_e32 v48, s15, v44
	v_min_f64 v[17:18], v[17:18], v[19:20]
	v_and_b32_e32 v32, 0x7f, v32
	v_and_b32_e32 v35, 0xff, v35
	v_and_b32_e32 v37, 12, v37
	v_add_nc_u32_e32 v50, s15, v48
	v_and_b32_e32 v31, 0x7f, v33
	v_lshlrev_b32_e32 v39, 2, v32
	v_mul_i32_i24_e32 v82, s4, v32
	v_cndmask_b32_e32 v32, v35, v2, vcc_lo
	v_add_nc_u32_e32 v54, s15, v50
	v_cmp_ne_u32_e32 vcc_lo, 0, v2
	v_and_b32_e32 v36, 4, v21
	v_add3_u32 v83, v39, v37, 0x6e40
	v_xor_b32_e32 v37, 64, v31
	v_cvt_i32_f64_e32 v3, v[3:4]
	v_add_nc_u32_e32 v55, s15, v54
	v_cvt_i32_f64_e32 v9, v[9:10]
	v_cvt_i32_f64_e32 v10, v[11:12]
	;; [unrolled: 1-line block ×6, first 2 shown]
	v_and_b32_e32 v5, 63, v33
	v_add_nc_u32_e32 v56, s15, v55
	v_cvt_i32_f64_e32 v15, v[17:18]
	v_and_b32_e32 v6, 31, v0
	v_add_co_ci_u32_e64 v35, null, 0, v32, vcc_lo
	v_or_b32_e32 v7, s7, v5
	v_add_nc_u32_e32 v62, s15, v56
	v_lshl_or_b32 v14, v6, 2, 0x4200
	v_cmp_lt_u32_e32 vcc_lo, 1, v2
	v_lshrrev_b32_e32 v43, 1, v37
	v_min_i32_e32 v6, s16, v7
	v_add_nc_u32_e32 v67, s15, v62
	v_lshrrev_b32_e32 v34, 5, v0
	v_cndmask_b32_e32 v86, 0, v36, vcc_lo
	v_lshlrev_b32_e32 v36, 2, v2
	v_mad_u64_u32 v[6:7], null, v6, s14, v[2:3]
	v_add_nc_u32_e32 v72, s15, v67
	v_add_nc_u32_e32 v7, 32, v0
	v_mul_lo_u32 v101, s14, v13
	v_add_nc_u32_e32 v13, 0x60, v0
	v_lshl_or_b32 v19, v37, 4, v36
	v_add_nc_u32_e32 v76, s15, v72
	v_and_b32_e32 v20, 60, v43
	v_mul_lo_u32 v97, s14, v8
	v_add_nc_u32_e32 v8, 64, v0
	v_lshrrev_b32_e32 v103, 3, v7
	v_lshrrev_b32_e32 v18, 3, v13
	v_add_nc_u32_e32 v22, 8, v1
	v_add_nc_u32_e32 v23, 16, v1
	;; [unrolled: 1-line block ×8, first 2 shown]
	v_lshrrev_b16 v30, 1, v30
	v_add3_u32 v92, v19, v20, 0x6200
	v_lshl_or_b32 v5, v5, 4, v36
	v_mul_lo_u32 v102, s14, v15
	v_lshlrev_b32_e32 v15, 2, v34
	v_lshrrev_b32_e32 v16, 3, v8
	v_and_b32_e32 v19, 60, v103
	v_and_b32_e32 v12, 28, v21
	v_lshlrev_b32_e32 v20, 2, v7
	v_and_b32_e32 v7, 60, v18
	v_mad_u32_u24 v52, 0x84, v1, v21
	v_add_nc_u32_e32 v81, s15, v79
	v_cndmask_b32_e64 v39, 0, 1, vcc_lo
	v_lshl_or_b32 v41, v31, 4, v36
	v_and_b32_e32 v30, 60, v30
	v_add_nc_u32_e32 v93, 0x6a40, v5
	v_lshrrev_b32_e32 v94, 3, v0
	v_mul_lo_u32 v95, s14, v3
	v_lshlrev_b32_e32 v2, 7, v1
	v_mul_lo_u32 v96, s14, v4
	v_lshlrev_b32_e32 v3, 7, v22
	v_lshlrev_b32_e32 v4, 7, v23
	v_mul_lo_u32 v98, s14, v9
	v_lshlrev_b32_e32 v5, 7, v24
	v_mul_lo_u32 v99, s14, v10
	;; [unrolled: 2-line block ×3, first 2 shown]
	v_lshlrev_b32_e32 v10, 7, v26
	v_lshlrev_b32_e32 v11, 7, v28
	;; [unrolled: 1-line block ×3, first 2 shown]
	v_add3_u32 v104, v21, v15, 0x6e40
	v_and_b32_e32 v15, 60, v16
	v_add3_u32 v105, v21, v19, 0x6e40
	v_lshlrev_b32_e32 v19, 2, v8
	v_lshlrev_b32_e32 v13, 2, v13
	s_movk_i32 s0, 0x2100
	s_movk_i32 s11, 0x1080
	;; [unrolled: 1-line block ×3, first 2 shown]
	v_add3_u32 v107, v21, v7, 0x6e40
	v_mad_u32_u24 v117, 0x84, v0, s0
	v_add_co_u32 v7, s0, s2, v12
	v_and_b32_e32 v51, 0x7c, v21
	v_mul_i32_i24_e32 v59, s4, v1
	v_add_nc_u32_e32 v60, 0x420, v52
	v_add_nc_u32_e32 v61, 0x840, v52
	;; [unrolled: 1-line block ×16, first 2 shown]
	v_lshlrev_b32_e32 v87, 1, v32
	v_mul_i32_i24_e32 v88, s4, v31
	v_add3_u32 v89, v41, v30, 0x6200
	v_mul_i32_i24_e32 v91, s4, v37
	v_add3_u32 v106, v21, v15, 0x6e40
	v_lshlrev_b32_e32 v108, 5, v22
	v_lshlrev_b32_e32 v109, 5, v23
	v_lshlrev_b32_e32 v110, 5, v24
	v_lshlrev_b32_e32 v111, 5, v25
	v_lshlrev_b32_e32 v112, 5, v26
	v_lshlrev_b32_e32 v113, 5, v28
	v_lshlrev_b32_e32 v114, 5, v29
	v_mul_u32_u24_e32 v115, 0x84, v0
	v_mad_u32_u24 v116, 0x84, v0, s11
	v_mad_u32_u24 v118, 0x84, v0, s1
	v_add_co_ci_u32_e64 v8, null, s3, 0, s0
	v_mad_u32_u24 v119, 0x84, v0, 64
	v_lshl_add_u32 v120, v1, 4, 0x6a40
	v_add_nc_u32_e32 v121, 0x4200, v2
	v_lshlrev_b32_e32 v122, 4, v0
	v_lshlrev_b32_e32 v123, 2, v18
	;; [unrolled: 1-line block ×7, first 2 shown]
	v_add_nc_u32_e32 v129, v14, v2
	v_add_nc_u32_e32 v130, v14, v3
	;; [unrolled: 1-line block ×8, first 2 shown]
	v_lshlrev_b32_e32 v137, 2, v21
	v_lshlrev_b32_e32 v138, 2, v20
	;; [unrolled: 1-line block ×4, first 2 shown]
	v_mov_b32_e32 v141, 0xffff
	v_mov_b32_e32 v90, 0
	;; [unrolled: 1-line block ×33, first 2 shown]
	s_mov_b32 s11, 0
.LBB131_5:                              ; =>This Loop Header: Depth=1
                                        ;     Child Loop BB131_6 Depth 2
                                        ;     Child Loop BB131_8 Depth 2
	s_mul_i32 s0, s11, 0x90
	s_mul_hi_u32 s1, s11, 0x90
	s_add_u32 s0, s5, s0
	s_addc_u32 s1, s9, s1
	s_mov_b32 s14, 0
	v_mad_u64_u32 v[2:3], null, 0x90, v34, s[0:1]
	v_mad_u64_u32 v[4:5], null, 0x90, v59, v[2:3]
	v_add_co_u32 v4, vcc_lo, v4, v51
	v_add_co_ci_u32_e64 v5, null, 0, v5, vcc_lo
	global_load_dword v4, v[4:5], off offset:16
	s_waitcnt vmcnt(0)
	ds_write_b32 v52, v4
	v_mad_u64_u32 v[4:5], null, 0x90, v38, v[2:3]
	v_add_co_u32 v4, vcc_lo, v4, v51
	v_add_co_ci_u32_e64 v5, null, 0, v5, vcc_lo
	global_load_dword v4, v[4:5], off offset:16
	s_waitcnt vmcnt(0)
	ds_write_b32 v60, v4
	;; [unrolled: 6-line block ×14, first 2 shown]
	v_mad_u64_u32 v[4:5], null, 0x90, v81, v[2:3]
	v_mad_u64_u32 v[2:3], null, 0x90, v84, v[2:3]
	v_add_co_u32 v4, vcc_lo, v4, v51
	v_add_co_ci_u32_e64 v5, null, 0, v5, vcc_lo
	v_add_co_u32 v2, vcc_lo, v2, v51
	v_add_co_ci_u32_e64 v3, null, 0, v3, vcc_lo
	s_clause 0x1
	global_load_dword v4, v[4:5], off offset:16
	global_load_dword v2, v[2:3], off offset:16
	s_waitcnt vmcnt(0)
	ds_write_b32 v80, v2
	v_mad_u64_u32 v[2:3], null, 0x90, v82, s[0:1]
	global_load_dword v2, v[2:3], off
	ds_write_b32 v78, v4
	s_waitcnt vmcnt(0)
	ds_write_b32 v83, v2
	v_mad_u64_u32 v[2:3], null, 0x90, v88, s[0:1]
	v_add_co_u32 v4, vcc_lo, v2, v127
	v_add_co_ci_u32_e64 v5, null, 0, v3, vcc_lo
	v_add_co_u32 v2, vcc_lo, v2, v128
	v_add_co_ci_u32_e64 v3, null, 0, v3, vcc_lo
	s_clause 0x1
	global_load_dword v4, v[4:5], off offset:4
	global_load_dword v2, v[2:3], off offset:4
	s_waitcnt vmcnt(1)
	v_ashrrev_i32_e32 v4, v86, v4
	s_waitcnt vmcnt(0)
	v_ashrrev_i32_e32 v2, v87, v2
	v_and_b32_e32 v4, 0xf0f0f0f, v4
	v_and_or_b32 v2, 0x30303030, v2, v4
	ds_write_b32 v89, v2
	v_mad_u64_u32 v[2:3], null, 0x90, v91, s[0:1]
	s_lshl_b32 s0, s11, 3
	s_mov_b32 s1, -1
	v_add_co_u32 v4, vcc_lo, v2, v127
	v_add_co_ci_u32_e64 v5, null, 0, v3, vcc_lo
	v_add_co_u32 v2, vcc_lo, v2, v128
	v_add_co_ci_u32_e64 v3, null, 0, v3, vcc_lo
	s_clause 0x1
	global_load_dword v4, v[4:5], off offset:4
	global_load_dword v2, v[2:3], off offset:4
	v_add_nc_u32_e32 v5, s0, v94
	v_add_nc_u32_e32 v3, v5, v95
	s_waitcnt vmcnt(1)
	v_ashrrev_i32_e32 v4, v86, v4
	s_waitcnt vmcnt(0)
	v_ashrrev_i32_e32 v2, v87, v2
	v_and_b32_e32 v4, 0xf0f0f0f, v4
	v_and_or_b32 v2, 0x30303030, v2, v4
	v_mad_i64_i32 v[3:4], null, v3, 36, v[7:8]
	ds_write_b32 v92, v2
	v_add_nc_u32_e32 v2, s0, v6
	global_load_dword v3, v[3:4], off offset:4
	s_waitcnt vmcnt(0)
	ds_write_b32 v129, v3
	v_add_nc_u32_e32 v3, v5, v96
	v_mad_i64_i32 v[3:4], null, v3, 36, v[7:8]
	global_load_dword v3, v[3:4], off offset:4
	s_waitcnt vmcnt(0)
	ds_write_b32 v130, v3
	v_add_nc_u32_e32 v3, v5, v97
	v_mad_i64_i32 v[3:4], null, v3, 36, v[7:8]
	global_load_dword v3, v[3:4], off offset:4
	s_waitcnt vmcnt(0)
	ds_write_b32 v131, v3
	v_add_nc_u32_e32 v3, v5, v98
	v_mad_i64_i32 v[3:4], null, v3, 36, v[7:8]
	global_load_dword v3, v[3:4], off offset:4
	s_waitcnt vmcnt(0)
	ds_write_b32 v132, v3
	v_add_nc_u32_e32 v3, v5, v99
	v_mad_i64_i32 v[3:4], null, v3, 36, v[7:8]
	global_load_dword v3, v[3:4], off offset:4
	s_waitcnt vmcnt(0)
	ds_write_b32 v133, v3
	v_add_nc_u32_e32 v3, v5, v100
	v_mad_i64_i32 v[3:4], null, v3, 36, v[7:8]
	global_load_dword v3, v[3:4], off offset:4
	s_waitcnt vmcnt(0)
	ds_write_b32 v134, v3
	v_add_nc_u32_e32 v3, v5, v101
	v_mad_i64_i32 v[3:4], null, v3, 36, v[7:8]
	global_load_dword v3, v[3:4], off offset:4
	s_waitcnt vmcnt(0)
	ds_write_b32 v135, v3
	v_add_nc_u32_e32 v3, v5, v102
	v_mad_i64_i32 v[3:4], null, v3, 36, v[7:8]
	global_load_dword v3, v[3:4], off offset:4
	s_waitcnt vmcnt(0)
	ds_write_b32 v136, v3
	v_mad_u64_u32 v[3:4], null, v2, 36, s[2:3]
	global_load_dword v3, v[3:4], off
	s_waitcnt vmcnt(0)
	ds_write_b32 v93, v3
	s_waitcnt lgkmcnt(0)
	s_barrier
	buffer_gl0_inv
	ds_read_b32 v4, v104
	ds_read_b32 v9, v105 offset:128
	ds_read_b32 v11, v106 offset:256
	;; [unrolled: 1-line block ×3, first 2 shown]
	s_waitcnt lgkmcnt(3)
	v_cvt_f32_f16_e32 v3, v4
	v_cvt_f32_f16_sdwa v4, v4 dst_sel:DWORD dst_unused:UNUSED_PAD src0_sel:WORD_1
	s_waitcnt lgkmcnt(2)
	v_cvt_f32_f16_sdwa v5, v9 dst_sel:DWORD dst_unused:UNUSED_PAD src0_sel:WORD_1
	v_cvt_f32_f16_e32 v9, v9
	s_waitcnt lgkmcnt(1)
	v_cvt_f32_f16_sdwa v10, v11 dst_sel:DWORD dst_unused:UNUSED_PAD src0_sel:WORD_1
	v_cvt_f32_f16_e32 v11, v11
	;; [unrolled: 3-line block ×3, first 2 shown]
.LBB131_6:                              ;   Parent Loop BB131_5 Depth=1
                                        ; =>  This Inner Loop Header: Depth=2
	s_lshl_b32 s15, s14, 1
	s_lshl_b32 s16, s14, 2
	v_or_b32_e32 v198, s15, v42
	v_add_nc_u32_e32 v231, s16, v115
	v_add_nc_u32_e32 v233, s16, v116
	;; [unrolled: 1-line block ×4, first 2 shown]
	v_lshlrev_b32_e32 v211, 2, v198
	ds_read2_b32 v[151:152], v231 offset1:1
	ds_read2_b32 v[172:173], v233 offset1:1
	ds_read2_b32 v[174:175], v235 offset1:1
	ds_read2_b32 v[190:191], v233 offset0:2 offset1:3
	ds_read2_b32 v[188:189], v231 offset0:2 offset1:3
	ds_read2_b32 v[186:187], v237 offset1:1
	ds_read2_b32 v[199:200], v237 offset0:2 offset1:3
	ds_read2_b32 v[192:193], v235 offset0:2 offset1:3
	ds_read_b128 v[142:145], v211 offset:16896
	v_mov_b32_e32 v197, 0
	v_mov_b32_e32 v196, 0
	;; [unrolled: 1-line block ×4, first 2 shown]
	v_or_b32_e32 v185, s15, v108
	v_mov_b32_e32 v184, 0
	v_mov_b32_e32 v183, 0
	;; [unrolled: 1-line block ×4, first 2 shown]
	v_lshlrev_b32_e32 v212, 2, v185
	v_or_b32_e32 v181, s15, v109
	s_waitcnt lgkmcnt(8)
	v_and_b32_e32 v15, 0xf0f0f0f, v151
	s_waitcnt lgkmcnt(7)
	v_and_b32_e32 v16, 0xf0f0f0f, v172
	;; [unrolled: 2-line block ×3, first 2 shown]
	v_and_b32_e32 v201, 0xf0f0f0f, v152
	v_and_b32_e32 v202, 0xf0f0f0f, v173
	s_waitcnt lgkmcnt(3)
	v_and_b32_e32 v156, 0xf0f0f0f, v186
	v_and_b32_e32 v203, 0xf0f0f0f, v175
	;; [unrolled: 1-line block ×3, first 2 shown]
	s_waitcnt lgkmcnt(0)
	v_dot4c_i32_i8 v197, v15, v142
	v_dot4c_i32_i8 v196, v16, v142
	;; [unrolled: 1-line block ×4, first 2 shown]
	v_and_b32_e32 v205, 0xf0f0f0f, v188
	v_dot4c_i32_i8 v197, v201, v143
	v_dot4c_i32_i8 v196, v202, v143
	;; [unrolled: 1-line block ×4, first 2 shown]
	v_and_b32_e32 v206, 0xf0f0f0f, v190
	v_and_b32_e32 v207, 0xf0f0f0f, v192
	;; [unrolled: 1-line block ×3, first 2 shown]
	v_dot4c_i32_i8 v197, v205, v144
	v_and_b32_e32 v209, 0xf0f0f0f, v189
	v_dot4c_i32_i8 v196, v206, v144
	v_dot4c_i32_i8 v195, v207, v144
	;; [unrolled: 1-line block ×3, first 2 shown]
	v_and_b32_e32 v210, 0xf0f0f0f, v191
	v_and_b32_e32 v219, 0xf0f0f0f, v193
	;; [unrolled: 1-line block ×3, first 2 shown]
	v_dot4c_i32_i8 v197, v209, v145
	v_lshlrev_b32_e32 v213, 2, v181
	v_dot4c_i32_i8 v196, v210, v145
	v_dot4c_i32_i8 v195, v219, v145
	;; [unrolled: 1-line block ×3, first 2 shown]
	ds_read_b128 v[142:145], v212 offset:16896
	v_mov_b32_e32 v179, 0
	v_mov_b32_e32 v178, 0
	;; [unrolled: 1-line block ×4, first 2 shown]
	v_or_b32_e32 v171, s15, v110
	v_mov_b32_e32 v170, 0
	v_mov_b32_e32 v169, 0
	;; [unrolled: 1-line block ×4, first 2 shown]
	v_lshlrev_b32_e32 v214, 2, v171
	v_or_b32_e32 v167, s15, v111
	v_mov_b32_e32 v165, 0
	v_mov_b32_e32 v164, 0
	;; [unrolled: 1-line block ×4, first 2 shown]
	v_lshlrev_b32_e32 v215, 2, v167
	v_or_b32_e32 v161, s15, v112
	v_mov_b32_e32 v160, 0
	v_mov_b32_e32 v159, 0
	s_waitcnt lgkmcnt(0)
	v_dot4c_i32_i8 v184, v15, v142
	v_dot4c_i32_i8 v183, v16, v142
	;; [unrolled: 1-line block ×4, first 2 shown]
	v_lshlrev_b32_e32 v216, 2, v161
	v_dot4c_i32_i8 v184, v201, v143
	v_dot4c_i32_i8 v183, v202, v143
	;; [unrolled: 1-line block ×4, first 2 shown]
	v_mov_b32_e32 v158, 0
	v_dot4c_i32_i8 v184, v205, v144
	v_dot4c_i32_i8 v183, v206, v144
	v_dot4c_i32_i8 v182, v207, v144
	v_dot4c_i32_i8 v180, v208, v144
	v_mov_b32_e32 v157, 0
	v_dot4c_i32_i8 v184, v209, v145
	v_dot4c_i32_i8 v183, v210, v145
	v_dot4c_i32_i8 v182, v219, v145
	v_dot4c_i32_i8 v180, v220, v145
	ds_read_b128 v[142:145], v213 offset:16896
	v_or_b32_e32 v155, s15, v113
	v_mov_b32_e32 v154, 0
	v_mov_b32_e32 v150, 0
	;; [unrolled: 1-line block ×4, first 2 shown]
	v_lshlrev_b32_e32 v217, 2, v155
	v_or_b32_e32 v148, s15, v114
	v_mov_b32_e32 v14, 0
	v_lshrrev_b32_e32 v186, 4, v186
	v_lshrrev_b32_e32 v187, 4, v187
	s_lshr_b32 s14, s14, 2
	v_lshlrev_b32_e32 v218, 2, v148
	s_addk_i32 s14, 0x6200
	v_and_b32_e32 v239, 0xf0f0f0f, v186
	v_and_b32_e32 v240, 0xf0f0f0f, v187
	v_mov_b32_e32 v187, 0
	v_mov_b32_e32 v186, 0
	v_lshrrev_b32_e32 v185, 1, v185
	v_lshrrev_b32_e32 v181, 1, v181
	s_waitcnt lgkmcnt(0)
	v_dot4c_i32_i8 v179, v15, v142
	v_dot4c_i32_i8 v178, v16, v142
	v_dot4c_i32_i8 v177, v153, v142
	v_dot4c_i32_i8 v176, v156, v142
	v_lshrrev_b32_e32 v171, 1, v171
	v_dot4c_i32_i8 v179, v201, v143
	v_dot4c_i32_i8 v178, v202, v143
	v_dot4c_i32_i8 v177, v203, v143
	v_dot4c_i32_i8 v176, v204, v143
	v_lshrrev_b32_e32 v167, 1, v167
	;; [unrolled: 5-line block ×3, first 2 shown]
	v_dot4c_i32_i8 v179, v209, v145
	v_dot4c_i32_i8 v178, v210, v145
	;; [unrolled: 1-line block ×4, first 2 shown]
	ds_read_b128 v[142:145], v214 offset:16896
	v_lshrrev_b32_e32 v155, 1, v155
	s_and_b32 vcc_lo, exec_lo, s1
	s_mov_b32 s1, 0
	s_waitcnt lgkmcnt(0)
	v_dot4c_i32_i8 v170, v15, v142
	v_dot4c_i32_i8 v169, v16, v142
	v_dot4c_i32_i8 v168, v153, v142
	v_dot4c_i32_i8 v166, v156, v142
	v_dot4c_i32_i8 v170, v201, v143
	v_dot4c_i32_i8 v169, v202, v143
	v_dot4c_i32_i8 v168, v203, v143
	v_dot4c_i32_i8 v166, v204, v143
	v_dot4c_i32_i8 v170, v205, v144
	v_dot4c_i32_i8 v169, v206, v144
	v_dot4c_i32_i8 v168, v207, v144
	v_dot4c_i32_i8 v166, v208, v144
	v_dot4c_i32_i8 v170, v209, v145
	v_dot4c_i32_i8 v169, v210, v145
	v_dot4c_i32_i8 v168, v219, v145
	v_dot4c_i32_i8 v166, v220, v145
	ds_read_b128 v[142:145], v215 offset:16896
	s_waitcnt lgkmcnt(0)
	v_dot4c_i32_i8 v165, v15, v142
	v_dot4c_i32_i8 v164, v16, v142
	v_dot4c_i32_i8 v163, v153, v142
	v_dot4c_i32_i8 v162, v156, v142
	v_dot4c_i32_i8 v165, v201, v143
	v_dot4c_i32_i8 v164, v202, v143
	v_dot4c_i32_i8 v163, v203, v143
	v_dot4c_i32_i8 v162, v204, v143
	v_dot4c_i32_i8 v165, v205, v144
	v_dot4c_i32_i8 v164, v206, v144
	v_dot4c_i32_i8 v163, v207, v144
	v_dot4c_i32_i8 v162, v208, v144
	v_dot4c_i32_i8 v165, v209, v145
	v_dot4c_i32_i8 v164, v210, v145
	v_dot4c_i32_i8 v163, v219, v145
	v_dot4c_i32_i8 v162, v220, v145
	ds_read_b128 v[142:145], v216 offset:16896
	;; [unrolled: 18-line block ×3, first 2 shown]
	s_waitcnt lgkmcnt(0)
	v_dot4c_i32_i8 v154, v15, v142
	v_dot4c_i32_i8 v150, v16, v142
	;; [unrolled: 1-line block ×4, first 2 shown]
	v_mov_b32_e32 v142, 0
	v_dot4c_i32_i8 v154, v201, v143
	v_dot4c_i32_i8 v150, v202, v143
	;; [unrolled: 1-line block ×12, first 2 shown]
	ds_read_b128 v[143:146], v218 offset:16896
	s_waitcnt lgkmcnt(0)
	v_dot4c_i32_i8 v14, v15, v143
	v_mov_b32_e32 v15, 0
	v_dot4c_i32_i8 v142, v156, v143
	v_lshrrev_b32_e32 v156, 4, v191
	v_mov_b32_e32 v191, 0
	v_dot4c_i32_i8 v14, v201, v144
	v_dot4c_i32_i8 v15, v16, v143
	v_mov_b32_e32 v16, 0
	v_dot4c_i32_i8 v142, v204, v144
	v_and_b32_e32 v230, 0xf0f0f0f, v156
	v_dot4c_i32_i8 v14, v205, v145
	v_dot4c_i32_i8 v15, v202, v144
	;; [unrolled: 1-line block ×4, first 2 shown]
	v_lshrrev_b32_e32 v143, 4, v151
	v_dot4c_i32_i8 v14, v209, v146
	v_dot4c_i32_i8 v15, v206, v145
	;; [unrolled: 1-line block ×4, first 2 shown]
	v_lshrrev_b32_e32 v144, 4, v152
	v_and_b32_e32 v223, 0xf0f0f0f, v143
	v_dot4c_i32_i8 v15, v210, v146
	v_dot4c_i32_i8 v16, v207, v145
	v_lshrrev_b32_e32 v145, 4, v188
	v_and_b32_e32 v224, 0xf0f0f0f, v144
	v_lshrrev_b32_e32 v151, 4, v172
	v_lshrrev_b32_e32 v172, 4, v174
	v_dot4c_i32_i8 v16, v219, v146
	v_lshrrev_b32_e32 v146, 4, v189
	v_and_b32_e32 v225, 0xf0f0f0f, v145
	v_lshrrev_b32_e32 v152, 4, v173
	v_lshrrev_b32_e32 v173, 4, v175
	v_and_b32_e32 v227, 0xf0f0f0f, v151
	v_and_b32_e32 v226, 0xf0f0f0f, v146
	ds_read_b128 v[143:146], v211 offset:16928
	ds_read_b128 v[219:222], v218 offset:16928
	v_and_b32_e32 v232, 0xf0f0f0f, v172
	v_mov_b32_e32 v210, 0
	v_mov_b32_e32 v209, 0
	;; [unrolled: 1-line block ×4, first 2 shown]
	v_lshrrev_b32_e32 v153, 4, v190
	v_lshrrev_b32_e32 v174, 4, v192
	;; [unrolled: 1-line block ×3, first 2 shown]
	v_and_b32_e32 v228, 0xf0f0f0f, v152
	v_and_b32_e32 v234, 0xf0f0f0f, v173
	v_lshrrev_b32_e32 v175, 4, v193
	v_lshrrev_b32_e32 v189, 4, v200
	v_and_b32_e32 v229, 0xf0f0f0f, v153
	v_and_b32_e32 v236, 0xf0f0f0f, v174
	;; [unrolled: 1-line block ×5, first 2 shown]
	v_mov_b32_e32 v206, 0
	s_waitcnt lgkmcnt(1)
	v_dot4c_i32_i8 v210, v223, v143
	v_dot4c_i32_i8 v209, v227, v143
	v_dot4c_i32_i8 v208, v232, v143
	v_dot4c_i32_i8 v207, v239, v143
	v_mov_b32_e32 v205, 0
	v_dot4c_i32_i8 v210, v224, v144
	v_dot4c_i32_i8 v209, v228, v144
	v_dot4c_i32_i8 v208, v234, v144
	v_dot4c_i32_i8 v207, v240, v144
	v_mov_b32_e32 v204, 0
	;; [unrolled: 5-line block ×3, first 2 shown]
	v_dot4c_i32_i8 v210, v226, v146
	v_dot4c_i32_i8 v209, v230, v146
	;; [unrolled: 1-line block ×4, first 2 shown]
	ds_read_b128 v[143:146], v212 offset:16928
	v_mov_b32_e32 v202, 0
	v_mov_b32_e32 v201, 0
	;; [unrolled: 1-line block ×17, first 2 shown]
	s_waitcnt lgkmcnt(0)
	v_dot4c_i32_i8 v206, v223, v143
	v_dot4c_i32_i8 v205, v227, v143
	v_dot4c_i32_i8 v204, v232, v143
	v_dot4c_i32_i8 v203, v239, v143
	v_dot4c_i32_i8 v206, v224, v144
	v_dot4c_i32_i8 v205, v228, v144
	v_dot4c_i32_i8 v204, v234, v144
	v_dot4c_i32_i8 v203, v240, v144
	v_dot4c_i32_i8 v206, v225, v145
	v_dot4c_i32_i8 v205, v229, v145
	v_dot4c_i32_i8 v204, v236, v145
	v_dot4c_i32_i8 v203, v241, v145
	v_dot4c_i32_i8 v206, v226, v146
	v_dot4c_i32_i8 v205, v230, v146
	v_dot4c_i32_i8 v204, v238, v146
	v_dot4c_i32_i8 v203, v242, v146
	ds_read_b128 v[143:146], v213 offset:16928
	s_waitcnt lgkmcnt(0)
	v_dot4c_i32_i8 v202, v223, v143
	v_dot4c_i32_i8 v201, v227, v143
	v_dot4c_i32_i8 v200, v232, v143
	v_dot4c_i32_i8 v199, v239, v143
	v_dot4c_i32_i8 v202, v224, v144
	v_dot4c_i32_i8 v201, v228, v144
	v_dot4c_i32_i8 v200, v234, v144
	v_dot4c_i32_i8 v199, v240, v144
	v_dot4c_i32_i8 v202, v225, v145
	v_dot4c_i32_i8 v201, v229, v145
	v_dot4c_i32_i8 v200, v236, v145
	v_dot4c_i32_i8 v199, v241, v145
	v_dot4c_i32_i8 v202, v226, v146
	v_dot4c_i32_i8 v201, v230, v146
	v_dot4c_i32_i8 v200, v238, v146
	v_dot4c_i32_i8 v199, v242, v146
	ds_read_b128 v[143:146], v214 offset:16928
	;; [unrolled: 18-line block ×5, first 2 shown]
	s_waitcnt lgkmcnt(0)
	v_dot4c_i32_i8 v156, v223, v143
	v_dot4c_i32_i8 v153, v227, v143
	;; [unrolled: 1-line block ×4, first 2 shown]
	v_mov_b32_e32 v143, 0
	v_dot4c_i32_i8 v156, v224, v144
	v_dot4c_i32_i8 v153, v228, v144
	;; [unrolled: 1-line block ×4, first 2 shown]
	v_mov_b32_e32 v144, 0
	v_dot4c_i32_i8 v156, v225, v145
	v_dot4c_i32_i8 v153, v229, v145
	;; [unrolled: 1-line block ×10, first 2 shown]
	v_mov_b32_e32 v145, 0
	v_mov_b32_e32 v146, 0
	v_dot4c_i32_i8 v143, v224, v220
	ds_read2_b32 v[223:224], v231 offset0:4 offset1:5
	v_dot4c_i32_i8 v144, v228, v220
	v_dot4c_i32_i8 v145, v232, v219
	v_dot4c_i32_i8 v146, v239, v219
	v_dot4c_i32_i8 v143, v225, v221
	ds_read2_b32 v[227:228], v235 offset0:4 offset1:5
	v_dot4c_i32_i8 v144, v229, v221
	v_dot4c_i32_i8 v145, v234, v220
	v_dot4c_i32_i8 v146, v240, v220
	;; [unrolled: 5-line block ×3, first 2 shown]
	ds_read2_b32 v[229:230], v237 offset0:4 offset1:5
	ds_read2_b32 v[235:236], v235 offset0:6 offset1:7
	v_dot4c_i32_i8 v145, v238, v222
	v_dot4c_i32_i8 v146, v242, v222
	ds_read_b128 v[219:222], v211 offset:16912
	ds_read2_b32 v[231:232], v231 offset0:6 offset1:7
	ds_read2_b32 v[233:234], v233 offset0:6 offset1:7
	ds_read2_b32 v[237:238], v237 offset0:6 offset1:7
	s_waitcnt lgkmcnt(8)
	v_and_b32_e32 v239, 0xf0f0f0f, v223
	v_and_b32_e32 v243, 0xf0f0f0f, v224
	s_waitcnt lgkmcnt(7)
	v_and_b32_e32 v241, 0xf0f0f0f, v227
	v_and_b32_e32 v245, 0xf0f0f0f, v228
	v_lshrrev_b32_e32 v227, 4, v227
	v_lshrrev_b32_e32 v228, 4, v228
	s_waitcnt lgkmcnt(6)
	v_and_b32_e32 v240, 0xf0f0f0f, v225
	v_and_b32_e32 v244, 0xf0f0f0f, v226
	;; [unrolled: 1-line block ×4, first 2 shown]
	s_waitcnt lgkmcnt(5)
	v_and_b32_e32 v242, 0xf0f0f0f, v229
	v_and_b32_e32 v246, 0xf0f0f0f, v230
	s_waitcnt lgkmcnt(4)
	v_and_b32_e32 v249, 0xf0f0f0f, v235
	v_and_b32_e32 v253, 0xf0f0f0f, v236
	v_lshrrev_b32_e32 v229, 4, v229
	s_waitcnt lgkmcnt(3)
	v_dot4c_i32_i8 v197, v239, v219
	v_dot4c_i32_i8 v196, v240, v219
	;; [unrolled: 1-line block ×4, first 2 shown]
	s_waitcnt lgkmcnt(2)
	v_and_b32_e32 v247, 0xf0f0f0f, v231
	v_dot4c_i32_i8 v197, v243, v220
	v_dot4c_i32_i8 v196, v244, v220
	v_dot4c_i32_i8 v195, v245, v220
	v_dot4c_i32_i8 v194, v246, v220
	s_waitcnt lgkmcnt(1)
	v_and_b32_e32 v248, 0xf0f0f0f, v233
	s_waitcnt lgkmcnt(0)
	v_and_b32_e32 v250, 0xf0f0f0f, v237
	v_dot4c_i32_i8 v197, v247, v221
	v_dot4c_i32_i8 v195, v249, v221
	v_and_b32_e32 v251, 0xf0f0f0f, v232
	v_dot4c_i32_i8 v196, v248, v221
	v_dot4c_i32_i8 v194, v250, v221
	v_and_b32_e32 v252, 0xf0f0f0f, v234
	v_and_b32_e32 v254, 0xf0f0f0f, v238
	v_dot4c_i32_i8 v197, v251, v222
	v_dot4c_i32_i8 v195, v253, v222
	v_lshrrev_b32_e32 v230, 4, v230
	v_dot4c_i32_i8 v196, v252, v222
	v_dot4c_i32_i8 v194, v254, v222
	ds_read_b128 v[219:222], v212 offset:16912
	v_and_b32_e32 v229, 0xf0f0f0f, v229
	v_and_b32_e32 v230, 0xf0f0f0f, v230
	s_waitcnt lgkmcnt(0)
	v_dot4c_i32_i8 v184, v239, v219
	v_dot4c_i32_i8 v183, v240, v219
	v_dot4c_i32_i8 v182, v241, v219
	v_dot4c_i32_i8 v180, v242, v219
	v_dot4c_i32_i8 v184, v243, v220
	v_dot4c_i32_i8 v183, v244, v220
	v_dot4c_i32_i8 v182, v245, v220
	v_dot4c_i32_i8 v180, v246, v220
	v_dot4c_i32_i8 v184, v247, v221
	v_dot4c_i32_i8 v183, v248, v221
	v_dot4c_i32_i8 v182, v249, v221
	v_dot4c_i32_i8 v180, v250, v221
	v_dot4c_i32_i8 v184, v251, v222
	v_dot4c_i32_i8 v183, v252, v222
	v_dot4c_i32_i8 v182, v253, v222
	v_dot4c_i32_i8 v180, v254, v222
	ds_read_b128 v[219:222], v213 offset:16912
	s_waitcnt lgkmcnt(0)
	v_dot4c_i32_i8 v179, v239, v219
	v_dot4c_i32_i8 v178, v240, v219
	v_dot4c_i32_i8 v177, v241, v219
	v_dot4c_i32_i8 v176, v242, v219
	v_dot4c_i32_i8 v179, v243, v220
	v_dot4c_i32_i8 v178, v244, v220
	v_dot4c_i32_i8 v177, v245, v220
	v_dot4c_i32_i8 v176, v246, v220
	v_dot4c_i32_i8 v179, v247, v221
	v_dot4c_i32_i8 v178, v248, v221
	v_dot4c_i32_i8 v177, v249, v221
	v_dot4c_i32_i8 v176, v250, v221
	v_dot4c_i32_i8 v179, v251, v222
	v_dot4c_i32_i8 v178, v252, v222
	v_dot4c_i32_i8 v177, v253, v222
	v_dot4c_i32_i8 v176, v254, v222
	ds_read_b128 v[219:222], v214 offset:16912
	;; [unrolled: 18-line block ×6, first 2 shown]
	s_waitcnt lgkmcnt(0)
	v_dot4c_i32_i8 v14, v239, v219
	v_dot4c_i32_i8 v15, v240, v219
	v_dot4c_i32_i8 v16, v241, v219
	v_dot4c_i32_i8 v142, v242, v219
	v_lshrrev_b32_e32 v219, 4, v223
	v_dot4c_i32_i8 v14, v243, v220
	v_dot4c_i32_i8 v15, v244, v220
	v_dot4c_i32_i8 v16, v245, v220
	v_dot4c_i32_i8 v142, v246, v220
	v_lshrrev_b32_e32 v220, 4, v224
	;; [unrolled: 5-line block ×4, first 2 shown]
	v_lshrrev_b32_e32 v223, 4, v225
	v_lshrrev_b32_e32 v224, 4, v226
	;; [unrolled: 1-line block ×8, first 2 shown]
	v_and_b32_e32 v235, 0xf0f0f0f, v219
	v_and_b32_e32 v236, 0xf0f0f0f, v220
	;; [unrolled: 1-line block ×4, first 2 shown]
	ds_read_b128 v[219:222], v211 offset:16944
	v_and_b32_e32 v223, 0xf0f0f0f, v223
	v_and_b32_e32 v224, 0xf0f0f0f, v224
	;; [unrolled: 1-line block ×8, first 2 shown]
	s_waitcnt lgkmcnt(0)
	v_dot4c_i32_i8 v210, v235, v219
	v_dot4c_i32_i8 v209, v223, v219
	;; [unrolled: 1-line block ×16, first 2 shown]
	ds_read_b128 v[219:222], v212 offset:16944
	s_waitcnt lgkmcnt(0)
	v_dot4c_i32_i8 v206, v235, v219
	v_dot4c_i32_i8 v205, v223, v219
	;; [unrolled: 1-line block ×16, first 2 shown]
	ds_read_b128 v[219:222], v213 offset:16944
	ds_read_b128 v[211:214], v214 offset:16944
	s_waitcnt lgkmcnt(1)
	v_dot4c_i32_i8 v201, v223, v219
	s_waitcnt lgkmcnt(0)
	v_dot4c_i32_i8 v193, v235, v211
	v_dot4c_i32_i8 v192, v223, v211
	;; [unrolled: 1-line block ×19, first 2 shown]
	ds_read_b128 v[211:214], v215 offset:16944
	v_add3_u32 v215, s14, v126, v137
	v_dot4c_i32_i8 v201, v226, v222
	v_dot4c_i32_i8 v202, v235, v219
	;; [unrolled: 1-line block ×12, first 2 shown]
	s_waitcnt lgkmcnt(0)
	v_dot4c_i32_i8 v189, v235, v211
	v_dot4c_i32_i8 v188, v223, v211
	v_dot4c_i32_i8 v187, v227, v211
	v_dot4c_i32_i8 v186, v229, v211
	v_dot4c_i32_i8 v189, v236, v212
	v_dot4c_i32_i8 v188, v224, v212
	v_dot4c_i32_i8 v187, v228, v212
	v_dot4c_i32_i8 v186, v230, v212
	v_dot4c_i32_i8 v189, v237, v213
	v_dot4c_i32_i8 v188, v225, v213
	v_dot4c_i32_i8 v187, v231, v213
	v_dot4c_i32_i8 v186, v233, v213
	v_dot4c_i32_i8 v189, v238, v214
	v_dot4c_i32_i8 v188, v226, v214
	v_dot4c_i32_i8 v187, v232, v214
	v_dot4c_i32_i8 v186, v234, v214
	ds_read_b128 v[211:214], v216 offset:16944
	v_add3_u32 v216, s14, v125, v138
	s_waitcnt lgkmcnt(0)
	v_dot4c_i32_i8 v175, v235, v211
	v_dot4c_i32_i8 v174, v223, v211
	v_dot4c_i32_i8 v173, v227, v211
	v_dot4c_i32_i8 v172, v229, v211
	v_dot4c_i32_i8 v175, v236, v212
	v_dot4c_i32_i8 v174, v224, v212
	v_dot4c_i32_i8 v173, v228, v212
	v_dot4c_i32_i8 v172, v230, v212
	v_dot4c_i32_i8 v175, v237, v213
	v_dot4c_i32_i8 v174, v225, v213
	v_dot4c_i32_i8 v173, v231, v213
	v_dot4c_i32_i8 v172, v233, v213
	v_dot4c_i32_i8 v175, v238, v214
	v_dot4c_i32_i8 v174, v226, v214
	v_dot4c_i32_i8 v173, v232, v214
	v_dot4c_i32_i8 v172, v234, v214
	ds_read_b128 v[211:214], v217 offset:16944
	v_add3_u32 v217, s14, v124, v139
	;; [unrolled: 19-line block ×3, first 2 shown]
	s_mov_b32 s14, 8
	s_waitcnt lgkmcnt(0)
	v_dot4c_i32_i8 v143, v235, v211
	v_dot4c_i32_i8 v144, v223, v211
	;; [unrolled: 1-line block ×8, first 2 shown]
	v_lshrrev_b32_e32 v212, 1, v198
	ds_read_u16 v198, v215
	v_dot4c_i32_i8 v144, v225, v213
	v_dot4c_i32_i8 v143, v237, v213
	;; [unrolled: 1-line block ×5, first 2 shown]
	ds_read_b64 v[226:227], v212 offset:27200
	v_dot4c_i32_i8 v143, v238, v214
	v_dot4c_i32_i8 v145, v232, v214
	v_dot4c_i32_i8 v146, v234, v214
	s_waitcnt lgkmcnt(1)
	v_and_b32_e32 v211, 0xff, v198
	v_and_b32_sdwa v198, v141, v198 dst_sel:DWORD dst_unused:UNUSED_PAD src0_sel:DWORD src1_sel:BYTE_1
	v_mul_lo_u32 v197, v197, v211
	v_mul_lo_u32 v210, v210, v198
	;; [unrolled: 1-line block ×8, first 2 shown]
	v_cvt_f32_i32_e32 v197, v197
	v_cvt_f32_i32_e32 v210, v210
	;; [unrolled: 1-line block ×3, first 2 shown]
	v_mul_lo_u32 v165, v165, v211
	v_cvt_f32_i32_e32 v179, v179
	s_waitcnt lgkmcnt(0)
	v_fma_mix_f32 v197, v226, v197, 0 op_sel_hi:[1,0,0]
	v_cvt_f32_i32_e32 v170, v170
	v_mul_lo_u32 v189, v189, v198
	v_mul_lo_u32 v175, v175, v198
	v_mul_lo_u32 v154, v154, v211
	v_fma_mix_f32 v197, v227, v210, v197 op_sel_hi:[1,0,0]
	ds_read_u16 v210, v216
	v_cvt_f32_i32_e32 v165, v165
	v_mul_lo_u32 v160, v160, v211
	v_mul_lo_u32 v156, v156, v198
	;; [unrolled: 1-line block ×4, first 2 shown]
	v_cvt_f32_i32_e32 v160, v160
	v_cvt_f32_i32_e32 v156, v156
	;; [unrolled: 1-line block ×4, first 2 shown]
	s_waitcnt lgkmcnt(0)
	v_and_b32_e32 v212, 0xff, v210
	v_and_b32_sdwa v210, v141, v210 dst_sel:DWORD dst_unused:UNUSED_PAD src0_sel:DWORD src1_sel:BYTE_1
	v_mul_lo_u32 v196, v196, v212
	v_mul_lo_u32 v209, v209, v210
	;; [unrolled: 1-line block ×8, first 2 shown]
	v_cvt_f32_i32_e32 v196, v196
	v_cvt_f32_i32_e32 v209, v209
	;; [unrolled: 1-line block ×5, first 2 shown]
	v_fma_mix_f32 v196, v226, v196, 0 op_sel_hi:[1,0,0]
	v_cvt_f32_i32_e32 v164, v164
	v_cvt_f32_i32_e32 v150, v150
	;; [unrolled: 1-line block ×3, first 2 shown]
	v_mul_lo_u32 v159, v159, v212
	v_fma_mix_f32 v196, v227, v209, v196 op_sel_hi:[1,0,0]
	ds_read_u16 v209, v217
	v_mul_lo_u32 v15, v15, v212
	v_mul_lo_u32 v144, v144, v210
	v_cvt_f32_i32_e32 v159, v159
	v_cvt_f32_i32_e32 v15, v15
	s_waitcnt lgkmcnt(0)
	v_and_b32_e32 v213, 0xff, v209
	v_and_b32_sdwa v209, v141, v209 dst_sel:DWORD dst_unused:UNUSED_PAD src0_sel:DWORD src1_sel:BYTE_1
	v_mul_lo_u32 v195, v195, v213
	v_mul_lo_u32 v208, v208, v209
	;; [unrolled: 1-line block ×8, first 2 shown]
	v_cvt_f32_i32_e32 v195, v195
	v_cvt_f32_i32_e32 v208, v208
	;; [unrolled: 1-line block ×5, first 2 shown]
	v_fma_mix_f32 v195, v226, v195, 0 op_sel_hi:[1,0,0]
	v_cvt_f32_i32_e32 v163, v163
	v_cvt_f32_i32_e32 v149, v149
	;; [unrolled: 1-line block ×3, first 2 shown]
	v_mul_lo_u32 v158, v158, v213
	v_fma_mix_f32 v195, v227, v208, v195 op_sel_hi:[1,0,0]
	ds_read_u16 v208, v218
	v_mul_lo_u32 v16, v16, v213
	v_mul_lo_u32 v145, v145, v209
	v_cvt_f32_i32_e32 v158, v158
	v_cvt_f32_i32_e32 v16, v16
	s_waitcnt lgkmcnt(0)
	v_and_b32_e32 v214, 0xff, v208
	v_and_b32_sdwa v208, v141, v208 dst_sel:DWORD dst_unused:UNUSED_PAD src0_sel:DWORD src1_sel:BYTE_1
	v_mul_lo_u32 v194, v194, v214
	v_mul_lo_u32 v207, v207, v208
	;; [unrolled: 1-line block ×8, first 2 shown]
	v_cvt_f32_i32_e32 v194, v194
	v_cvt_f32_i32_e32 v207, v207
	;; [unrolled: 1-line block ×5, first 2 shown]
	v_fma_mix_f32 v194, v226, v194, 0 op_sel_hi:[1,0,0]
	v_cvt_f32_i32_e32 v162, v162
	v_cvt_f32_i32_e32 v147, v147
	v_cvt_f32_i32_e32 v151, v151
	v_mul_lo_u32 v157, v157, v214
	v_fma_mix_f32 v194, v227, v207, v194 op_sel_hi:[1,0,0]
	ds_read_u8 v207, v215 offset:8
	ds_read_u8 v215, v215 offset:9
	ds_read_u16 v216, v216 offset:8
	ds_read_u16 v217, v217 offset:8
	;; [unrolled: 1-line block ×3, first 2 shown]
	v_mul_lo_u32 v142, v142, v214
	v_mul_lo_u32 v146, v146, v208
	v_cvt_f32_i32_e32 v157, v157
	v_cvt_f32_i32_e32 v142, v142
	s_waitcnt lgkmcnt(4)
	v_cvt_f32_ubyte0_e32 v219, v207
	s_waitcnt lgkmcnt(3)
	v_cvt_f32_ubyte0_e32 v220, v215
	;; [unrolled: 2-line block ×5, first 2 shown]
	v_cvt_f32_ubyte1_e32 v222, v216
	v_cvt_f32_ubyte1_e32 v224, v217
	;; [unrolled: 1-line block ×3, first 2 shown]
	v_fma_mix_f32 v207, v226, v219, 0 op_sel:[1,0,0] op_sel_hi:[1,0,0]
	v_fma_mix_f32 v215, v226, v221, 0 op_sel:[1,0,0] op_sel_hi:[1,0,0]
	;; [unrolled: 1-line block ×8, first 2 shown]
	ds_read_b64 v[226:227], v185 offset:27200
	v_cvt_f32_i32_e32 v185, v206
	s_waitcnt lgkmcnt(0)
	v_fma_mix_f32 v184, v184, v226, 0 op_sel_hi:[0,1,0]
	v_fma_mix_f32 v183, v183, v226, 0 op_sel_hi:[0,1,0]
	;; [unrolled: 1-line block ×5, first 2 shown]
	v_mul_lo_u32 v185, v205, v210
	v_fma_mix_f32 v205, v225, v226, 0 op_sel:[0,1,0] op_sel_hi:[0,1,0]
	v_fma_mix_f32 v205, v218, v227, v205 op_sel:[0,1,0] op_sel_hi:[0,1,0]
	v_cvt_f32_i32_e32 v185, v185
	v_fma_mix_f32 v183, v185, v227, v183 op_sel_hi:[0,1,0]
	v_mul_lo_u32 v185, v204, v209
	v_fma_mix_f32 v204, v223, v226, 0 op_sel:[0,1,0] op_sel_hi:[0,1,0]
	v_fma_mix_f32 v204, v224, v227, v204 op_sel:[0,1,0] op_sel_hi:[0,1,0]
	v_cvt_f32_i32_e32 v185, v185
	v_fma_mix_f32 v182, v185, v227, v182 op_sel_hi:[0,1,0]
	;; [unrolled: 5-line block ×3, first 2 shown]
	v_fma_mix_f32 v185, v219, v226, 0 op_sel:[0,1,0] op_sel_hi:[0,1,0]
	v_fma_mix_f32 v185, v220, v227, v185 op_sel:[0,1,0] op_sel_hi:[0,1,0]
	ds_read_b64 v[226:227], v181 offset:27200
	v_cvt_f32_i32_e32 v181, v202
	s_waitcnt lgkmcnt(0)
	v_fma_mix_f32 v179, v179, v226, 0 op_sel_hi:[0,1,0]
	v_fma_mix_f32 v178, v178, v226, 0 op_sel_hi:[0,1,0]
	;; [unrolled: 1-line block ×5, first 2 shown]
	v_mul_lo_u32 v181, v201, v210
	v_fma_mix_f32 v201, v225, v226, 0 op_sel:[0,1,0] op_sel_hi:[0,1,0]
	v_fma_mix_f32 v201, v218, v227, v201 op_sel:[0,1,0] op_sel_hi:[0,1,0]
	v_cvt_f32_i32_e32 v181, v181
	v_fma_mix_f32 v178, v181, v227, v178 op_sel_hi:[0,1,0]
	v_mul_lo_u32 v181, v200, v209
	v_fma_mix_f32 v200, v223, v226, 0 op_sel:[0,1,0] op_sel_hi:[0,1,0]
	v_fma_mix_f32 v200, v224, v227, v200 op_sel:[0,1,0] op_sel_hi:[0,1,0]
	v_cvt_f32_i32_e32 v181, v181
	v_fma_mix_f32 v177, v181, v227, v177 op_sel_hi:[0,1,0]
	;; [unrolled: 5-line block ×3, first 2 shown]
	v_fma_mix_f32 v181, v219, v226, 0 op_sel:[0,1,0] op_sel_hi:[0,1,0]
	v_fma_mix_f32 v181, v220, v227, v181 op_sel:[0,1,0] op_sel_hi:[0,1,0]
	ds_read_b64 v[226:227], v171 offset:27200
	v_cvt_f32_i32_e32 v171, v193
	v_mul_f32_e32 v181, v181, v4
	v_fma_f32 v179, v179, v3, -v181
	v_mul_f32_e32 v181, v199, v5
	v_add_f32_e32 v46, v46, v179
	v_fma_f32 v178, v178, v9, -v181
	v_mul_f32_e32 v181, v200, v10
	s_waitcnt lgkmcnt(0)
	v_fma_mix_f32 v170, v170, v226, 0 op_sel_hi:[0,1,0]
	v_fma_mix_f32 v169, v169, v226, 0 op_sel_hi:[0,1,0]
	;; [unrolled: 1-line block ×4, first 2 shown]
	v_fma_f32 v177, v177, v11, -v181
	v_fma_mix_f32 v170, v171, v227, v170 op_sel_hi:[0,1,0]
	v_mul_lo_u32 v171, v192, v210
	v_fma_mix_f32 v192, v225, v226, 0 op_sel:[0,1,0] op_sel_hi:[0,1,0]
	v_mul_f32_e32 v181, v201, v12
	v_add_f32_e32 v45, v45, v178
	v_add_f32_e32 v43, v43, v177
	v_fma_mix_f32 v192, v218, v227, v192 op_sel:[0,1,0] op_sel_hi:[0,1,0]
	v_fma_f32 v176, v176, v13, -v181
	v_cvt_f32_i32_e32 v171, v171
	v_add_f32_e32 v41, v41, v176
	v_fma_mix_f32 v169, v171, v227, v169 op_sel_hi:[0,1,0]
	v_mul_lo_u32 v171, v191, v209
	v_fma_mix_f32 v191, v223, v226, 0 op_sel:[0,1,0] op_sel_hi:[0,1,0]
	v_fma_mix_f32 v191, v224, v227, v191 op_sel:[0,1,0] op_sel_hi:[0,1,0]
	v_cvt_f32_i32_e32 v171, v171
	v_fma_mix_f32 v168, v171, v227, v168 op_sel_hi:[0,1,0]
	v_mul_lo_u32 v171, v190, v208
	v_fma_mix_f32 v190, v221, v226, 0 op_sel:[0,1,0] op_sel_hi:[0,1,0]
	v_fma_mix_f32 v190, v222, v227, v190 op_sel:[0,1,0] op_sel_hi:[0,1,0]
	v_cvt_f32_i32_e32 v171, v171
	v_fma_mix_f32 v166, v171, v227, v166 op_sel_hi:[0,1,0]
	v_fma_mix_f32 v171, v219, v226, 0 op_sel:[0,1,0] op_sel_hi:[0,1,0]
	v_fma_mix_f32 v171, v220, v227, v171 op_sel:[0,1,0] op_sel_hi:[0,1,0]
	ds_read_b64 v[226:227], v167 offset:27200
	v_cvt_f32_i32_e32 v167, v189
	v_mul_f32_e32 v171, v171, v4
	v_fma_f32 v170, v170, v3, -v171
	v_mul_f32_e32 v171, v190, v5
	v_add_f32_e32 v39, v39, v170
	v_fma_f32 v169, v169, v9, -v171
	v_mul_f32_e32 v171, v191, v10
	s_waitcnt lgkmcnt(0)
	v_fma_mix_f32 v165, v165, v226, 0 op_sel_hi:[0,1,0]
	v_fma_mix_f32 v164, v164, v226, 0 op_sel_hi:[0,1,0]
	;; [unrolled: 1-line block ×4, first 2 shown]
	v_fma_f32 v168, v168, v11, -v171
	v_fma_mix_f32 v165, v167, v227, v165 op_sel_hi:[0,1,0]
	v_mul_lo_u32 v167, v188, v210
	v_fma_mix_f32 v188, v225, v226, 0 op_sel:[0,1,0] op_sel_hi:[0,1,0]
	v_mul_f32_e32 v171, v192, v12
	v_add_f32_e32 v37, v37, v169
	v_add_f32_e32 v36, v36, v168
	v_fma_mix_f32 v188, v218, v227, v188 op_sel:[0,1,0] op_sel_hi:[0,1,0]
	v_fma_f32 v166, v166, v13, -v171
	v_cvt_f32_i32_e32 v167, v167
	v_add_f32_e32 v35, v35, v166
	v_fma_mix_f32 v164, v167, v227, v164 op_sel_hi:[0,1,0]
	v_mul_lo_u32 v167, v187, v209
	v_fma_mix_f32 v187, v223, v226, 0 op_sel:[0,1,0] op_sel_hi:[0,1,0]
	v_fma_mix_f32 v187, v224, v227, v187 op_sel:[0,1,0] op_sel_hi:[0,1,0]
	v_cvt_f32_i32_e32 v167, v167
	v_fma_mix_f32 v163, v167, v227, v163 op_sel_hi:[0,1,0]
	v_mul_lo_u32 v167, v186, v208
	v_fma_mix_f32 v186, v221, v226, 0 op_sel:[0,1,0] op_sel_hi:[0,1,0]
	v_fma_mix_f32 v186, v222, v227, v186 op_sel:[0,1,0] op_sel_hi:[0,1,0]
	v_cvt_f32_i32_e32 v167, v167
	v_fma_mix_f32 v162, v167, v227, v162 op_sel_hi:[0,1,0]
	v_fma_mix_f32 v167, v219, v226, 0 op_sel:[0,1,0] op_sel_hi:[0,1,0]
	v_fma_mix_f32 v167, v220, v227, v167 op_sel:[0,1,0] op_sel_hi:[0,1,0]
	ds_read_b64 v[226:227], v161 offset:27200
	v_cvt_f32_i32_e32 v161, v175
	v_cvt_f32_i32_e32 v175, v154
	ds_read_b64 v[154:155], v155 offset:27200
	v_mul_f32_e32 v167, v167, v4
	v_fma_f32 v165, v165, v3, -v167
	v_mul_f32_e32 v167, v186, v5
	v_add_f32_e32 v33, v33, v165
	v_fma_f32 v164, v164, v9, -v167
	v_mul_f32_e32 v167, v187, v10
	s_waitcnt lgkmcnt(1)
	v_fma_mix_f32 v160, v160, v226, 0 op_sel_hi:[0,1,0]
	v_fma_mix_f32 v159, v159, v226, 0 op_sel_hi:[0,1,0]
	;; [unrolled: 1-line block ×3, first 2 shown]
	s_waitcnt lgkmcnt(0)
	v_fma_mix_f32 v147, v147, v154, 0 op_sel_hi:[0,1,0]
	v_fma_mix_f32 v149, v149, v154, 0 op_sel_hi:[0,1,0]
	;; [unrolled: 1-line block ×6, first 2 shown]
	v_fma_mix_f32 v147, v219, v154, 0 op_sel:[0,1,0] op_sel_hi:[0,1,0]
	v_fma_mix_f32 v149, v152, v155, v149 op_sel_hi:[0,1,0]
	v_fma_mix_f32 v150, v153, v155, v150 op_sel_hi:[0,1,0]
	v_mul_lo_u32 v161, v174, v210
	v_fma_mix_f32 v156, v156, v155, v175 op_sel_hi:[0,1,0]
	v_fma_mix_f32 v152, v220, v155, v147 op_sel:[0,1,0] op_sel_hi:[0,1,0]
	v_fma_mix_f32 v147, v221, v154, 0 op_sel:[0,1,0] op_sel_hi:[0,1,0]
	v_fma_mix_f32 v157, v157, v226, 0 op_sel_hi:[0,1,0]
	v_fma_mix_f32 v174, v225, v226, 0 op_sel:[0,1,0] op_sel_hi:[0,1,0]
	v_fma_f32 v163, v163, v11, -v167
	v_mul_f32_e32 v167, v188, v12
	v_fma_mix_f32 v153, v222, v155, v147 op_sel:[0,1,0] op_sel_hi:[0,1,0]
	v_fma_mix_f32 v147, v223, v154, 0 op_sel:[0,1,0] op_sel_hi:[0,1,0]
	v_cvt_f32_i32_e32 v161, v161
	v_fma_mix_f32 v174, v218, v227, v174 op_sel:[0,1,0] op_sel_hi:[0,1,0]
	v_mul_f32_e32 v152, v152, v4
	v_mul_f32_e32 v153, v153, v5
	v_fma_mix_f32 v175, v224, v155, v147 op_sel:[0,1,0] op_sel_hi:[0,1,0]
	v_fma_mix_f32 v147, v225, v154, 0 op_sel:[0,1,0] op_sel_hi:[0,1,0]
	v_fma_mix_f32 v159, v161, v227, v159 op_sel_hi:[0,1,0]
	v_mul_lo_u32 v161, v173, v209
	v_fma_f32 v150, v150, v9, -v153
	v_mul_f32_e32 v153, v175, v10
	v_fma_mix_f32 v154, v218, v155, v147 op_sel:[0,1,0] op_sel_hi:[0,1,0]
	v_lshrrev_b32_e32 v147, 1, v148
	v_fma_mix_f32 v173, v223, v226, 0 op_sel:[0,1,0] op_sel_hi:[0,1,0]
	v_fma_f32 v162, v162, v13, -v167
	v_fma_f32 v149, v149, v11, -v153
	v_cvt_f32_i32_e32 v161, v161
	ds_read_b64 v[147:148], v147 offset:27200
	v_mul_f32_e32 v153, v154, v12
	v_fma_mix_f32 v173, v224, v227, v173 op_sel:[0,1,0] op_sel_hi:[0,1,0]
	v_fma_f32 v152, v156, v3, -v152
	v_fma_mix_f32 v158, v161, v227, v158 op_sel_hi:[0,1,0]
	v_mul_lo_u32 v161, v172, v208
	v_fma_mix_f32 v172, v221, v226, 0 op_sel:[0,1,0] op_sel_hi:[0,1,0]
	v_fma_f32 v151, v151, v13, -v153
	v_add_f32_e32 v32, v32, v164
	v_add_f32_e32 v31, v31, v163
	;; [unrolled: 1-line block ×3, first 2 shown]
	v_fma_mix_f32 v172, v222, v227, v172 op_sel:[0,1,0] op_sel_hi:[0,1,0]
	v_add_f32_e32 v24, v24, v152
	v_cvt_f32_i32_e32 v161, v161
	v_add_f32_e32 v23, v23, v150
	v_add_f32_e32 v22, v22, v149
	;; [unrolled: 1-line block ×3, first 2 shown]
	v_fma_mix_f32 v157, v161, v227, v157 op_sel_hi:[0,1,0]
	v_fma_mix_f32 v161, v219, v226, 0 op_sel:[0,1,0] op_sel_hi:[0,1,0]
	s_waitcnt lgkmcnt(0)
	v_fma_mix_f32 v14, v14, v147, 0 op_sel_hi:[0,1,0]
	v_fma_mix_f32 v155, v219, v147, 0 op_sel:[0,1,0] op_sel_hi:[0,1,0]
	v_fma_mix_f32 v15, v15, v147, 0 op_sel_hi:[0,1,0]
	v_fma_mix_f32 v189, v221, v147, 0 op_sel:[0,1,0] op_sel_hi:[0,1,0]
	v_fma_mix_f32 v161, v220, v227, v161 op_sel:[0,1,0] op_sel_hi:[0,1,0]
	v_fma_mix_f32 v14, v143, v148, v14 op_sel_hi:[0,1,0]
	v_cvt_f32_i32_e32 v143, v144
	v_fma_mix_f32 v155, v220, v148, v155 op_sel:[0,1,0] op_sel_hi:[0,1,0]
	v_fma_mix_f32 v16, v16, v147, 0 op_sel_hi:[0,1,0]
	v_fma_mix_f32 v189, v222, v148, v189 op_sel:[0,1,0] op_sel_hi:[0,1,0]
	v_fma_mix_f32 v193, v223, v147, 0 op_sel:[0,1,0] op_sel_hi:[0,1,0]
	v_fma_mix_f32 v15, v143, v148, v15 op_sel_hi:[0,1,0]
	v_cvt_f32_i32_e32 v143, v145
	v_fma_mix_f32 v202, v225, v147, 0 op_sel:[0,1,0] op_sel_hi:[0,1,0]
	v_fma_mix_f32 v142, v142, v147, 0 op_sel_hi:[0,1,0]
	v_mul_f32_e32 v161, v161, v4
	v_mul_f32_e32 v153, v155, v4
	v_fma_mix_f32 v16, v143, v148, v16 op_sel_hi:[0,1,0]
	v_cvt_f32_i32_e32 v143, v146
	v_fma_mix_f32 v193, v224, v148, v193 op_sel:[0,1,0] op_sel_hi:[0,1,0]
	v_fma_mix_f32 v202, v218, v148, v202 op_sel:[0,1,0] op_sel_hi:[0,1,0]
	v_fma_f32 v160, v160, v3, -v161
	v_mul_f32_e32 v161, v172, v5
	v_fma_mix_f32 v142, v143, v148, v142 op_sel_hi:[0,1,0]
	v_mul_f32_e32 v148, v203, v5
	v_fma_f32 v14, v14, v3, -v153
	v_mul_f32_e32 v153, v189, v5
	v_fma_f32 v159, v159, v9, -v161
	;; [unrolled: 2-line block ×4, first 2 shown]
	v_mul_f32_e32 v153, v193, v10
	v_mul_f32_e32 v143, v207, v4
	;; [unrolled: 1-line block ×6, first 2 shown]
	v_fma_f32 v182, v182, v11, -v183
	v_mul_f32_e32 v183, v205, v12
	v_fma_f32 v158, v158, v11, -v161
	v_mul_f32_e32 v161, v174, v12
	;; [unrolled: 2-line block ×3, first 2 shown]
	v_fma_f32 v143, v197, v3, -v143
	v_fma_f32 v144, v196, v9, -v144
	;; [unrolled: 1-line block ×8, first 2 shown]
	v_add_f32_e32 v90, v90, v143
	v_add_f32_e32 v85, v85, v144
	;; [unrolled: 1-line block ×16, first 2 shown]
	s_cbranch_vccnz .LBB131_6
; %bb.7:                                ;   in Loop: Header=BB131_5 Depth=1
	v_add_nc_u32_e32 v5, s0, v103
	v_add_nc_u32_e32 v2, 4, v2
	s_barrier
	buffer_gl0_inv
	v_add_nc_u32_e32 v3, v5, v95
	v_add_nc_u32_e32 v9, v5, v96
	;; [unrolled: 1-line block ×5, first 2 shown]
	v_mad_u64_u32 v[142:143], null, v2, 36, s[2:3]
	v_mad_i64_i32 v[3:4], null, v3, 36, v[7:8]
	v_add_nc_u32_e32 v144, v5, v100
	v_mad_i64_i32 v[9:10], null, v9, 36, v[7:8]
	v_add_nc_u32_e32 v146, v5, v101
	;; [unrolled: 2-line block ×3, first 2 shown]
	v_mad_i64_i32 v[13:14], null, v13, 36, v[7:8]
	v_mad_i64_i32 v[15:16], null, v15, 36, v[7:8]
	;; [unrolled: 1-line block ×5, first 2 shown]
	s_clause 0x8
	global_load_dword v2, v[142:143], off
	global_load_dword v3, v[3:4], off offset:4
	global_load_dword v4, v[9:10], off offset:4
	;; [unrolled: 1-line block ×8, first 2 shown]
	v_mov_b32_e32 v142, v121
	v_mov_b32_e32 v143, v120
	;; [unrolled: 1-line block ×3, first 2 shown]
	s_mov_b32 s0, 16
	s_mov_b32 s14, 0
	s_waitcnt vmcnt(8)
	ds_write_b32 v93, v2
	s_waitcnt vmcnt(7)
	ds_write_b32 v129, v3
	;; [unrolled: 2-line block ×9, first 2 shown]
	s_waitcnt lgkmcnt(0)
	s_barrier
	buffer_gl0_inv
	ds_read_b32 v2, v104
	ds_read_b32 v3, v105 offset:128
	ds_read_b32 v4, v106 offset:256
	;; [unrolled: 1-line block ×3, first 2 shown]
	s_waitcnt lgkmcnt(3)
	v_cvt_f32_f16_e32 v144, v2
	v_cvt_f32_f16_sdwa v145, v2 dst_sel:DWORD dst_unused:UNUSED_PAD src0_sel:WORD_1
	s_waitcnt lgkmcnt(2)
	v_cvt_f32_f16_sdwa v146, v3 dst_sel:DWORD dst_unused:UNUSED_PAD src0_sel:WORD_1
	v_cvt_f32_f16_e32 v147, v3
	s_waitcnt lgkmcnt(1)
	v_cvt_f32_f16_sdwa v148, v4 dst_sel:DWORD dst_unused:UNUSED_PAD src0_sel:WORD_1
	v_cvt_f32_f16_e32 v149, v4
	;; [unrolled: 3-line block ×3, first 2 shown]
.LBB131_8:                              ;   Parent Loop BB131_5 Depth=1
                                        ; =>  This Inner Loop Header: Depth=2
	v_add_nc_u32_e32 v4, 0x1080, v152
	v_add_nc_u32_e32 v9, 0x2100, v152
	;; [unrolled: 1-line block ×3, first 2 shown]
	ds_read2_b32 v[2:3], v152 offset1:1
	ds_read2_b32 v[13:14], v152 offset0:2 offset1:3
	ds_read2_b32 v[4:5], v4 offset1:1
	ds_read2_b32 v[9:10], v9 offset1:1
	;; [unrolled: 1-line block ×3, first 2 shown]
	ds_read_b128 v[153:156], v142
	ds_read_b128 v[185:188], v142 offset:6144
	v_add_nc_u32_e32 v15, 0x1088, v152
	v_mov_b32_e32 v196, 0
	v_mov_b32_e32 v195, 0
	;; [unrolled: 1-line block ×4, first 2 shown]
	ds_read2_b32 v[15:16], v15 offset1:1
	v_mov_b32_e32 v200, 0
	v_mov_b32_e32 v199, 0
	;; [unrolled: 1-line block ×7, first 2 shown]
	s_waitcnt lgkmcnt(7)
	v_and_b32_e32 v157, 0xf0f0f0f, v2
	v_and_b32_e32 v177, 0xf0f0f0f, v3
	s_waitcnt lgkmcnt(5)
	v_and_b32_e32 v158, 0xf0f0f0f, v4
	s_waitcnt lgkmcnt(4)
	;; [unrolled: 2-line block ×4, first 2 shown]
	v_dot4c_i32_i8 v196, v157, v153
	v_and_b32_e32 v181, 0xf0f0f0f, v5
	v_dot4c_i32_i8 v195, v158, v153
	v_dot4c_i32_i8 v194, v159, v153
	;; [unrolled: 1-line block ×3, first 2 shown]
	v_add_nc_u32_e32 v153, 0x2108, v152
	v_and_b32_e32 v182, 0xf0f0f0f, v10
	v_and_b32_e32 v183, 0xf0f0f0f, v12
	v_dot4c_i32_i8 v196, v177, v154
	v_and_b32_e32 v178, 0xf0f0f0f, v13
	ds_read2_b32 v[189:190], v153 offset1:1
	v_add_nc_u32_e32 v153, 0x3188, v152
	v_dot4c_i32_i8 v195, v181, v154
	v_dot4c_i32_i8 v194, v182, v154
	;; [unrolled: 1-line block ×3, first 2 shown]
	s_waitcnt lgkmcnt(1)
	v_and_b32_e32 v184, 0xf0f0f0f, v15
	ds_read2_b32 v[191:192], v153 offset1:1
	v_dot4c_i32_i8 v196, v178, v155
	v_and_b32_e32 v180, 0xf0f0f0f, v14
	v_and_b32_e32 v203, 0xf0f0f0f, v16
	v_dot4c_i32_i8 v195, v184, v155
	v_mov_b32_e32 v168, 0
	v_mov_b32_e32 v176, 0
	v_dot4c_i32_i8 v196, v180, v156
	v_mov_b32_e32 v174, 0
	v_dot4c_i32_i8 v195, v203, v156
	v_mov_b32_e32 v171, 0
	v_mov_b32_e32 v169, 0
	;; [unrolled: 1-line block ×4, first 2 shown]
	s_waitcnt lgkmcnt(1)
	v_and_b32_e32 v201, 0xf0f0f0f, v189
	v_and_b32_e32 v204, 0xf0f0f0f, v190
	v_mov_b32_e32 v163, 0
	v_mov_b32_e32 v161, 0
	v_mov_b32_e32 v173, 0
	v_dot4c_i32_i8 v194, v201, v155
	s_waitcnt lgkmcnt(0)
	v_and_b32_e32 v202, 0xf0f0f0f, v191
	v_and_b32_e32 v205, 0xf0f0f0f, v192
	v_mov_b32_e32 v166, 0
	v_mov_b32_e32 v164, 0
	v_dot4c_i32_i8 v194, v204, v156
	v_dot4c_i32_i8 v193, v202, v155
	ds_read_b128 v[208:211], v142 offset:7200
	v_mov_b32_e32 v162, 0
	v_mov_b32_e32 v160, 0
	v_lshrrev_b32_e32 v2, 4, v2
	v_dot4c_i32_i8 v193, v205, v156
	ds_read_b128 v[153:156], v142 offset:1024
	v_lshrrev_b32_e32 v4, 4, v4
	v_lshrrev_b32_e32 v3, 4, v3
	;; [unrolled: 1-line block ×7, first 2 shown]
	v_and_b32_e32 v212, 0xf0f0f0f, v2
	v_mov_b32_e32 v2, 0
	v_and_b32_e32 v4, 0xf0f0f0f, v4
	v_mov_b32_e32 v206, 0
	v_and_b32_e32 v3, 0xf0f0f0f, v3
	v_and_b32_e32 v213, 0xf0f0f0f, v13
	;; [unrolled: 1-line block ×6, first 2 shown]
	v_mov_b32_e32 v207, 0
	s_lshr_b32 s15, s0, 2
	s_waitcnt lgkmcnt(0)
	v_dot4c_i32_i8 v200, v157, v153
	v_dot4c_i32_i8 v199, v158, v153
	;; [unrolled: 1-line block ×4, first 2 shown]
	s_and_b32 s15, s15, 0x3ffffffc
	v_dot4c_i32_i8 v200, v177, v154
	v_dot4c_i32_i8 v199, v181, v154
	;; [unrolled: 1-line block ×4, first 2 shown]
	s_add_i32 s0, s0, 8
	v_dot4c_i32_i8 v200, v178, v155
	v_dot4c_i32_i8 v199, v184, v155
	;; [unrolled: 1-line block ×4, first 2 shown]
	ds_read_b128 v[13:16], v142 offset:6176
	v_dot4c_i32_i8 v200, v180, v156
	v_dot4c_i32_i8 v199, v203, v156
	v_dot4c_i32_i8 v198, v204, v156
	v_dot4c_i32_i8 v197, v205, v156
	ds_read_b128 v[153:156], v142 offset:2048
	s_waitcnt lgkmcnt(0)
	v_dot4c_i32_i8 v175, v157, v153
	v_dot4c_i32_i8 v172, v158, v153
	v_dot4c_i32_i8 v170, v159, v153
	v_dot4c_i32_i8 v168, v179, v153
	v_dot4c_i32_i8 v175, v177, v154
	v_dot4c_i32_i8 v172, v181, v154
	v_dot4c_i32_i8 v170, v182, v154
	v_dot4c_i32_i8 v168, v183, v154
	v_dot4c_i32_i8 v175, v178, v155
	v_dot4c_i32_i8 v172, v184, v155
	v_dot4c_i32_i8 v170, v201, v155
	v_dot4c_i32_i8 v168, v202, v155
	v_dot4c_i32_i8 v175, v180, v156
	v_dot4c_i32_i8 v172, v203, v156
	v_dot4c_i32_i8 v170, v204, v156
	v_dot4c_i32_i8 v168, v205, v156
	ds_read_b128 v[153:156], v142 offset:3072
	s_waitcnt lgkmcnt(0)
	v_dot4c_i32_i8 v176, v157, v153
	v_dot4c_i32_i8 v174, v158, v153
	v_dot4c_i32_i8 v171, v159, v153
	v_dot4c_i32_i8 v169, v179, v153
	v_dot4c_i32_i8 v176, v177, v154
	v_dot4c_i32_i8 v174, v181, v154
	v_dot4c_i32_i8 v171, v182, v154
	v_dot4c_i32_i8 v169, v183, v154
	v_dot4c_i32_i8 v176, v178, v155
	v_dot4c_i32_i8 v174, v184, v155
	v_dot4c_i32_i8 v171, v201, v155
	v_dot4c_i32_i8 v169, v202, v155
	;; [unrolled: 18-line block ×3, first 2 shown]
	v_dot4c_i32_i8 v167, v180, v156
	v_dot4c_i32_i8 v165, v203, v156
	v_dot4c_i32_i8 v163, v204, v156
	v_dot4c_i32_i8 v161, v205, v156
	ds_read_b128 v[153:156], v142 offset:5120
	s_waitcnt lgkmcnt(0)
	v_dot4c_i32_i8 v173, v157, v153
	v_dot4c_i32_i8 v166, v158, v153
	v_dot4c_i32_i8 v164, v159, v153
	v_dot4c_i32_i8 v162, v179, v153
	v_mov_b32_e32 v153, 0
	v_dot4c_i32_i8 v173, v177, v154
	v_dot4c_i32_i8 v166, v181, v154
	v_dot4c_i32_i8 v164, v182, v154
	v_dot4c_i32_i8 v162, v183, v154
	v_mov_b32_e32 v154, 0
	;; [unrolled: 5-line block ×4, first 2 shown]
	v_dot4c_i32_i8 v153, v158, v185
	v_dot4c_i32_i8 v154, v159, v185
	;; [unrolled: 1-line block ×16, first 2 shown]
	ds_read_b128 v[185:188], v142 offset:7168
	s_waitcnt lgkmcnt(0)
	v_dot4c_i32_i8 v160, v157, v185
	v_mov_b32_e32 v157, 0
	v_dot4c_i32_i8 v160, v177, v186
	v_dot4c_i32_i8 v157, v158, v185
	v_mov_b32_e32 v158, 0
	v_lshrrev_b32_e32 v177, 4, v9
	v_dot4c_i32_i8 v160, v178, v187
	v_dot4c_i32_i8 v157, v181, v186
	;; [unrolled: 1-line block ×3, first 2 shown]
	v_lshrrev_b32_e32 v178, 4, v10
	v_lshrrev_b32_e32 v181, 4, v11
	v_mov_b32_e32 v159, 0
	v_and_b32_e32 v217, 0xf0f0f0f, v177
	v_dot4c_i32_i8 v158, v182, v186
	v_lshrrev_b32_e32 v182, 4, v12
	ds_read_b128 v[9:12], v142 offset:32
	v_dot4c_i32_i8 v159, v179, v185
	v_and_b32_e32 v221, 0xf0f0f0f, v181
	v_dot4c_i32_i8 v158, v201, v187
	v_mov_b32_e32 v201, 0
	v_lshrrev_b32_e32 v179, 4, v189
	v_dot4c_i32_i8 v159, v183, v186
	v_lshrrev_b32_e32 v183, 4, v191
	v_dot4c_i32_i8 v158, v204, v188
	v_mov_b32_e32 v204, 0
	v_and_b32_e32 v218, 0xf0f0f0f, v178
	v_and_b32_e32 v222, 0xf0f0f0f, v182
	v_dot4c_i32_i8 v157, v184, v187
	v_dot4c_i32_i8 v160, v180, v188
	v_lshrrev_b32_e32 v180, 4, v190
	v_lshrrev_b32_e32 v184, 4, v192
	v_and_b32_e32 v219, 0xf0f0f0f, v179
	v_and_b32_e32 v223, 0xf0f0f0f, v183
	v_dot4c_i32_i8 v159, v202, v187
	v_and_b32_e32 v220, 0xf0f0f0f, v180
	s_waitcnt lgkmcnt(0)
	v_dot4c_i32_i8 v2, v212, v9
	v_dot4c_i32_i8 v206, v4, v9
	;; [unrolled: 1-line block ×4, first 2 shown]
	v_and_b32_e32 v224, 0xf0f0f0f, v184
	v_dot4c_i32_i8 v2, v3, v10
	v_dot4c_i32_i8 v206, v5, v10
	;; [unrolled: 1-line block ×14, first 2 shown]
	ds_read_b128 v[9:12], v142 offset:1056
	v_mov_b32_e32 v205, 0
	v_mov_b32_e32 v203, 0
	;; [unrolled: 1-line block ×19, first 2 shown]
	s_waitcnt lgkmcnt(0)
	v_dot4c_i32_i8 v207, v212, v9
	v_dot4c_i32_i8 v205, v4, v9
	v_dot4c_i32_i8 v203, v217, v9
	v_dot4c_i32_i8 v202, v221, v9
	v_dot4c_i32_i8 v207, v3, v10
	v_dot4c_i32_i8 v205, v5, v10
	v_dot4c_i32_i8 v203, v218, v10
	v_dot4c_i32_i8 v202, v222, v10
	v_dot4c_i32_i8 v207, v213, v11
	v_dot4c_i32_i8 v205, v215, v11
	v_dot4c_i32_i8 v203, v219, v11
	v_dot4c_i32_i8 v202, v223, v11
	v_dot4c_i32_i8 v207, v214, v12
	v_dot4c_i32_i8 v205, v216, v12
	v_dot4c_i32_i8 v203, v220, v12
	v_dot4c_i32_i8 v202, v224, v12
	ds_read_b128 v[9:12], v142 offset:2080
	s_waitcnt lgkmcnt(0)
	v_dot4c_i32_i8 v191, v212, v9
	v_dot4c_i32_i8 v188, v4, v9
	v_dot4c_i32_i8 v186, v217, v9
	v_dot4c_i32_i8 v184, v221, v9
	v_dot4c_i32_i8 v191, v3, v10
	v_dot4c_i32_i8 v188, v5, v10
	v_dot4c_i32_i8 v186, v218, v10
	v_dot4c_i32_i8 v184, v222, v10
	v_dot4c_i32_i8 v191, v213, v11
	v_dot4c_i32_i8 v188, v215, v11
	v_dot4c_i32_i8 v186, v219, v11
	v_dot4c_i32_i8 v184, v223, v11
	v_dot4c_i32_i8 v191, v214, v12
	v_dot4c_i32_i8 v188, v216, v12
	v_dot4c_i32_i8 v186, v220, v12
	v_dot4c_i32_i8 v184, v224, v12
	ds_read_b128 v[9:12], v142 offset:3104
	;; [unrolled: 18-line block ×4, first 2 shown]
	s_waitcnt lgkmcnt(0)
	v_dot4c_i32_i8 v189, v212, v9
	v_dot4c_i32_i8 v182, v4, v9
	v_dot4c_i32_i8 v180, v217, v9
	v_dot4c_i32_i8 v178, v221, v9
	v_mov_b32_e32 v9, 0
	v_dot4c_i32_i8 v189, v3, v10
	v_dot4c_i32_i8 v182, v5, v10
	v_dot4c_i32_i8 v180, v218, v10
	v_dot4c_i32_i8 v178, v222, v10
	v_mov_b32_e32 v10, 0
	;; [unrolled: 5-line block ×4, first 2 shown]
	v_dot4c_i32_i8 v9, v4, v13
	v_dot4c_i32_i8 v10, v217, v13
	;; [unrolled: 1-line block ×7, first 2 shown]
	v_mov_b32_e32 v13, 0
	v_dot4c_i32_i8 v12, v3, v14
	v_dot4c_i32_i8 v9, v215, v15
	;; [unrolled: 1-line block ×9, first 2 shown]
	v_mov_b32_e32 v14, 0
	v_dot4c_i32_i8 v12, v214, v16
	v_mov_b32_e32 v16, 0
	v_mov_b32_e32 v15, 0
	v_dot4c_i32_i8 v13, v5, v209
	v_dot4c_i32_i8 v14, v217, v208
	;; [unrolled: 1-line block ×6, first 2 shown]
	v_add_nc_u32_e32 v212, 0x1090, v152
	v_dot4c_i32_i8 v16, v3, v209
	v_dot4c_i32_i8 v15, v222, v209
	;; [unrolled: 1-line block ×3, first 2 shown]
	v_add_nc_u32_e32 v216, 0x3190, v152
	v_dot4c_i32_i8 v14, v219, v210
	v_dot4c_i32_i8 v16, v213, v210
	;; [unrolled: 1-line block ×3, first 2 shown]
	ds_read2_b32 v[3:4], v152 offset0:4 offset1:5
	ds_read2_b32 v[212:213], v212 offset1:1
	ds_read2_b32 v[216:217], v216 offset1:1
	v_dot4c_i32_i8 v16, v214, v211
	v_add_nc_u32_e32 v214, 0x2110, v152
	v_dot4c_i32_i8 v14, v220, v211
	v_dot4c_i32_i8 v15, v224, v211
	ds_read_b128 v[208:211], v142 offset:16
	ds_read2_b32 v[218:219], v152 offset0:6 offset1:7
	ds_read2_b32 v[214:215], v214 offset1:1
	s_waitcnt lgkmcnt(5)
	v_and_b32_e32 v5, 0xf0f0f0f, v3
	s_waitcnt lgkmcnt(4)
	v_and_b32_e32 v227, 0xf0f0f0f, v212
	;; [unrolled: 2-line block ×3, first 2 shown]
	v_and_b32_e32 v226, 0xf0f0f0f, v4
	v_and_b32_e32 v231, 0xf0f0f0f, v213
	;; [unrolled: 1-line block ×3, first 2 shown]
	v_lshrrev_b32_e32 v3, 4, v3
	s_waitcnt lgkmcnt(2)
	v_dot4c_i32_i8 v196, v5, v208
	v_dot4c_i32_i8 v195, v227, v208
	s_waitcnt lgkmcnt(0)
	v_and_b32_e32 v228, 0xf0f0f0f, v214
	v_dot4c_i32_i8 v193, v229, v208
	v_and_b32_e32 v232, 0xf0f0f0f, v215
	v_dot4c_i32_i8 v196, v226, v209
	v_dot4c_i32_i8 v195, v231, v209
	;; [unrolled: 1-line block ×3, first 2 shown]
	v_add_nc_u32_e32 v208, 0x1098, v152
	v_dot4c_i32_i8 v193, v233, v209
	v_lshrrev_b32_e32 v216, 4, v216
	v_lshrrev_b32_e32 v4, 4, v4
	v_dot4c_i32_i8 v194, v232, v209
	ds_read2_b32 v[220:221], v208 offset1:1
	v_add_nc_u32_e32 v208, 0x2118, v152
	v_and_b32_e32 v230, 0xf0f0f0f, v218
	v_and_b32_e32 v234, 0xf0f0f0f, v219
	v_lshrrev_b32_e32 v217, 4, v217
	v_and_b32_e32 v3, 0xf0f0f0f, v3
	ds_read2_b32 v[222:223], v208 offset1:1
	v_add_nc_u32_e32 v208, 0x3198, v152
	v_dot4c_i32_i8 v196, v230, v210
	v_and_b32_e32 v216, 0xf0f0f0f, v216
	v_and_b32_e32 v4, 0xf0f0f0f, v4
	;; [unrolled: 1-line block ×3, first 2 shown]
	ds_read2_b32 v[224:225], v208 offset1:1
	v_dot4c_i32_i8 v196, v234, v211
	v_add_nc_u32_e32 v152, 32, v152
	s_waitcnt lgkmcnt(2)
	v_and_b32_e32 v235, 0xf0f0f0f, v220
	v_and_b32_e32 v238, 0xf0f0f0f, v221
	v_dot4c_i32_i8 v195, v235, v210
	s_waitcnt lgkmcnt(1)
	v_and_b32_e32 v236, 0xf0f0f0f, v222
	v_and_b32_e32 v239, 0xf0f0f0f, v223
	v_dot4c_i32_i8 v195, v238, v211
	v_dot4c_i32_i8 v194, v236, v210
	s_waitcnt lgkmcnt(0)
	v_and_b32_e32 v237, 0xf0f0f0f, v224
	v_and_b32_e32 v240, 0xf0f0f0f, v225
	v_dot4c_i32_i8 v194, v239, v211
	v_dot4c_i32_i8 v193, v237, v210
	v_dot4c_i32_i8 v193, v240, v211
	ds_read_b128 v[208:211], v142 offset:1040
	s_waitcnt lgkmcnt(0)
	v_dot4c_i32_i8 v200, v5, v208
	v_dot4c_i32_i8 v199, v227, v208
	v_dot4c_i32_i8 v198, v228, v208
	v_dot4c_i32_i8 v197, v229, v208
	v_dot4c_i32_i8 v200, v226, v209
	v_dot4c_i32_i8 v199, v231, v209
	v_dot4c_i32_i8 v198, v232, v209
	v_dot4c_i32_i8 v197, v233, v209
	v_dot4c_i32_i8 v200, v230, v210
	v_dot4c_i32_i8 v199, v235, v210
	v_dot4c_i32_i8 v198, v236, v210
	v_dot4c_i32_i8 v197, v237, v210
	v_dot4c_i32_i8 v200, v234, v211
	v_dot4c_i32_i8 v199, v238, v211
	v_dot4c_i32_i8 v198, v239, v211
	v_dot4c_i32_i8 v197, v240, v211
	ds_read_b128 v[208:211], v142 offset:2064
	s_waitcnt lgkmcnt(0)
	v_dot4c_i32_i8 v175, v5, v208
	v_dot4c_i32_i8 v172, v227, v208
	v_dot4c_i32_i8 v170, v228, v208
	v_dot4c_i32_i8 v168, v229, v208
	v_dot4c_i32_i8 v175, v226, v209
	v_dot4c_i32_i8 v172, v231, v209
	v_dot4c_i32_i8 v170, v232, v209
	v_dot4c_i32_i8 v168, v233, v209
	v_dot4c_i32_i8 v175, v230, v210
	v_dot4c_i32_i8 v172, v235, v210
	v_dot4c_i32_i8 v170, v236, v210
	v_dot4c_i32_i8 v168, v237, v210
	v_dot4c_i32_i8 v175, v234, v211
	;; [unrolled: 18-line block ×6, first 2 shown]
	v_dot4c_i32_i8 v153, v238, v211
	v_dot4c_i32_i8 v154, v239, v211
	v_dot4c_i32_i8 v155, v240, v211
	ds_read_b128 v[208:211], v142 offset:7184
	s_waitcnt lgkmcnt(0)
	v_dot4c_i32_i8 v160, v5, v208
	v_dot4c_i32_i8 v157, v227, v208
	v_dot4c_i32_i8 v158, v228, v208
	v_dot4c_i32_i8 v159, v229, v208
	v_lshrrev_b32_e32 v208, 4, v219
	v_dot4c_i32_i8 v160, v226, v209
	v_dot4c_i32_i8 v157, v231, v209
	v_dot4c_i32_i8 v158, v232, v209
	v_dot4c_i32_i8 v159, v233, v209
	v_lshrrev_b32_e32 v209, 4, v212
	;; [unrolled: 5-line block ×4, first 2 shown]
	v_lshrrev_b32_e32 v5, 4, v218
	v_lshrrev_b32_e32 v212, 4, v221
	;; [unrolled: 1-line block ×7, first 2 shown]
	v_and_b32_e32 v221, 0xf0f0f0f, v208
	v_and_b32_e32 v222, 0xf0f0f0f, v209
	;; [unrolled: 1-line block ×4, first 2 shown]
	ds_read_b128 v[208:211], v142 offset:48
	v_and_b32_e32 v213, 0xf0f0f0f, v213
	v_and_b32_e32 v214, 0xf0f0f0f, v214
	v_lshrrev_b32_e32 v220, 4, v225
	v_and_b32_e32 v5, 0xf0f0f0f, v5
	v_and_b32_e32 v215, 0xf0f0f0f, v215
	;; [unrolled: 1-line block ×6, first 2 shown]
	s_waitcnt lgkmcnt(0)
	v_dot4c_i32_i8 v2, v3, v208
	v_dot4c_i32_i8 v206, v222, v208
	v_dot4c_i32_i8 v204, v213, v208
	v_dot4c_i32_i8 v201, v216, v208
	v_dot4c_i32_i8 v2, v4, v209
	v_dot4c_i32_i8 v206, v223, v209
	v_dot4c_i32_i8 v204, v214, v209
	v_dot4c_i32_i8 v201, v217, v209
	v_dot4c_i32_i8 v2, v5, v210
	v_dot4c_i32_i8 v206, v224, v210
	v_dot4c_i32_i8 v204, v215, v210
	v_dot4c_i32_i8 v201, v219, v210
	v_dot4c_i32_i8 v2, v221, v211
	v_dot4c_i32_i8 v206, v212, v211
	v_dot4c_i32_i8 v204, v218, v211
	v_dot4c_i32_i8 v201, v220, v211
	ds_read_b128 v[208:211], v142 offset:1072
	s_waitcnt lgkmcnt(0)
	v_dot4c_i32_i8 v207, v3, v208
	v_dot4c_i32_i8 v205, v222, v208
	v_dot4c_i32_i8 v203, v213, v208
	v_dot4c_i32_i8 v202, v216, v208
	v_dot4c_i32_i8 v207, v4, v209
	v_dot4c_i32_i8 v205, v223, v209
	v_dot4c_i32_i8 v203, v214, v209
	v_dot4c_i32_i8 v202, v217, v209
	v_dot4c_i32_i8 v207, v5, v210
	v_dot4c_i32_i8 v205, v224, v210
	v_dot4c_i32_i8 v203, v215, v210
	v_dot4c_i32_i8 v202, v219, v210
	v_dot4c_i32_i8 v207, v221, v211
	v_dot4c_i32_i8 v205, v212, v211
	v_dot4c_i32_i8 v203, v218, v211
	v_dot4c_i32_i8 v202, v220, v211
	ds_read_b128 v[208:211], v142 offset:2096
	;; [unrolled: 18-line block ×7, first 2 shown]
	v_add_nc_u32_e32 v142, 64, v142
	s_waitcnt lgkmcnt(0)
	v_dot4c_i32_i8 v13, v222, v208
	v_dot4c_i32_i8 v14, v213, v208
	;; [unrolled: 1-line block ×13, first 2 shown]
	v_add_nc_u32_e32 v212, s1, v122
	v_dot4c_i32_i8 v16, v221, v211
	v_dot4c_i32_i8 v14, v218, v211
	;; [unrolled: 1-line block ×3, first 2 shown]
	s_add_i32 s1, s1, 2
	v_add3_u32 v213, v126, s15, v212
	v_add3_u32 v214, v125, s15, v212
	v_add3_u32 v215, v124, s15, v212
	v_add3_u32 v216, v123, s15, v212
	s_add_i32 s15, s14, 8
	ds_read_u16 v3, v213 offset:25088
	s_add_i32 s14, s14, 16
	s_cmp_lt_u32 s14, 24
	s_mov_b32 s14, s15
	s_waitcnt lgkmcnt(0)
	v_and_b32_e32 v209, 0xff, v3
	v_and_b32_sdwa v208, v141, v3 dst_sel:DWORD dst_unused:UNUSED_PAD src0_sel:DWORD src1_sel:BYTE_1
	v_mul_lo_u32 v3, v196, v209
	v_mul_lo_u32 v2, v2, v208
	;; [unrolled: 1-line block ×8, first 2 shown]
	v_cvt_f32_i32_e32 v196, v3
	v_cvt_f32_i32_e32 v210, v2
	ds_read2_b64 v[2:5], v143 offset1:16
	v_cvt_f32_i32_e32 v200, v200
	v_cvt_f32_i32_e32 v207, v207
	;; [unrolled: 1-line block ×6, first 2 shown]
	v_mul_lo_u32 v160, v160, v209
	v_mul_lo_u32 v16, v16, v208
	v_cvt_f32_i32_e32 v16, v16
	s_waitcnt lgkmcnt(0)
	v_fma_mix_f32 v200, v200, v4, 0 op_sel_hi:[0,1,0]
	v_fma_mix_f32 v196, v2, v196, 0 op_sel_hi:[1,0,0]
	;; [unrolled: 1-line block ×3, first 2 shown]
	ds_read_u16 v207, v214 offset:25600
	v_fma_mix_f32 v196, v3, v210, v196 op_sel_hi:[1,0,0]
	s_waitcnt lgkmcnt(0)
	v_and_b32_e32 v210, 0xff, v207
	v_and_b32_sdwa v207, v141, v207 dst_sel:DWORD dst_unused:UNUSED_PAD src0_sel:DWORD src1_sel:BYTE_1
	v_mul_lo_u32 v195, v195, v210
	v_mul_lo_u32 v206, v206, v207
	;; [unrolled: 1-line block ×8, first 2 shown]
	v_cvt_f32_i32_e32 v195, v195
	v_cvt_f32_i32_e32 v206, v206
	;; [unrolled: 1-line block ×5, first 2 shown]
	v_fma_mix_f32 v195, v2, v195, 0 op_sel_hi:[1,0,0]
	v_cvt_f32_i32_e32 v188, v188
	v_fma_mix_f32 v199, v199, v4, 0 op_sel_hi:[0,1,0]
	v_cvt_f32_i32_e32 v166, v166
	v_cvt_f32_i32_e32 v165, v165
	v_fma_mix_f32 v195, v3, v206, v195 op_sel_hi:[1,0,0]
	ds_read_u16 v206, v215 offset:26112
	v_mul_lo_u32 v181, v181, v207
	v_mul_lo_u32 v153, v153, v210
	;; [unrolled: 1-line block ×5, first 2 shown]
	v_cvt_f32_i32_e32 v181, v181
	v_cvt_f32_i32_e32 v153, v153
	v_cvt_f32_i32_e32 v9, v9
	s_waitcnt lgkmcnt(0)
	v_and_b32_e32 v211, 0xff, v206
	v_and_b32_sdwa v206, v141, v206 dst_sel:DWORD dst_unused:UNUSED_PAD src0_sel:DWORD src1_sel:BYTE_1
	v_mul_lo_u32 v194, v194, v211
	v_mul_lo_u32 v204, v204, v206
	;; [unrolled: 1-line block ×8, first 2 shown]
	v_cvt_f32_i32_e32 v194, v194
	v_cvt_f32_i32_e32 v204, v204
	;; [unrolled: 1-line block ×5, first 2 shown]
	v_fma_mix_f32 v194, v2, v194, 0 op_sel_hi:[1,0,0]
	v_cvt_f32_i32_e32 v186, v186
	v_fma_mix_f32 v198, v198, v4, 0 op_sel_hi:[0,1,0]
	v_cvt_f32_i32_e32 v164, v164
	v_mul_lo_u32 v179, v179, v206
	v_fma_mix_f32 v194, v3, v204, v194 op_sel_hi:[1,0,0]
	ds_read_u16 v204, v216 offset:26624
	v_cvt_f32_i32_e32 v163, v163
	v_mul_lo_u32 v154, v154, v211
	v_mul_lo_u32 v10, v10, v206
	;; [unrolled: 1-line block ×4, first 2 shown]
	v_cvt_f32_i32_e32 v179, v179
	v_cvt_f32_i32_e32 v10, v10
	s_waitcnt lgkmcnt(0)
	v_and_b32_e32 v212, 0xff, v204
	v_and_b32_sdwa v204, v141, v204 dst_sel:DWORD dst_unused:UNUSED_PAD src0_sel:DWORD src1_sel:BYTE_1
	v_mul_lo_u32 v193, v193, v212
	v_mul_lo_u32 v201, v201, v204
	;; [unrolled: 1-line block ×8, first 2 shown]
	v_cvt_f32_i32_e32 v193, v193
	v_cvt_f32_i32_e32 v201, v201
	;; [unrolled: 1-line block ×5, first 2 shown]
	v_fma_mix_f32 v193, v2, v193, 0 op_sel_hi:[1,0,0]
	v_cvt_f32_i32_e32 v169, v169
	v_fma_mix_f32 v197, v197, v4, 0 op_sel_hi:[0,1,0]
	v_cvt_f32_i32_e32 v161, v161
	v_cvt_f32_i32_e32 v177, v177
	v_fma_mix_f32 v193, v3, v201, v193 op_sel_hi:[1,0,0]
	v_mul_lo_u32 v201, v205, v207
	v_mul_lo_u32 v162, v162, v212
	;; [unrolled: 1-line block ×6, first 2 shown]
	v_cvt_f32_i32_e32 v201, v201
	v_cvt_f32_i32_e32 v162, v162
	;; [unrolled: 1-line block ×3, first 2 shown]
	v_fma_mix_f32 v199, v201, v5, v199 op_sel_hi:[0,1,0]
	v_mul_lo_u32 v201, v203, v206
	v_cvt_f32_i32_e32 v201, v201
	v_fma_mix_f32 v198, v201, v5, v198 op_sel_hi:[0,1,0]
	v_mul_lo_u32 v201, v202, v204
	v_cvt_f32_i32_e32 v201, v201
	v_fma_mix_f32 v197, v201, v5, v197 op_sel_hi:[0,1,0]
	ds_read_u16 v202, v213 offset:25096
	ds_read_u16 v201, v214 offset:25608
	;; [unrolled: 1-line block ×4, first 2 shown]
	s_waitcnt lgkmcnt(3)
	v_cvt_f32_ubyte0_e32 v213, v202
	s_waitcnt lgkmcnt(2)
	v_cvt_f32_ubyte0_e32 v214, v201
	;; [unrolled: 2-line block ×4, first 2 shown]
	v_cvt_f32_ubyte1_e32 v205, v205
	v_fma_mix_f32 v217, v2, v213, 0 op_sel:[1,0,0] op_sel_hi:[1,0,0]
	v_fma_mix_f32 v218, v2, v214, 0 op_sel:[1,0,0] op_sel_hi:[1,0,0]
	;; [unrolled: 1-line block ×4, first 2 shown]
	v_cvt_f32_ubyte1_e32 v202, v202
	v_cvt_f32_ubyte1_e32 v201, v201
	;; [unrolled: 1-line block ×3, first 2 shown]
	v_fma_mix_f32 v220, v3, v205, v2 op_sel:[1,0,0] op_sel_hi:[1,0,0]
	v_fma_mix_f32 v2, v213, v4, 0 op_sel:[0,1,0] op_sel_hi:[0,1,0]
	;; [unrolled: 1-line block ×12, first 2 shown]
	v_mul_lo_u32 v2, v175, v209
	v_mul_lo_u32 v175, v191, v208
	v_cvt_f32_i32_e32 v191, v2
	ds_read2_b64 v[2:5], v143 offset0:32 offset1:48
	v_cvt_f32_i32_e32 v175, v175
	s_waitcnt lgkmcnt(0)
	v_fma_mix_f32 v168, v168, v2, 0 op_sel_hi:[0,1,0]
	v_fma_mix_f32 v174, v174, v4, 0 op_sel_hi:[0,1,0]
	;; [unrolled: 1-line block ×6, first 2 shown]
	v_mul_lo_u32 v184, v190, v207
	v_fma_mix_f32 v191, v191, v2, 0 op_sel_hi:[0,1,0]
	v_fma_mix_f32 v172, v172, v2, 0 op_sel_hi:[0,1,0]
	;; [unrolled: 1-line block ×3, first 2 shown]
	v_fma_mix_f32 v186, v215, v2, 0 op_sel:[0,1,0] op_sel_hi:[0,1,0]
	v_fma_mix_f32 v176, v176, v4, 0 op_sel_hi:[0,1,0]
	v_fma_mix_f32 v175, v175, v3, v191 op_sel_hi:[0,1,0]
	v_mul_lo_u32 v191, v192, v208
	v_cvt_f32_i32_e32 v184, v184
	v_fma_mix_f32 v172, v188, v3, v172 op_sel_hi:[0,1,0]
	v_fma_mix_f32 v186, v203, v3, v186 op_sel:[0,1,0] op_sel_hi:[0,1,0]
	v_fma_mix_f32 v174, v184, v5, v174 op_sel_hi:[0,1,0]
	v_mul_lo_u32 v184, v187, v206
	v_cvt_f32_i32_e32 v191, v191
	v_fma_mix_f32 v176, v191, v5, v176 op_sel_hi:[0,1,0]
	v_cvt_f32_i32_e32 v184, v184
	v_fma_mix_f32 v171, v184, v5, v171 op_sel_hi:[0,1,0]
	v_mul_lo_u32 v184, v185, v204
	v_fma_mix_f32 v185, v214, v2, 0 op_sel:[0,1,0] op_sel_hi:[0,1,0]
	v_fma_mix_f32 v185, v201, v3, v185 op_sel:[0,1,0] op_sel_hi:[0,1,0]
	v_cvt_f32_i32_e32 v184, v184
	v_fma_mix_f32 v169, v184, v5, v169 op_sel_hi:[0,1,0]
	v_fma_mix_f32 v184, v213, v2, 0 op_sel:[0,1,0] op_sel_hi:[0,1,0]
	v_fma_mix_f32 v2, v216, v2, 0 op_sel:[0,1,0] op_sel_hi:[0,1,0]
	;; [unrolled: 1-line block ×12, first 2 shown]
	v_mul_lo_u32 v2, v167, v209
	v_mul_lo_u32 v167, v183, v208
	v_cvt_f32_i32_e32 v183, v2
	ds_read2_b64 v[2:5], v143 offset0:64 offset1:80
	v_cvt_f32_i32_e32 v167, v167
	s_waitcnt lgkmcnt(0)
	v_fma_mix_f32 v161, v161, v2, 0 op_sel_hi:[0,1,0]
	v_fma_mix_f32 v166, v166, v4, 0 op_sel_hi:[0,1,0]
	;; [unrolled: 1-line block ×6, first 2 shown]
	v_mul_lo_u32 v177, v182, v207
	v_fma_mix_f32 v183, v183, v2, 0 op_sel_hi:[0,1,0]
	v_fma_mix_f32 v165, v165, v2, 0 op_sel_hi:[0,1,0]
	;; [unrolled: 1-line block ×3, first 2 shown]
	v_fma_mix_f32 v179, v215, v2, 0 op_sel:[0,1,0] op_sel_hi:[0,1,0]
	v_fma_mix_f32 v173, v173, v4, 0 op_sel_hi:[0,1,0]
	v_fma_mix_f32 v167, v167, v3, v183 op_sel_hi:[0,1,0]
	v_mul_lo_u32 v183, v189, v208
	v_cvt_f32_i32_e32 v177, v177
	v_fma_mix_f32 v165, v181, v3, v165 op_sel_hi:[0,1,0]
	v_fma_mix_f32 v179, v203, v3, v179 op_sel:[0,1,0] op_sel_hi:[0,1,0]
	v_fma_mix_f32 v166, v177, v5, v166 op_sel_hi:[0,1,0]
	v_mul_lo_u32 v177, v180, v206
	v_cvt_f32_i32_e32 v183, v183
	v_fma_mix_f32 v173, v183, v5, v173 op_sel_hi:[0,1,0]
	v_cvt_f32_i32_e32 v177, v177
	v_fma_mix_f32 v164, v177, v5, v164 op_sel_hi:[0,1,0]
	v_mul_lo_u32 v177, v178, v204
	v_fma_mix_f32 v178, v214, v2, 0 op_sel:[0,1,0] op_sel_hi:[0,1,0]
	v_fma_mix_f32 v178, v201, v3, v178 op_sel:[0,1,0] op_sel_hi:[0,1,0]
	v_cvt_f32_i32_e32 v177, v177
	v_fma_mix_f32 v162, v177, v5, v162 op_sel_hi:[0,1,0]
	v_fma_mix_f32 v177, v213, v2, 0 op_sel:[0,1,0] op_sel_hi:[0,1,0]
	v_fma_mix_f32 v2, v216, v2, 0 op_sel:[0,1,0] op_sel_hi:[0,1,0]
	;; [unrolled: 1-line block ×12, first 2 shown]
	ds_read2_b64 v[2:5], v143 offset0:96 offset1:112
	v_add_nc_u32_e32 v143, 8, v143
	s_waitcnt lgkmcnt(0)
	v_fma_mix_f32 v153, v153, v2, 0 op_sel_hi:[0,1,0]
	v_fma_mix_f32 v225, v213, v2, 0 op_sel:[0,1,0] op_sel_hi:[0,1,0]
	v_fma_mix_f32 v213, v213, v4, 0 op_sel:[0,1,0] op_sel_hi:[0,1,0]
	v_fma_mix_f32 v156, v156, v2, 0 op_sel_hi:[0,1,0]
	v_fma_mix_f32 v9, v9, v3, v153 op_sel_hi:[0,1,0]
	v_cvt_f32_i32_e32 v153, v154
	v_fma_mix_f32 v225, v202, v3, v225 op_sel:[0,1,0] op_sel_hi:[0,1,0]
	v_fma_mix_f32 v202, v202, v5, v213 op_sel:[0,1,0] op_sel_hi:[0,1,0]
	;; [unrolled: 1-line block ×4, first 2 shown]
	v_fma_mix_f32 v153, v153, v2, 0 op_sel_hi:[0,1,0]
	v_fma_mix_f32 v12, v12, v3, v156 op_sel_hi:[0,1,0]
	v_cvt_f32_i32_e32 v156, v160
	v_fma_mix_f32 v213, v201, v3, v213 op_sel:[0,1,0] op_sel_hi:[0,1,0]
	v_fma_mix_f32 v201, v201, v5, v214 op_sel:[0,1,0] op_sel_hi:[0,1,0]
	;; [unrolled: 1-line block ×4, first 2 shown]
	v_fma_mix_f32 v10, v10, v3, v153 op_sel_hi:[0,1,0]
	v_cvt_f32_i32_e32 v153, v155
	v_mul_f32_e32 v155, v225, v145
	v_fma_mix_f32 v214, v203, v3, v214 op_sel:[0,1,0] op_sel_hi:[0,1,0]
	v_fma_mix_f32 v203, v203, v5, v215 op_sel:[0,1,0] op_sel_hi:[0,1,0]
	;; [unrolled: 1-line block ×3, first 2 shown]
	v_fma_mix_f32 v2, v153, v2, 0 op_sel_hi:[0,1,0]
	v_mul_f32_e32 v153, v177, v145
	v_fma_f32 v12, v12, v144, -v155
	v_fma_mix_f32 v216, v216, v4, 0 op_sel:[0,1,0] op_sel_hi:[0,1,0]
	v_fma_mix_f32 v215, v205, v3, v215 op_sel:[0,1,0] op_sel_hi:[0,1,0]
	v_fma_mix_f32 v2, v11, v3, v2 op_sel_hi:[0,1,0]
	v_cvt_f32_i32_e32 v3, v157
	v_cvt_f32_i32_e32 v11, v13
	v_cvt_f32_i32_e32 v13, v14
	v_fma_f32 v153, v167, v144, -v153
	v_add_f32_e32 v24, v24, v12
	v_fma_mix_f32 v3, v3, v4, 0 op_sel_hi:[0,1,0]
	v_mul_f32_e32 v12, v213, v146
	v_fma_mix_f32 v156, v156, v4, 0 op_sel_hi:[0,1,0]
	v_add_f32_e32 v33, v33, v153
	v_mul_f32_e32 v153, v178, v146
	v_fma_mix_f32 v3, v11, v5, v3 op_sel_hi:[0,1,0]
	v_cvt_f32_i32_e32 v11, v158
	v_fma_f32 v9, v9, v147, -v12
	v_mul_f32_e32 v12, v214, v148
	v_fma_f32 v153, v165, v147, -v153
	v_mul_f32_e32 v165, v179, v148
	v_fma_mix_f32 v11, v11, v4, 0 op_sel_hi:[0,1,0]
	v_fma_mix_f32 v205, v205, v5, v216 op_sel:[0,1,0] op_sel_hi:[0,1,0]
	v_fma_f32 v10, v10, v149, -v12
	v_mul_f32_e32 v12, v215, v150
	v_fma_mix_f32 v16, v16, v5, v156 op_sel_hi:[0,1,0]
	v_fma_mix_f32 v11, v13, v5, v11 op_sel_hi:[0,1,0]
	v_cvt_f32_i32_e32 v13, v159
	v_mul_f32_e32 v14, v184, v145
	v_mul_f32_e32 v154, v181, v145
	v_fma_f32 v163, v163, v149, -v165
	v_mul_f32_e32 v165, v180, v150
	v_fma_mix_f32 v4, v13, v4, 0 op_sel_hi:[0,1,0]
	v_cvt_f32_i32_e32 v13, v15
	v_mul_f32_e32 v15, v188, v145
	v_fma_f32 v2, v2, v151, -v12
	v_mul_f32_e32 v12, v201, v146
	v_fma_f32 v14, v175, v144, -v14
	v_fma_mix_f32 v4, v13, v5, v4 op_sel_hi:[0,1,0]
	v_mul_f32_e32 v5, v217, v145
	v_mul_f32_e32 v13, v221, v145
	v_fma_f32 v15, v176, v144, -v15
	v_fma_f32 v154, v173, v144, -v154
	v_mul_f32_e32 v155, v202, v145
	v_fma_f32 v5, v196, v144, -v5
	v_fma_f32 v13, v200, v144, -v13
	v_mul_f32_e32 v160, v187, v150
	v_fma_f32 v161, v161, v151, -v165
	v_mul_f32_e32 v165, v183, v148
	;; [unrolled: 2-line block ×3, first 2 shown]
	v_fma_f32 v16, v16, v144, -v155
	v_add_f32_e32 v90, v90, v5
	v_mul_f32_e32 v5, v218, v146
	v_mul_f32_e32 v155, v219, v148
	;; [unrolled: 1-line block ×3, first 2 shown]
	v_add_f32_e32 v57, v57, v13
	v_mul_f32_e32 v13, v222, v146
	v_mul_f32_e32 v157, v223, v148
	;; [unrolled: 1-line block ×3, first 2 shown]
	v_add_f32_e32 v46, v46, v14
	v_mul_f32_e32 v14, v185, v146
	v_mul_f32_e32 v159, v186, v148
	v_fma_f32 v160, v168, v151, -v160
	v_add_f32_e32 v39, v39, v15
	v_mul_f32_e32 v15, v190, v146
	v_mul_f32_e32 v167, v191, v148
	;; [unrolled: 1-line block ×3, first 2 shown]
	v_add_f32_e32 v29, v29, v154
	v_mul_f32_e32 v154, v182, v146
	v_fma_f32 v164, v164, v149, -v165
	v_mul_f32_e32 v165, v189, v150
	v_fma_f32 v11, v11, v149, -v12
	;; [unrolled: 2-line block ×3, first 2 shown]
	v_fma_f32 v155, v194, v149, -v155
	v_fma_f32 v156, v193, v151, -v156
	v_fma_f32 v13, v199, v147, -v13
	v_fma_f32 v157, v198, v149, -v157
	v_fma_f32 v158, v197, v151, -v158
	v_fma_f32 v14, v172, v147, -v14
	v_fma_f32 v159, v170, v149, -v159
	v_fma_f32 v15, v174, v147, -v15
	v_fma_f32 v167, v171, v149, -v167
	v_fma_f32 v168, v169, v151, -v168
	v_fma_f32 v154, v166, v147, -v154
	v_fma_f32 v162, v162, v151, -v165
	v_fma_f32 v4, v4, v151, -v12
	v_add_f32_e32 v20, v20, v16
	v_add_f32_e32 v85, v85, v5
	;; [unrolled: 1-line block ×25, first 2 shown]
	s_cbranch_scc1 .LBB131_8
; %bb.9:                                ;   in Loop: Header=BB131_5 Depth=1
	s_add_i32 s11, s11, 1
	s_cmp_eq_u32 s11, s4
	s_barrier
	buffer_gl0_inv
	s_cbranch_scc0 .LBB131_5
; %bb.10:
	v_mov_b32_e32 v2, v27
.LBB131_11:
	s_mov_b32 s0, exec_lo
	v_cmpx_gt_u32_e64 s8, v2
	s_cbranch_execz .LBB131_62
; %bb.12:
	v_add_nc_u32_e32 v0, s6, v0
	v_mul_lo_u32 v5, v2, s10
	v_cmp_gt_u32_e32 vcc_lo, s10, v0
	s_and_saveexec_b32 s1, vcc_lo
	s_cbranch_execz .LBB131_14
; %bb.13:
	v_add_nc_u32_e32 v2, v0, v5
	v_mov_b32_e32 v3, 0
	v_lshlrev_b64 v[2:3], 2, v[2:3]
	s_waitcnt lgkmcnt(0)
	v_add_co_u32 v2, s0, s12, v2
	v_add_co_ci_u32_e64 v3, null, s13, v3, s0
	global_store_dword v[2:3], v90, off
.LBB131_14:
	s_or_b32 exec_lo, exec_lo, s1
	v_add_nc_u32_e32 v2, 32, v0
	v_cmp_gt_u32_e64 s0, s10, v2
	s_and_saveexec_b32 s2, s0
	s_cbranch_execz .LBB131_16
; %bb.15:
	v_add_nc_u32_e32 v3, v2, v5
	v_mov_b32_e32 v4, 0
	v_lshlrev_b64 v[3:4], 2, v[3:4]
	s_waitcnt lgkmcnt(0)
	v_add_co_u32 v3, s1, s12, v3
	v_add_co_ci_u32_e64 v4, null, s13, v4, s1
	global_store_dword v[3:4], v85, off
.LBB131_16:
	s_or_b32 exec_lo, exec_lo, s2
	v_add_nc_u32_e32 v3, 64, v0
	v_cmp_gt_u32_e64 s1, s10, v3
	s_and_saveexec_b32 s3, s1
	;; [unrolled: 14-line block ×3, first 2 shown]
	s_cbranch_execz .LBB131_20
; %bb.19:
	v_add_nc_u32_e32 v5, v4, v5
	v_mov_b32_e32 v6, 0
	v_lshlrev_b64 v[5:6], 2, v[5:6]
	s_waitcnt lgkmcnt(0)
	v_add_co_u32 v5, s3, s12, v5
	v_add_co_ci_u32_e64 v6, null, s13, v6, s3
	global_store_dword v[5:6], v58, off
.LBB131_20:
	s_or_b32 exec_lo, exec_lo, s4
	v_add3_u32 v5, v1, s7, 8
	v_cmp_gt_u32_e64 s3, s8, v5
	s_and_b32 exec_lo, exec_lo, s3
	s_cbranch_execz .LBB131_62
; %bb.21:
	v_mul_lo_u32 v5, v5, s10
	s_and_saveexec_b32 s4, vcc_lo
	s_cbranch_execnz .LBB131_63
; %bb.22:
	s_or_b32 exec_lo, exec_lo, s4
	s_and_saveexec_b32 s4, s0
	s_cbranch_execnz .LBB131_64
.LBB131_23:
	s_or_b32 exec_lo, exec_lo, s4
	s_and_saveexec_b32 s4, s1
	s_cbranch_execnz .LBB131_65
.LBB131_24:
	s_or_b32 exec_lo, exec_lo, s4
	s_and_saveexec_b32 s4, s2
	s_cbranch_execz .LBB131_26
.LBB131_25:
	v_add_nc_u32_e32 v5, v5, v4
	v_mov_b32_e32 v6, 0
	v_lshlrev_b64 v[5:6], 2, v[5:6]
	s_waitcnt lgkmcnt(0)
	v_add_co_u32 v5, s3, s12, v5
	v_add_co_ci_u32_e64 v6, null, s13, v6, s3
	global_store_dword v[5:6], v47, off
.LBB131_26:
	s_or_b32 exec_lo, exec_lo, s4
	v_add3_u32 v5, v1, s7, 16
	v_cmp_gt_u32_e64 s3, s8, v5
	s_and_b32 exec_lo, exec_lo, s3
	s_cbranch_execz .LBB131_62
; %bb.27:
	v_mul_lo_u32 v5, v5, s10
	s_and_saveexec_b32 s4, vcc_lo
	s_cbranch_execnz .LBB131_66
; %bb.28:
	s_or_b32 exec_lo, exec_lo, s4
	s_and_saveexec_b32 s4, s0
	s_cbranch_execnz .LBB131_67
.LBB131_29:
	s_or_b32 exec_lo, exec_lo, s4
	s_and_saveexec_b32 s4, s1
	s_cbranch_execnz .LBB131_68
.LBB131_30:
	s_or_b32 exec_lo, exec_lo, s4
	s_and_saveexec_b32 s4, s2
	s_cbranch_execz .LBB131_32
.LBB131_31:
	v_add_nc_u32_e32 v5, v5, v4
	v_mov_b32_e32 v6, 0
	v_lshlrev_b64 v[5:6], 2, v[5:6]
	s_waitcnt lgkmcnt(0)
	v_add_co_u32 v5, s3, s12, v5
	v_add_co_ci_u32_e64 v6, null, s13, v6, s3
	global_store_dword v[5:6], v41, off
.LBB131_32:
	s_or_b32 exec_lo, exec_lo, s4
	v_add3_u32 v5, v1, s7, 24
	v_cmp_gt_u32_e64 s3, s8, v5
	s_and_b32 exec_lo, exec_lo, s3
	s_cbranch_execz .LBB131_62
; %bb.33:
	v_mul_lo_u32 v5, v5, s10
	s_and_saveexec_b32 s4, vcc_lo
	s_cbranch_execnz .LBB131_69
; %bb.34:
	s_or_b32 exec_lo, exec_lo, s4
	s_and_saveexec_b32 s4, s0
	s_cbranch_execnz .LBB131_70
.LBB131_35:
	s_or_b32 exec_lo, exec_lo, s4
	s_and_saveexec_b32 s4, s1
	s_cbranch_execnz .LBB131_71
.LBB131_36:
	s_or_b32 exec_lo, exec_lo, s4
	s_and_saveexec_b32 s4, s2
	s_cbranch_execz .LBB131_38
.LBB131_37:
	v_add_nc_u32_e32 v5, v5, v4
	v_mov_b32_e32 v6, 0
	v_lshlrev_b64 v[5:6], 2, v[5:6]
	s_waitcnt lgkmcnt(0)
	v_add_co_u32 v5, s3, s12, v5
	v_add_co_ci_u32_e64 v6, null, s13, v6, s3
	global_store_dword v[5:6], v35, off
.LBB131_38:
	s_or_b32 exec_lo, exec_lo, s4
	v_add3_u32 v5, v1, s7, 32
	v_cmp_gt_u32_e64 s3, s8, v5
	s_and_b32 exec_lo, exec_lo, s3
	s_cbranch_execz .LBB131_62
; %bb.39:
	v_mul_lo_u32 v5, v5, s10
	s_and_saveexec_b32 s4, vcc_lo
	s_cbranch_execnz .LBB131_72
; %bb.40:
	s_or_b32 exec_lo, exec_lo, s4
	s_and_saveexec_b32 s4, s0
	s_cbranch_execnz .LBB131_73
.LBB131_41:
	s_or_b32 exec_lo, exec_lo, s4
	s_and_saveexec_b32 s4, s1
	s_cbranch_execnz .LBB131_74
.LBB131_42:
	s_or_b32 exec_lo, exec_lo, s4
	s_and_saveexec_b32 s4, s2
	s_cbranch_execz .LBB131_44
.LBB131_43:
	v_add_nc_u32_e32 v5, v5, v4
	v_mov_b32_e32 v6, 0
	v_lshlrev_b64 v[5:6], 2, v[5:6]
	s_waitcnt lgkmcnt(0)
	v_add_co_u32 v5, s3, s12, v5
	v_add_co_ci_u32_e64 v6, null, s13, v6, s3
	global_store_dword v[5:6], v30, off
.LBB131_44:
	s_or_b32 exec_lo, exec_lo, s4
	v_add3_u32 v5, v1, s7, 40
	v_cmp_gt_u32_e64 s3, s8, v5
	s_and_b32 exec_lo, exec_lo, s3
	s_cbranch_execz .LBB131_62
; %bb.45:
	v_mul_lo_u32 v5, v5, s10
	s_and_saveexec_b32 s4, vcc_lo
	s_cbranch_execnz .LBB131_75
; %bb.46:
	s_or_b32 exec_lo, exec_lo, s4
	s_and_saveexec_b32 s4, s0
	s_cbranch_execnz .LBB131_76
.LBB131_47:
	s_or_b32 exec_lo, exec_lo, s4
	s_and_saveexec_b32 s4, s1
	s_cbranch_execnz .LBB131_77
.LBB131_48:
	s_or_b32 exec_lo, exec_lo, s4
	s_and_saveexec_b32 s4, s2
	s_cbranch_execz .LBB131_50
.LBB131_49:
	v_add_nc_u32_e32 v5, v5, v4
	v_mov_b32_e32 v6, 0
	v_lshlrev_b64 v[5:6], 2, v[5:6]
	s_waitcnt lgkmcnt(0)
	v_add_co_u32 v5, s3, s12, v5
	v_add_co_ci_u32_e64 v6, null, s13, v6, s3
	global_store_dword v[5:6], v25, off
.LBB131_50:
	s_or_b32 exec_lo, exec_lo, s4
	v_add3_u32 v5, v1, s7, 48
	v_cmp_gt_u32_e64 s3, s8, v5
	s_and_b32 exec_lo, exec_lo, s3
	s_cbranch_execz .LBB131_62
; %bb.51:
	v_mul_lo_u32 v5, v5, s10
	s_and_saveexec_b32 s4, vcc_lo
	s_cbranch_execnz .LBB131_78
; %bb.52:
	s_or_b32 exec_lo, exec_lo, s4
	s_and_saveexec_b32 s4, s0
	s_cbranch_execnz .LBB131_79
.LBB131_53:
	s_or_b32 exec_lo, exec_lo, s4
	s_and_saveexec_b32 s4, s1
	s_cbranch_execnz .LBB131_80
.LBB131_54:
	s_or_b32 exec_lo, exec_lo, s4
	s_and_saveexec_b32 s4, s2
	s_cbranch_execz .LBB131_56
.LBB131_55:
	v_add_nc_u32_e32 v5, v5, v4
	v_mov_b32_e32 v6, 0
	v_lshlrev_b64 v[5:6], 2, v[5:6]
	s_waitcnt lgkmcnt(0)
	v_add_co_u32 v5, s3, s12, v5
	v_add_co_ci_u32_e64 v6, null, s13, v6, s3
	global_store_dword v[5:6], v21, off
.LBB131_56:
	s_or_b32 exec_lo, exec_lo, s4
	v_add3_u32 v1, v1, s7, 56
	v_cmp_gt_u32_e64 s3, s8, v1
	s_and_b32 exec_lo, exec_lo, s3
	s_cbranch_execz .LBB131_62
; %bb.57:
	v_mul_lo_u32 v1, v1, s10
	s_and_saveexec_b32 s3, vcc_lo
	s_cbranch_execnz .LBB131_81
; %bb.58:
	s_or_b32 exec_lo, exec_lo, s3
	s_and_saveexec_b32 s3, s0
	s_cbranch_execnz .LBB131_82
.LBB131_59:
	s_or_b32 exec_lo, exec_lo, s3
	s_and_saveexec_b32 s0, s1
	s_cbranch_execnz .LBB131_83
.LBB131_60:
	s_or_b32 exec_lo, exec_lo, s0
	s_and_b32 exec_lo, exec_lo, s2
	s_cbranch_execz .LBB131_62
.LBB131_61:
	v_add_nc_u32_e32 v0, v1, v4
	v_mov_b32_e32 v1, 0
	v_lshlrev_b64 v[0:1], 2, v[0:1]
	s_waitcnt lgkmcnt(0)
	v_add_co_u32 v0, vcc_lo, s12, v0
	v_add_co_ci_u32_e64 v1, null, s13, v1, vcc_lo
	global_store_dword v[0:1], v17, off
.LBB131_62:
	s_endpgm
.LBB131_63:
	v_add_nc_u32_e32 v6, v5, v0
	v_mov_b32_e32 v7, 0
	v_lshlrev_b64 v[6:7], 2, v[6:7]
	s_waitcnt lgkmcnt(0)
	v_add_co_u32 v6, s3, s12, v6
	v_add_co_ci_u32_e64 v7, null, s13, v7, s3
	global_store_dword v[6:7], v57, off
	s_or_b32 exec_lo, exec_lo, s4
	s_and_saveexec_b32 s4, s0
	s_cbranch_execz .LBB131_23
.LBB131_64:
	v_add_nc_u32_e32 v6, v5, v2
	v_mov_b32_e32 v7, 0
	v_lshlrev_b64 v[6:7], 2, v[6:7]
	s_waitcnt lgkmcnt(0)
	v_add_co_u32 v6, s3, s12, v6
	v_add_co_ci_u32_e64 v7, null, s13, v7, s3
	global_store_dword v[6:7], v53, off
	s_or_b32 exec_lo, exec_lo, s4
	s_and_saveexec_b32 s4, s1
	s_cbranch_execz .LBB131_24
.LBB131_65:
	v_add_nc_u32_e32 v6, v5, v3
	v_mov_b32_e32 v7, 0
	v_lshlrev_b64 v[6:7], 2, v[6:7]
	s_waitcnt lgkmcnt(0)
	v_add_co_u32 v6, s3, s12, v6
	v_add_co_ci_u32_e64 v7, null, s13, v7, s3
	global_store_dword v[6:7], v49, off
	s_or_b32 exec_lo, exec_lo, s4
	s_and_saveexec_b32 s4, s2
	s_cbranch_execnz .LBB131_25
	s_branch .LBB131_26
.LBB131_66:
	v_add_nc_u32_e32 v6, v5, v0
	v_mov_b32_e32 v7, 0
	v_lshlrev_b64 v[6:7], 2, v[6:7]
	s_waitcnt lgkmcnt(0)
	v_add_co_u32 v6, s3, s12, v6
	v_add_co_ci_u32_e64 v7, null, s13, v7, s3
	global_store_dword v[6:7], v46, off
	s_or_b32 exec_lo, exec_lo, s4
	s_and_saveexec_b32 s4, s0
	s_cbranch_execz .LBB131_29
.LBB131_67:
	v_add_nc_u32_e32 v6, v5, v2
	v_mov_b32_e32 v7, 0
	v_lshlrev_b64 v[6:7], 2, v[6:7]
	s_waitcnt lgkmcnt(0)
	v_add_co_u32 v6, s3, s12, v6
	v_add_co_ci_u32_e64 v7, null, s13, v7, s3
	global_store_dword v[6:7], v45, off
	s_or_b32 exec_lo, exec_lo, s4
	s_and_saveexec_b32 s4, s1
	s_cbranch_execz .LBB131_30
.LBB131_68:
	v_add_nc_u32_e32 v6, v5, v3
	v_mov_b32_e32 v7, 0
	v_lshlrev_b64 v[6:7], 2, v[6:7]
	s_waitcnt lgkmcnt(0)
	v_add_co_u32 v6, s3, s12, v6
	v_add_co_ci_u32_e64 v7, null, s13, v7, s3
	global_store_dword v[6:7], v43, off
	s_or_b32 exec_lo, exec_lo, s4
	s_and_saveexec_b32 s4, s2
	s_cbranch_execnz .LBB131_31
	s_branch .LBB131_32
.LBB131_69:
	v_add_nc_u32_e32 v6, v5, v0
	v_mov_b32_e32 v7, 0
	v_lshlrev_b64 v[6:7], 2, v[6:7]
	s_waitcnt lgkmcnt(0)
	v_add_co_u32 v6, s3, s12, v6
	v_add_co_ci_u32_e64 v7, null, s13, v7, s3
	global_store_dword v[6:7], v39, off
	s_or_b32 exec_lo, exec_lo, s4
	s_and_saveexec_b32 s4, s0
	s_cbranch_execz .LBB131_35
.LBB131_70:
	v_add_nc_u32_e32 v6, v5, v2
	v_mov_b32_e32 v7, 0
	v_lshlrev_b64 v[6:7], 2, v[6:7]
	s_waitcnt lgkmcnt(0)
	v_add_co_u32 v6, s3, s12, v6
	v_add_co_ci_u32_e64 v7, null, s13, v7, s3
	global_store_dword v[6:7], v37, off
	s_or_b32 exec_lo, exec_lo, s4
	s_and_saveexec_b32 s4, s1
	s_cbranch_execz .LBB131_36
.LBB131_71:
	v_add_nc_u32_e32 v6, v5, v3
	v_mov_b32_e32 v7, 0
	v_lshlrev_b64 v[6:7], 2, v[6:7]
	s_waitcnt lgkmcnt(0)
	v_add_co_u32 v6, s3, s12, v6
	v_add_co_ci_u32_e64 v7, null, s13, v7, s3
	global_store_dword v[6:7], v36, off
	s_or_b32 exec_lo, exec_lo, s4
	s_and_saveexec_b32 s4, s2
	s_cbranch_execnz .LBB131_37
	s_branch .LBB131_38
.LBB131_72:
	v_add_nc_u32_e32 v6, v5, v0
	v_mov_b32_e32 v7, 0
	v_lshlrev_b64 v[6:7], 2, v[6:7]
	s_waitcnt lgkmcnt(0)
	v_add_co_u32 v6, s3, s12, v6
	v_add_co_ci_u32_e64 v7, null, s13, v7, s3
	global_store_dword v[6:7], v33, off
	s_or_b32 exec_lo, exec_lo, s4
	s_and_saveexec_b32 s4, s0
	s_cbranch_execz .LBB131_41
.LBB131_73:
	v_add_nc_u32_e32 v6, v5, v2
	v_mov_b32_e32 v7, 0
	v_lshlrev_b64 v[6:7], 2, v[6:7]
	s_waitcnt lgkmcnt(0)
	v_add_co_u32 v6, s3, s12, v6
	v_add_co_ci_u32_e64 v7, null, s13, v7, s3
	global_store_dword v[6:7], v32, off
	s_or_b32 exec_lo, exec_lo, s4
	s_and_saveexec_b32 s4, s1
	s_cbranch_execz .LBB131_42
.LBB131_74:
	v_add_nc_u32_e32 v6, v5, v3
	v_mov_b32_e32 v7, 0
	v_lshlrev_b64 v[6:7], 2, v[6:7]
	s_waitcnt lgkmcnt(0)
	v_add_co_u32 v6, s3, s12, v6
	v_add_co_ci_u32_e64 v7, null, s13, v7, s3
	global_store_dword v[6:7], v31, off
	s_or_b32 exec_lo, exec_lo, s4
	s_and_saveexec_b32 s4, s2
	s_cbranch_execnz .LBB131_43
	s_branch .LBB131_44
.LBB131_75:
	v_add_nc_u32_e32 v6, v5, v0
	v_mov_b32_e32 v7, 0
	v_lshlrev_b64 v[6:7], 2, v[6:7]
	s_waitcnt lgkmcnt(0)
	v_add_co_u32 v6, s3, s12, v6
	v_add_co_ci_u32_e64 v7, null, s13, v7, s3
	global_store_dword v[6:7], v29, off
	s_or_b32 exec_lo, exec_lo, s4
	s_and_saveexec_b32 s4, s0
	s_cbranch_execz .LBB131_47
.LBB131_76:
	v_add_nc_u32_e32 v6, v5, v2
	v_mov_b32_e32 v7, 0
	v_lshlrev_b64 v[6:7], 2, v[6:7]
	s_waitcnt lgkmcnt(0)
	v_add_co_u32 v6, s3, s12, v6
	v_add_co_ci_u32_e64 v7, null, s13, v7, s3
	global_store_dword v[6:7], v28, off
	s_or_b32 exec_lo, exec_lo, s4
	s_and_saveexec_b32 s4, s1
	s_cbranch_execz .LBB131_48
.LBB131_77:
	v_add_nc_u32_e32 v6, v5, v3
	v_mov_b32_e32 v7, 0
	v_lshlrev_b64 v[6:7], 2, v[6:7]
	s_waitcnt lgkmcnt(0)
	v_add_co_u32 v6, s3, s12, v6
	v_add_co_ci_u32_e64 v7, null, s13, v7, s3
	global_store_dword v[6:7], v26, off
	s_or_b32 exec_lo, exec_lo, s4
	s_and_saveexec_b32 s4, s2
	s_cbranch_execnz .LBB131_49
	s_branch .LBB131_50
.LBB131_78:
	v_add_nc_u32_e32 v6, v5, v0
	v_mov_b32_e32 v7, 0
	v_lshlrev_b64 v[6:7], 2, v[6:7]
	s_waitcnt lgkmcnt(0)
	v_add_co_u32 v6, s3, s12, v6
	v_add_co_ci_u32_e64 v7, null, s13, v7, s3
	global_store_dword v[6:7], v24, off
	s_or_b32 exec_lo, exec_lo, s4
	s_and_saveexec_b32 s4, s0
	s_cbranch_execz .LBB131_53
.LBB131_79:
	v_add_nc_u32_e32 v6, v5, v2
	v_mov_b32_e32 v7, 0
	v_lshlrev_b64 v[6:7], 2, v[6:7]
	s_waitcnt lgkmcnt(0)
	v_add_co_u32 v6, s3, s12, v6
	v_add_co_ci_u32_e64 v7, null, s13, v7, s3
	global_store_dword v[6:7], v23, off
	s_or_b32 exec_lo, exec_lo, s4
	s_and_saveexec_b32 s4, s1
	s_cbranch_execz .LBB131_54
.LBB131_80:
	v_add_nc_u32_e32 v6, v5, v3
	v_mov_b32_e32 v7, 0
	v_lshlrev_b64 v[6:7], 2, v[6:7]
	s_waitcnt lgkmcnt(0)
	v_add_co_u32 v6, s3, s12, v6
	v_add_co_ci_u32_e64 v7, null, s13, v7, s3
	global_store_dword v[6:7], v22, off
	s_or_b32 exec_lo, exec_lo, s4
	s_and_saveexec_b32 s4, s2
	s_cbranch_execnz .LBB131_55
	s_branch .LBB131_56
.LBB131_81:
	v_add_nc_u32_e32 v5, v1, v0
	v_mov_b32_e32 v6, 0
	v_lshlrev_b64 v[5:6], 2, v[5:6]
	s_waitcnt lgkmcnt(0)
	v_add_co_u32 v5, vcc_lo, s12, v5
	v_add_co_ci_u32_e64 v6, null, s13, v6, vcc_lo
	global_store_dword v[5:6], v20, off
	s_or_b32 exec_lo, exec_lo, s3
	s_and_saveexec_b32 s3, s0
	s_cbranch_execz .LBB131_59
.LBB131_82:
	v_add_nc_u32_e32 v5, v1, v2
	v_mov_b32_e32 v6, 0
	v_lshlrev_b64 v[5:6], 2, v[5:6]
	s_waitcnt lgkmcnt(0)
	v_add_co_u32 v5, vcc_lo, s12, v5
	v_add_co_ci_u32_e64 v6, null, s13, v6, vcc_lo
	global_store_dword v[5:6], v19, off
	s_or_b32 exec_lo, exec_lo, s3
	s_and_saveexec_b32 s0, s1
	s_cbranch_execz .LBB131_60
.LBB131_83:
	v_add_nc_u32_e32 v2, v1, v3
	v_mov_b32_e32 v3, 0
	v_lshlrev_b64 v[2:3], 2, v[2:3]
	s_waitcnt lgkmcnt(0)
	v_add_co_u32 v2, vcc_lo, s12, v2
	v_add_co_ci_u32_e64 v3, null, s13, v3, vcc_lo
	global_store_dword v[2:3], v18, off
	s_or_b32 exec_lo, exec_lo, s0
	s_and_b32 exec_lo, exec_lo, s2
	s_cbranch_execnz .LBB131_61
	s_branch .LBB131_62
	.section	.rodata,"a",@progbits
	.p2align	6, 0x0
	.amdhsa_kernel _ZL12mul_mat_q4_KIfLb0EEvPKvS1_PT_iiiii
		.amdhsa_group_segment_fixed_size 28752
		.amdhsa_private_segment_fixed_size 0
		.amdhsa_kernarg_size 44
		.amdhsa_user_sgpr_count 6
		.amdhsa_user_sgpr_private_segment_buffer 1
		.amdhsa_user_sgpr_dispatch_ptr 0
		.amdhsa_user_sgpr_queue_ptr 0
		.amdhsa_user_sgpr_kernarg_segment_ptr 1
		.amdhsa_user_sgpr_dispatch_id 0
		.amdhsa_user_sgpr_flat_scratch_init 0
		.amdhsa_user_sgpr_private_segment_size 0
		.amdhsa_wavefront_size32 1
		.amdhsa_uses_dynamic_stack 0
		.amdhsa_system_sgpr_private_segment_wavefront_offset 0
		.amdhsa_system_sgpr_workgroup_id_x 1
		.amdhsa_system_sgpr_workgroup_id_y 1
		.amdhsa_system_sgpr_workgroup_id_z 0
		.amdhsa_system_sgpr_workgroup_info 0
		.amdhsa_system_vgpr_workitem_id 1
		.amdhsa_next_free_vgpr 255
		.amdhsa_next_free_sgpr 17
		.amdhsa_reserve_vcc 1
		.amdhsa_reserve_flat_scratch 0
		.amdhsa_float_round_mode_32 0
		.amdhsa_float_round_mode_16_64 0
		.amdhsa_float_denorm_mode_32 3
		.amdhsa_float_denorm_mode_16_64 3
		.amdhsa_dx10_clamp 1
		.amdhsa_ieee_mode 1
		.amdhsa_fp16_overflow 0
		.amdhsa_workgroup_processor_mode 1
		.amdhsa_memory_ordered 1
		.amdhsa_forward_progress 1
		.amdhsa_shared_vgpr_count 0
		.amdhsa_exception_fp_ieee_invalid_op 0
		.amdhsa_exception_fp_denorm_src 0
		.amdhsa_exception_fp_ieee_div_zero 0
		.amdhsa_exception_fp_ieee_overflow 0
		.amdhsa_exception_fp_ieee_underflow 0
		.amdhsa_exception_fp_ieee_inexact 0
		.amdhsa_exception_int_div_zero 0
	.end_amdhsa_kernel
	.section	.text._ZL12mul_mat_q4_KIfLb0EEvPKvS1_PT_iiiii,"axG",@progbits,_ZL12mul_mat_q4_KIfLb0EEvPKvS1_PT_iiiii,comdat
.Lfunc_end131:
	.size	_ZL12mul_mat_q4_KIfLb0EEvPKvS1_PT_iiiii, .Lfunc_end131-_ZL12mul_mat_q4_KIfLb0EEvPKvS1_PT_iiiii
                                        ; -- End function
	.set _ZL12mul_mat_q4_KIfLb0EEvPKvS1_PT_iiiii.num_vgpr, 255
	.set _ZL12mul_mat_q4_KIfLb0EEvPKvS1_PT_iiiii.num_agpr, 0
	.set _ZL12mul_mat_q4_KIfLb0EEvPKvS1_PT_iiiii.numbered_sgpr, 17
	.set _ZL12mul_mat_q4_KIfLb0EEvPKvS1_PT_iiiii.num_named_barrier, 0
	.set _ZL12mul_mat_q4_KIfLb0EEvPKvS1_PT_iiiii.private_seg_size, 0
	.set _ZL12mul_mat_q4_KIfLb0EEvPKvS1_PT_iiiii.uses_vcc, 1
	.set _ZL12mul_mat_q4_KIfLb0EEvPKvS1_PT_iiiii.uses_flat_scratch, 0
	.set _ZL12mul_mat_q4_KIfLb0EEvPKvS1_PT_iiiii.has_dyn_sized_stack, 0
	.set _ZL12mul_mat_q4_KIfLb0EEvPKvS1_PT_iiiii.has_recursion, 0
	.set _ZL12mul_mat_q4_KIfLb0EEvPKvS1_PT_iiiii.has_indirect_call, 0
	.section	.AMDGPU.csdata,"",@progbits
; Kernel info:
; codeLenInByte = 18320
; TotalNumSgprs: 19
; NumVgprs: 255
; ScratchSize: 0
; MemoryBound: 0
; FloatMode: 240
; IeeeMode: 1
; LDSByteSize: 28752 bytes/workgroup (compile time only)
; SGPRBlocks: 0
; VGPRBlocks: 31
; NumSGPRsForWavesPerEU: 19
; NumVGPRsForWavesPerEU: 255
; Occupancy: 4
; WaveLimiterHint : 0
; COMPUTE_PGM_RSRC2:SCRATCH_EN: 0
; COMPUTE_PGM_RSRC2:USER_SGPR: 6
; COMPUTE_PGM_RSRC2:TRAP_HANDLER: 0
; COMPUTE_PGM_RSRC2:TGID_X_EN: 1
; COMPUTE_PGM_RSRC2:TGID_Y_EN: 1
; COMPUTE_PGM_RSRC2:TGID_Z_EN: 0
; COMPUTE_PGM_RSRC2:TIDIG_COMP_CNT: 1
	.section	.text._ZL12mul_mat_q4_KIfLb1EEvPKvS1_PT_iiiii,"axG",@progbits,_ZL12mul_mat_q4_KIfLb1EEvPKvS1_PT_iiiii,comdat
	.globl	_ZL12mul_mat_q4_KIfLb1EEvPKvS1_PT_iiiii ; -- Begin function _ZL12mul_mat_q4_KIfLb1EEvPKvS1_PT_iiiii
	.p2align	8
	.type	_ZL12mul_mat_q4_KIfLb1EEvPKvS1_PT_iiiii,@function
_ZL12mul_mat_q4_KIfLb1EEvPKvS1_PT_iiiii: ; @_ZL12mul_mat_q4_KIfLb1EEvPKvS1_PT_iiiii
; %bb.0:
	s_clause 0x1
	s_load_dwordx4 s[8:11], s[4:5], 0x18
	s_load_dword s14, s[4:5], 0x28
	s_lshl_b32 s7, s7, 6
	v_add_nc_u32_e32 v44, s7, v1
	s_waitcnt lgkmcnt(0)
	s_cmpk_gt_i32 s8, 0xff
	s_cbranch_scc1 .LBB132_2
; %bb.1:
	v_add_nc_u32_e32 v2, s7, v1
	s_mov_b32 s0, 0
	s_branch .LBB132_3
.LBB132_2:
	s_mov_b32 s0, -1
                                        ; implicit-def: $vgpr2
.LBB132_3:
	s_load_dwordx2 s[12:13], s[4:5], 0x10
	v_mov_b32_e32 v34, 0
	v_mov_b32_e32 v38, 0
	;; [unrolled: 1-line block ×32, first 2 shown]
	s_andn2_b32 vcc_lo, exec_lo, s0
	s_lshl_b32 s6, s6, 7
	s_cbranch_vccnz .LBB132_11
; %bb.4:
	s_load_dwordx4 s[0:3], s[4:5], 0x0
	s_ashr_i32 s4, s8, 31
	s_ashr_i32 s5, s11, 31
	s_lshr_b32 s4, s4, 24
	s_lshr_b32 s5, s5, 27
	s_add_i32 s4, s8, s4
	s_add_i32 s5, s11, s5
	s_ashr_i32 s4, s4, 8
	s_ashr_i32 s11, s5, 5
	s_mul_i32 s8, s4, s6
	v_lshlrev_b32_e32 v6, 2, v0
	s_mul_i32 s5, s8, 0x90
	s_mul_hi_i32 s8, s8, 0x90
	v_add_nc_u32_e32 v5, 8, v1
	v_add_nc_u32_e32 v39, 16, v1
	;; [unrolled: 1-line block ×7, first 2 shown]
	s_waitcnt lgkmcnt(0)
	s_add_u32 s5, s0, s5
	s_addc_u32 s8, s1, s8
	s_not_b32 s0, s6
	v_lshlrev_b32_e32 v67, 5, v1
	s_add_i32 s0, s9, s0
	v_lshrrev_b32_e32 v23, 2, v0
	v_min_i32_e32 v2, s0, v1
	v_min_i32_e32 v3, s0, v5
	;; [unrolled: 1-line block ×3, first 2 shown]
	v_add_nc_u32_e32 v17, v67, v0
	v_lshl_add_u32 v46, v1, 3, v23
	v_mad_u64_u32 v[7:8], null, 0x84, v2, v[6:7]
	v_mul_lo_u32 v55, v2, s4
	v_min_i32_e32 v2, s0, v40
	v_mul_lo_u32 v57, v3, s4
	v_mul_lo_u32 v58, v4, s4
	v_and_b32_e32 v18, 0x7f, v17
	v_add_nc_u32_e32 v28, 16, v44
	v_mad_u64_u32 v[8:9], null, 0x84, v3, v[6:7]
	v_min_i32_e32 v3, s0, v41
	v_mad_u64_u32 v[9:10], null, 0x84, v4, v[6:7]
	v_mul_lo_u32 v59, v2, s4
	v_mad_u64_u32 v[10:11], null, 0x84, v2, v[6:7]
	v_min_i32_e32 v2, s0, v42
	v_mul_lo_u32 v60, v3, s4
	v_mad_u64_u32 v[11:12], null, 0x84, v3, v[6:7]
	v_min_i32_e32 v3, s0, v43
	v_add_nc_u32_e32 v4, 64, v1
	v_mad_u64_u32 v[12:13], null, 0x84, v2, v[6:7]
	v_mul_lo_u32 v62, v2, s4
	v_min_i32_e32 v2, s0, v45
	v_mul_lo_u32 v63, v3, s4
	v_mad_u64_u32 v[13:14], null, 0x84, v3, v[6:7]
	v_min_i32_e32 v3, s0, v4
	v_add_nc_u32_e32 v4, 0x48, v1
	v_mul_lo_u32 v64, v2, s4
	v_mad_u64_u32 v[14:15], null, 0x84, v2, v[6:7]
	v_mul_lo_u32 v69, v3, s4
	v_min_i32_e32 v2, s0, v4
	v_add_nc_u32_e32 v4, 0x50, v1
	v_mad_u64_u32 v[15:16], null, 0x84, v3, v[6:7]
	v_min_i32_e32 v24, s0, v18
	v_mul_lo_u32 v70, v2, s4
	v_min_i32_e32 v3, s0, v4
	v_add_nc_u32_e32 v4, 0x58, v1
	v_mad_u64_u32 v[16:17], null, 0x84, v2, v[6:7]
	v_ashrrev_i32_e32 v20, 31, v24
	v_mul_lo_u32 v71, v3, s4
	v_min_i32_e32 v2, s0, v4
	v_add_nc_u32_e32 v4, 0x60, v1
	v_mad_u64_u32 v[17:18], null, 0x84, v3, v[6:7]
	v_lshrrev_b32_e32 v21, 27, v20
	v_mul_lo_u32 v72, v2, s4
	v_min_i32_e32 v3, s0, v4
	v_add_nc_u32_e32 v4, 0x68, v1
	v_mad_u64_u32 v[18:19], null, 0x84, v2, v[6:7]
	v_add_nc_u32_e32 v22, v24, v21
	v_mul_lo_u32 v74, v3, s4
	v_min_i32_e32 v2, s0, v4
	v_add_nc_u32_e32 v4, 0x70, v1
	v_mad_u64_u32 v[19:20], null, 0x84, v3, v[6:7]
	v_ashrrev_i32_e32 v23, 5, v22
	v_mad_u64_u32 v[20:21], null, 0x84, v2, v[6:7]
	v_min_i32_e32 v3, s0, v4
	v_mul_lo_u32 v75, v2, s4
	v_and_b32_e32 v2, 3, v0
	v_add_nc_u32_e32 v4, 0x78, v1
	v_lshlrev_b32_e32 v25, 2, v23
	v_mul_lo_u32 v76, v3, s4
	v_mad_u64_u32 v[21:22], null, 0x84, v3, v[6:7]
	v_and_b32_e32 v3, 0x7f, v46
	v_lshlrev_b32_e32 v26, 2, v24
	v_add_nc_u32_e32 v27, 0xfe, v2
	v_min_i32_e32 v4, s0, v4
	v_add_nc_u32_e32 v29, 24, v44
	v_min_i32_e32 v47, s0, v3
	v_add3_u32 v80, v25, v26, 0x6e40
	v_and_b32_e32 v35, 0xff, v27
	v_add_nc_u32_e32 v25, 8, v44
	v_xor_b32_e32 v27, 64, v3
	v_ashrrev_i32_e32 v37, 31, v47
	v_add_nc_u32_e32 v31, 32, v44
	v_add_nc_u32_e32 v33, 40, v44
	;; [unrolled: 1-line block ×4, first 2 shown]
	v_cmp_gt_u32_e32 vcc_lo, 2, v2
	s_add_i32 s1, s10, -1
	v_mad_u64_u32 v[22:23], null, 0x84, v4, v[6:7]
	v_mul_lo_u32 v78, v4, s4
	v_mul_lo_u32 v79, v24, s4
	v_cvt_f64_i32_e32 v[3:4], s1
	v_cvt_f64_u32_e32 v[23:24], v44
	v_cvt_f64_u32_e32 v[25:26], v25
	v_min_i32_e32 v48, s0, v27
	v_cvt_f64_u32_e32 v[27:28], v28
	v_cvt_f64_u32_e32 v[29:30], v29
	;; [unrolled: 1-line block ×4, first 2 shown]
	v_cndmask_b32_e32 v49, v35, v2, vcc_lo
	v_cvt_f64_u32_e32 v[35:36], v36
	v_lshrrev_b32_e32 v50, 29, v37
	v_cvt_f64_u32_e32 v[37:38], v38
	v_cmp_ne_u32_e32 vcc_lo, 0, v2
	v_lshlrev_b32_e32 v88, 1, v49
	v_ashrrev_i32_e32 v52, 31, v48
	v_lshlrev_b32_e32 v61, 2, v2
	v_add_nc_u32_e32 v50, v47, v50
	v_add_co_ci_u32_e64 v53, null, 0, v49, vcc_lo
	v_lshrrev_b32_e32 v52, 29, v52
	v_lshrrev_b32_e32 v51, 5, v0
	v_ashrrev_i32_e32 v50, 3, v50
	v_and_b32_e32 v56, 4, v6
	v_min_f64 v[23:24], v[23:24], v[3:4]
	v_min_f64 v[25:26], v[25:26], v[3:4]
	v_add_nc_u32_e32 v52, v48, v52
	v_min_f64 v[27:28], v[27:28], v[3:4]
	v_min_f64 v[29:30], v[29:30], v[3:4]
	v_min_f64 v[31:32], v[31:32], v[3:4]
	v_min_f64 v[33:34], v[33:34], v[3:4]
	v_ashrrev_i32_e32 v52, 3, v52
	v_min_f64 v[35:36], v[35:36], v[3:4]
	v_cmp_lt_u32_e32 vcc_lo, 1, v2
	v_min_f64 v[3:4], v[37:38], v[3:4]
	v_lshlrev_b32_e32 v50, 2, v50
	v_lshlrev_b32_e32 v37, 2, v52
	v_mul_lo_u32 v90, v48, s4
	s_movk_i32 s0, 0x1080
	v_cndmask_b32_e32 v86, 0, v56, vcc_lo
	v_cndmask_b32_e64 v56, 0, 1, vcc_lo
	v_mul_lo_u32 v89, v47, s4
	v_add3_u32 v38, v50, v61, 0x6200
	v_lshlrev_b32_e32 v47, 4, v47
	v_add3_u32 v37, v37, v61, 0x6200
	v_lshrrev_b32_e32 v93, 3, v0
	v_cvt_i32_f64_e32 v49, v[23:24]
	v_cvt_i32_f64_e32 v25, v[25:26]
	v_and_b32_e32 v23, 63, v46
	v_cvt_i32_f64_e32 v26, v[27:28]
	v_cvt_i32_f64_e32 v28, v[29:30]
	;; [unrolled: 1-line block ×4, first 2 shown]
	v_and_b32_e32 v24, 31, v0
	v_cvt_i32_f64_e32 v33, v[35:36]
	v_or_b32_e32 v30, s7, v23
	v_cvt_i32_f64_e32 v3, v[3:4]
	v_lshlrev_b32_e32 v27, 4, v48
	v_lshl_or_b32 v34, v24, 2, 0x4200
	v_and_b32_e32 v32, 28, v6
	v_min_i32_e32 v24, s1, v30
	v_lshl_or_b32 v30, v23, 4, v61
	v_lshlrev_b32_e32 v4, 7, v5
	v_lshlrev_b32_e32 v36, 7, v45
	v_mad_u32_u24 v115, 0x84, v0, s0
	s_movk_i32 s0, 0x2100
	v_add_nc_u32_e32 v92, 0x6a40, v30
	v_lshlrev_b32_e32 v30, 7, v42
	v_mul_lo_u32 v94, s11, v49
	v_mul_lo_u32 v95, s11, v25
	v_add_nc_u32_e32 v25, 64, v0
	v_mul_lo_u32 v96, s11, v26
	v_lshlrev_b32_e32 v26, 7, v39
	v_mul_lo_u32 v97, s11, v28
	v_lshlrev_b32_e32 v28, 7, v40
	v_lshrrev_b32_e32 v35, 3, v25
	v_mul_lo_u32 v100, s11, v33
	v_lshlrev_b32_e32 v33, 2, v51
	v_mad_u64_u32 v[23:24], null, v24, s11, v[2:3]
	v_add_nc_u32_e32 v24, 32, v0
	v_mul_lo_u32 v101, s11, v3
	v_add_nc_u32_e32 v3, 0x60, v0
	v_lshlrev_b32_e32 v2, 7, v1
	v_mul_lo_u32 v98, s11, v29
	v_lshrrev_b32_e32 v102, 3, v24
	v_lshlrev_b32_e32 v49, 2, v24
	v_lshrrev_b32_e32 v46, 3, v3
	v_lshlrev_b32_e32 v29, 7, v41
	v_mul_lo_u32 v99, s11, v31
	v_and_b32_e32 v48, 60, v102
	v_lshlrev_b32_e32 v31, 7, v43
	v_and_b32_e32 v24, 60, v46
	v_add3_u32 v103, v6, v33, 0x6e40
	v_and_b32_e32 v33, 60, v35
	v_add3_u32 v104, v6, v48, 0x6e40
	v_lshlrev_b32_e32 v48, 2, v25
	v_lshlrev_b32_e32 v3, 2, v3
	v_add3_u32 v106, v6, v24, 0x6e40
	s_movk_i32 s1, 0x3180
	v_mad_u32_u24 v116, 0x84, v0, s0
	v_add_co_u32 v24, s0, s2, v32
	v_and_b32_e32 v54, 0x7c, v6
	v_add3_u32 v105, v6, v33, 0x6e40
	v_lshlrev_b32_e32 v107, 5, v5
	v_lshlrev_b32_e32 v108, 5, v39
	;; [unrolled: 1-line block ×7, first 2 shown]
	v_mul_u32_u24_e32 v114, 0x84, v0
	v_mad_u32_u24 v117, 0x84, v0, s1
	v_add_co_ci_u32_e64 v25, null, s3, 0, s0
	v_mad_u32_u24 v118, 0x84, v0, 64
	v_lshl_add_u32 v119, v1, 4, 0x6a40
	v_add_nc_u32_e32 v120, 0x4200, v2
	v_lshlrev_b32_e32 v121, 4, v0
	v_lshlrev_b32_e32 v122, 2, v46
	;; [unrolled: 1-line block ×7, first 2 shown]
	v_add_nc_u32_e32 v128, v38, v47
	v_add_nc_u32_e32 v129, v37, v27
	;; [unrolled: 1-line block ×10, first 2 shown]
	v_lshlrev_b32_e32 v138, 2, v49
	v_lshlrev_b32_e32 v139, 2, v48
	;; [unrolled: 1-line block ×3, first 2 shown]
	v_mov_b32_e32 v141, 0xffff
	v_mov_b32_e32 v91, 0
	;; [unrolled: 1-line block ×33, first 2 shown]
	s_mov_b32 s9, 0
.LBB132_5:                              ; =>This Loop Header: Depth=1
                                        ;     Child Loop BB132_6 Depth 2
                                        ;     Child Loop BB132_8 Depth 2
	s_mul_i32 s0, s9, 0x90
	s_mul_hi_u32 s1, s9, 0x90
	s_add_u32 s0, s5, s0
	s_addc_u32 s1, s8, s1
	s_mov_b32 s11, 0
	v_mad_u64_u32 v[2:3], null, 0x90, v51, s[0:1]
	v_mad_i64_i32 v[4:5], null, 0x90, v55, v[2:3]
	v_add_co_u32 v4, vcc_lo, v4, v54
	v_add_co_ci_u32_e64 v5, null, 0, v5, vcc_lo
	global_load_dword v4, v[4:5], off offset:16
	s_waitcnt vmcnt(0)
	ds_write_b32 v7, v4
	v_mad_i64_i32 v[4:5], null, 0x90, v57, v[2:3]
	v_add_co_u32 v4, vcc_lo, v4, v54
	v_add_co_ci_u32_e64 v5, null, 0, v5, vcc_lo
	global_load_dword v4, v[4:5], off offset:16
	s_waitcnt vmcnt(0)
	ds_write_b32 v8, v4
	;; [unrolled: 6-line block ×14, first 2 shown]
	v_mad_i64_i32 v[4:5], null, 0x90, v76, v[2:3]
	v_mad_i64_i32 v[2:3], null, 0x90, v78, v[2:3]
	v_add_co_u32 v4, vcc_lo, v4, v54
	v_add_co_ci_u32_e64 v5, null, 0, v5, vcc_lo
	v_add_co_u32 v2, vcc_lo, v2, v54
	v_add_co_ci_u32_e64 v3, null, 0, v3, vcc_lo
	s_clause 0x1
	global_load_dword v4, v[4:5], off offset:16
	global_load_dword v2, v[2:3], off offset:16
	s_waitcnt vmcnt(1)
	ds_write_b32 v21, v4
	s_waitcnt vmcnt(0)
	ds_write_b32 v22, v2
	v_mad_i64_i32 v[2:3], null, 0x90, v79, s[0:1]
	global_load_dword v2, v[2:3], off
	s_waitcnt vmcnt(0)
	ds_write_b32 v80, v2
	v_mad_i64_i32 v[2:3], null, 0x90, v89, s[0:1]
	v_add_co_u32 v4, vcc_lo, v2, v126
	v_add_co_ci_u32_e64 v5, null, 0, v3, vcc_lo
	v_add_co_u32 v2, vcc_lo, v2, v127
	v_add_co_ci_u32_e64 v3, null, 0, v3, vcc_lo
	s_clause 0x1
	global_load_dword v4, v[4:5], off offset:4
	global_load_dword v2, v[2:3], off offset:4
	s_waitcnt vmcnt(1)
	v_ashrrev_i32_e32 v4, v86, v4
	s_waitcnt vmcnt(0)
	v_ashrrev_i32_e32 v2, v88, v2
	v_and_b32_e32 v4, 0xf0f0f0f, v4
	v_and_or_b32 v2, 0x30303030, v2, v4
	ds_write_b32 v128, v2
	v_mad_i64_i32 v[2:3], null, 0x90, v90, s[0:1]
	s_lshl_b32 s0, s9, 3
	s_mov_b32 s1, -1
	v_add_co_u32 v4, vcc_lo, v2, v126
	v_add_co_ci_u32_e64 v5, null, 0, v3, vcc_lo
	v_add_co_u32 v2, vcc_lo, v2, v127
	v_add_co_ci_u32_e64 v3, null, 0, v3, vcc_lo
	s_clause 0x1
	global_load_dword v4, v[4:5], off offset:4
	global_load_dword v2, v[2:3], off offset:4
	v_add_nc_u32_e32 v5, s0, v93
	v_add_nc_u32_e32 v3, v5, v94
	s_waitcnt vmcnt(1)
	v_ashrrev_i32_e32 v4, v86, v4
	s_waitcnt vmcnt(0)
	v_ashrrev_i32_e32 v2, v88, v2
	v_and_b32_e32 v4, 0xf0f0f0f, v4
	v_and_or_b32 v2, 0x30303030, v2, v4
	v_mad_i64_i32 v[3:4], null, v3, 36, v[24:25]
	ds_write_b32 v129, v2
	v_add_nc_u32_e32 v2, s0, v23
	global_load_dword v3, v[3:4], off offset:4
	s_waitcnt vmcnt(0)
	ds_write_b32 v130, v3
	v_add_nc_u32_e32 v3, v5, v95
	v_mad_i64_i32 v[3:4], null, v3, 36, v[24:25]
	global_load_dword v3, v[3:4], off offset:4
	s_waitcnt vmcnt(0)
	ds_write_b32 v131, v3
	v_add_nc_u32_e32 v3, v5, v96
	v_mad_i64_i32 v[3:4], null, v3, 36, v[24:25]
	;; [unrolled: 5-line block ×7, first 2 shown]
	global_load_dword v3, v[3:4], off offset:4
	s_waitcnt vmcnt(0)
	ds_write_b32 v137, v3
	v_mad_u64_u32 v[3:4], null, v2, 36, s[2:3]
	global_load_dword v3, v[3:4], off
	s_waitcnt vmcnt(0)
	ds_write_b32 v92, v3
	s_waitcnt lgkmcnt(0)
	s_barrier
	buffer_gl0_inv
	ds_read_b32 v4, v103
	ds_read_b32 v26, v104 offset:128
	ds_read_b32 v28, v105 offset:256
	;; [unrolled: 1-line block ×3, first 2 shown]
	s_waitcnt lgkmcnt(3)
	v_cvt_f32_f16_e32 v3, v4
	v_cvt_f32_f16_sdwa v4, v4 dst_sel:DWORD dst_unused:UNUSED_PAD src0_sel:WORD_1
	s_waitcnt lgkmcnt(2)
	v_cvt_f32_f16_sdwa v5, v26 dst_sel:DWORD dst_unused:UNUSED_PAD src0_sel:WORD_1
	v_cvt_f32_f16_e32 v26, v26
	s_waitcnt lgkmcnt(1)
	v_cvt_f32_f16_sdwa v27, v28 dst_sel:DWORD dst_unused:UNUSED_PAD src0_sel:WORD_1
	v_cvt_f32_f16_e32 v28, v28
	;; [unrolled: 3-line block ×3, first 2 shown]
.LBB132_6:                              ;   Parent Loop BB132_5 Depth=1
                                        ; =>  This Inner Loop Header: Depth=2
	s_lshl_b32 s15, s11, 1
	s_lshl_b32 s16, s11, 2
	v_or_b32_e32 v198, s15, v67
	v_add_nc_u32_e32 v231, s16, v114
	v_add_nc_u32_e32 v233, s16, v115
	v_add_nc_u32_e32 v235, s16, v116
	v_add_nc_u32_e32 v237, s16, v117
	v_lshlrev_b32_e32 v211, 2, v198
	ds_read2_b32 v[151:152], v231 offset1:1
	ds_read2_b32 v[172:173], v233 offset1:1
	ds_read2_b32 v[174:175], v235 offset1:1
	ds_read2_b32 v[190:191], v233 offset0:2 offset1:3
	ds_read2_b32 v[188:189], v231 offset0:2 offset1:3
	ds_read2_b32 v[186:187], v237 offset1:1
	ds_read2_b32 v[199:200], v237 offset0:2 offset1:3
	ds_read2_b32 v[192:193], v235 offset0:2 offset1:3
	ds_read_b128 v[142:145], v211 offset:16896
	v_mov_b32_e32 v197, 0
	v_mov_b32_e32 v196, 0
	;; [unrolled: 1-line block ×4, first 2 shown]
	v_or_b32_e32 v185, s15, v107
	v_mov_b32_e32 v184, 0
	v_mov_b32_e32 v183, 0
	v_mov_b32_e32 v182, 0
	v_mov_b32_e32 v180, 0
	v_lshlrev_b32_e32 v212, 2, v185
	v_or_b32_e32 v181, s15, v108
	s_waitcnt lgkmcnt(8)
	v_and_b32_e32 v32, 0xf0f0f0f, v151
	s_waitcnt lgkmcnt(7)
	v_and_b32_e32 v33, 0xf0f0f0f, v172
	s_waitcnt lgkmcnt(6)
	v_and_b32_e32 v153, 0xf0f0f0f, v174
	v_and_b32_e32 v201, 0xf0f0f0f, v152
	v_and_b32_e32 v202, 0xf0f0f0f, v173
	s_waitcnt lgkmcnt(3)
	v_and_b32_e32 v156, 0xf0f0f0f, v186
	v_and_b32_e32 v203, 0xf0f0f0f, v175
	;; [unrolled: 1-line block ×3, first 2 shown]
	s_waitcnt lgkmcnt(0)
	v_dot4c_i32_i8 v197, v32, v142
	v_dot4c_i32_i8 v196, v33, v142
	;; [unrolled: 1-line block ×4, first 2 shown]
	v_and_b32_e32 v205, 0xf0f0f0f, v188
	v_dot4c_i32_i8 v197, v201, v143
	v_dot4c_i32_i8 v196, v202, v143
	;; [unrolled: 1-line block ×4, first 2 shown]
	v_and_b32_e32 v206, 0xf0f0f0f, v190
	v_and_b32_e32 v207, 0xf0f0f0f, v192
	;; [unrolled: 1-line block ×3, first 2 shown]
	v_dot4c_i32_i8 v197, v205, v144
	v_and_b32_e32 v209, 0xf0f0f0f, v189
	v_dot4c_i32_i8 v196, v206, v144
	v_dot4c_i32_i8 v195, v207, v144
	;; [unrolled: 1-line block ×3, first 2 shown]
	v_and_b32_e32 v210, 0xf0f0f0f, v191
	v_and_b32_e32 v219, 0xf0f0f0f, v193
	;; [unrolled: 1-line block ×3, first 2 shown]
	v_dot4c_i32_i8 v197, v209, v145
	v_lshlrev_b32_e32 v213, 2, v181
	v_dot4c_i32_i8 v196, v210, v145
	v_dot4c_i32_i8 v195, v219, v145
	v_dot4c_i32_i8 v194, v220, v145
	ds_read_b128 v[142:145], v212 offset:16896
	v_mov_b32_e32 v179, 0
	v_mov_b32_e32 v178, 0
	;; [unrolled: 1-line block ×4, first 2 shown]
	v_or_b32_e32 v171, s15, v109
	v_mov_b32_e32 v170, 0
	v_mov_b32_e32 v169, 0
	;; [unrolled: 1-line block ×4, first 2 shown]
	v_lshlrev_b32_e32 v214, 2, v171
	v_or_b32_e32 v167, s15, v110
	v_mov_b32_e32 v165, 0
	v_mov_b32_e32 v164, 0
	;; [unrolled: 1-line block ×4, first 2 shown]
	v_lshlrev_b32_e32 v215, 2, v167
	v_or_b32_e32 v161, s15, v111
	v_mov_b32_e32 v160, 0
	v_mov_b32_e32 v159, 0
	s_waitcnt lgkmcnt(0)
	v_dot4c_i32_i8 v184, v32, v142
	v_dot4c_i32_i8 v183, v33, v142
	v_dot4c_i32_i8 v182, v153, v142
	v_dot4c_i32_i8 v180, v156, v142
	v_lshlrev_b32_e32 v216, 2, v161
	v_dot4c_i32_i8 v184, v201, v143
	v_dot4c_i32_i8 v183, v202, v143
	;; [unrolled: 1-line block ×4, first 2 shown]
	v_mov_b32_e32 v158, 0
	v_dot4c_i32_i8 v184, v205, v144
	v_dot4c_i32_i8 v183, v206, v144
	;; [unrolled: 1-line block ×4, first 2 shown]
	v_mov_b32_e32 v157, 0
	v_dot4c_i32_i8 v184, v209, v145
	v_dot4c_i32_i8 v183, v210, v145
	;; [unrolled: 1-line block ×4, first 2 shown]
	ds_read_b128 v[142:145], v213 offset:16896
	v_or_b32_e32 v155, s15, v112
	v_mov_b32_e32 v154, 0
	v_mov_b32_e32 v150, 0
	;; [unrolled: 1-line block ×4, first 2 shown]
	v_lshlrev_b32_e32 v217, 2, v155
	v_or_b32_e32 v148, s15, v113
	v_mov_b32_e32 v31, 0
	v_lshrrev_b32_e32 v186, 4, v186
	v_lshrrev_b32_e32 v187, 4, v187
	s_lshr_b32 s11, s11, 2
	v_lshlrev_b32_e32 v218, 2, v148
	s_addk_i32 s11, 0x6200
	v_and_b32_e32 v239, 0xf0f0f0f, v186
	v_and_b32_e32 v240, 0xf0f0f0f, v187
	v_mov_b32_e32 v187, 0
	v_mov_b32_e32 v186, 0
	v_lshrrev_b32_e32 v185, 1, v185
	v_lshrrev_b32_e32 v181, 1, v181
	s_waitcnt lgkmcnt(0)
	v_dot4c_i32_i8 v179, v32, v142
	v_dot4c_i32_i8 v178, v33, v142
	v_dot4c_i32_i8 v177, v153, v142
	v_dot4c_i32_i8 v176, v156, v142
	v_lshrrev_b32_e32 v171, 1, v171
	v_dot4c_i32_i8 v179, v201, v143
	v_dot4c_i32_i8 v178, v202, v143
	v_dot4c_i32_i8 v177, v203, v143
	v_dot4c_i32_i8 v176, v204, v143
	v_lshrrev_b32_e32 v167, 1, v167
	;; [unrolled: 5-line block ×3, first 2 shown]
	v_dot4c_i32_i8 v179, v209, v145
	v_dot4c_i32_i8 v178, v210, v145
	;; [unrolled: 1-line block ×4, first 2 shown]
	ds_read_b128 v[142:145], v214 offset:16896
	v_lshrrev_b32_e32 v155, 1, v155
	s_and_b32 vcc_lo, exec_lo, s1
	s_mov_b32 s1, 0
	s_waitcnt lgkmcnt(0)
	v_dot4c_i32_i8 v170, v32, v142
	v_dot4c_i32_i8 v169, v33, v142
	v_dot4c_i32_i8 v168, v153, v142
	v_dot4c_i32_i8 v166, v156, v142
	v_dot4c_i32_i8 v170, v201, v143
	v_dot4c_i32_i8 v169, v202, v143
	v_dot4c_i32_i8 v168, v203, v143
	v_dot4c_i32_i8 v166, v204, v143
	v_dot4c_i32_i8 v170, v205, v144
	v_dot4c_i32_i8 v169, v206, v144
	v_dot4c_i32_i8 v168, v207, v144
	v_dot4c_i32_i8 v166, v208, v144
	v_dot4c_i32_i8 v170, v209, v145
	v_dot4c_i32_i8 v169, v210, v145
	v_dot4c_i32_i8 v168, v219, v145
	v_dot4c_i32_i8 v166, v220, v145
	ds_read_b128 v[142:145], v215 offset:16896
	s_waitcnt lgkmcnt(0)
	v_dot4c_i32_i8 v165, v32, v142
	v_dot4c_i32_i8 v164, v33, v142
	v_dot4c_i32_i8 v163, v153, v142
	v_dot4c_i32_i8 v162, v156, v142
	v_dot4c_i32_i8 v165, v201, v143
	v_dot4c_i32_i8 v164, v202, v143
	v_dot4c_i32_i8 v163, v203, v143
	v_dot4c_i32_i8 v162, v204, v143
	v_dot4c_i32_i8 v165, v205, v144
	v_dot4c_i32_i8 v164, v206, v144
	v_dot4c_i32_i8 v163, v207, v144
	v_dot4c_i32_i8 v162, v208, v144
	v_dot4c_i32_i8 v165, v209, v145
	v_dot4c_i32_i8 v164, v210, v145
	v_dot4c_i32_i8 v163, v219, v145
	v_dot4c_i32_i8 v162, v220, v145
	ds_read_b128 v[142:145], v216 offset:16896
	;; [unrolled: 18-line block ×3, first 2 shown]
	s_waitcnt lgkmcnt(0)
	v_dot4c_i32_i8 v154, v32, v142
	v_dot4c_i32_i8 v150, v33, v142
	;; [unrolled: 1-line block ×4, first 2 shown]
	v_mov_b32_e32 v142, 0
	v_dot4c_i32_i8 v154, v201, v143
	v_dot4c_i32_i8 v150, v202, v143
	;; [unrolled: 1-line block ×12, first 2 shown]
	ds_read_b128 v[143:146], v218 offset:16896
	s_waitcnt lgkmcnt(0)
	v_dot4c_i32_i8 v31, v32, v143
	v_mov_b32_e32 v32, 0
	v_dot4c_i32_i8 v142, v156, v143
	v_lshrrev_b32_e32 v156, 4, v191
	v_mov_b32_e32 v191, 0
	v_dot4c_i32_i8 v31, v201, v144
	v_dot4c_i32_i8 v32, v33, v143
	v_mov_b32_e32 v33, 0
	v_dot4c_i32_i8 v142, v204, v144
	v_and_b32_e32 v230, 0xf0f0f0f, v156
	v_dot4c_i32_i8 v31, v205, v145
	v_dot4c_i32_i8 v32, v202, v144
	;; [unrolled: 1-line block ×4, first 2 shown]
	v_lshrrev_b32_e32 v143, 4, v151
	v_dot4c_i32_i8 v31, v209, v146
	v_dot4c_i32_i8 v32, v206, v145
	;; [unrolled: 1-line block ×4, first 2 shown]
	v_lshrrev_b32_e32 v144, 4, v152
	v_and_b32_e32 v223, 0xf0f0f0f, v143
	v_dot4c_i32_i8 v32, v210, v146
	v_dot4c_i32_i8 v33, v207, v145
	v_lshrrev_b32_e32 v145, 4, v188
	v_and_b32_e32 v224, 0xf0f0f0f, v144
	v_lshrrev_b32_e32 v151, 4, v172
	v_lshrrev_b32_e32 v172, 4, v174
	v_dot4c_i32_i8 v33, v219, v146
	v_lshrrev_b32_e32 v146, 4, v189
	v_and_b32_e32 v225, 0xf0f0f0f, v145
	v_lshrrev_b32_e32 v152, 4, v173
	v_lshrrev_b32_e32 v173, 4, v175
	v_and_b32_e32 v227, 0xf0f0f0f, v151
	v_and_b32_e32 v226, 0xf0f0f0f, v146
	ds_read_b128 v[143:146], v211 offset:16928
	ds_read_b128 v[219:222], v218 offset:16928
	v_and_b32_e32 v232, 0xf0f0f0f, v172
	v_mov_b32_e32 v210, 0
	v_mov_b32_e32 v209, 0
	v_mov_b32_e32 v208, 0
	v_mov_b32_e32 v207, 0
	v_lshrrev_b32_e32 v153, 4, v190
	v_lshrrev_b32_e32 v174, 4, v192
	;; [unrolled: 1-line block ×3, first 2 shown]
	v_and_b32_e32 v228, 0xf0f0f0f, v152
	v_and_b32_e32 v234, 0xf0f0f0f, v173
	v_lshrrev_b32_e32 v175, 4, v193
	v_lshrrev_b32_e32 v189, 4, v200
	v_and_b32_e32 v229, 0xf0f0f0f, v153
	v_and_b32_e32 v236, 0xf0f0f0f, v174
	v_and_b32_e32 v241, 0xf0f0f0f, v188
	v_and_b32_e32 v238, 0xf0f0f0f, v175
	v_and_b32_e32 v242, 0xf0f0f0f, v189
	v_mov_b32_e32 v206, 0
	s_waitcnt lgkmcnt(1)
	v_dot4c_i32_i8 v210, v223, v143
	v_dot4c_i32_i8 v209, v227, v143
	v_dot4c_i32_i8 v208, v232, v143
	v_dot4c_i32_i8 v207, v239, v143
	v_mov_b32_e32 v205, 0
	v_dot4c_i32_i8 v210, v224, v144
	v_dot4c_i32_i8 v209, v228, v144
	v_dot4c_i32_i8 v208, v234, v144
	v_dot4c_i32_i8 v207, v240, v144
	v_mov_b32_e32 v204, 0
	;; [unrolled: 5-line block ×3, first 2 shown]
	v_dot4c_i32_i8 v210, v226, v146
	v_dot4c_i32_i8 v209, v230, v146
	;; [unrolled: 1-line block ×4, first 2 shown]
	ds_read_b128 v[143:146], v212 offset:16928
	v_mov_b32_e32 v202, 0
	v_mov_b32_e32 v201, 0
	;; [unrolled: 1-line block ×17, first 2 shown]
	s_waitcnt lgkmcnt(0)
	v_dot4c_i32_i8 v206, v223, v143
	v_dot4c_i32_i8 v205, v227, v143
	v_dot4c_i32_i8 v204, v232, v143
	v_dot4c_i32_i8 v203, v239, v143
	v_dot4c_i32_i8 v206, v224, v144
	v_dot4c_i32_i8 v205, v228, v144
	v_dot4c_i32_i8 v204, v234, v144
	v_dot4c_i32_i8 v203, v240, v144
	v_dot4c_i32_i8 v206, v225, v145
	v_dot4c_i32_i8 v205, v229, v145
	v_dot4c_i32_i8 v204, v236, v145
	v_dot4c_i32_i8 v203, v241, v145
	v_dot4c_i32_i8 v206, v226, v146
	v_dot4c_i32_i8 v205, v230, v146
	v_dot4c_i32_i8 v204, v238, v146
	v_dot4c_i32_i8 v203, v242, v146
	ds_read_b128 v[143:146], v213 offset:16928
	s_waitcnt lgkmcnt(0)
	v_dot4c_i32_i8 v202, v223, v143
	v_dot4c_i32_i8 v201, v227, v143
	v_dot4c_i32_i8 v200, v232, v143
	v_dot4c_i32_i8 v199, v239, v143
	v_dot4c_i32_i8 v202, v224, v144
	v_dot4c_i32_i8 v201, v228, v144
	v_dot4c_i32_i8 v200, v234, v144
	v_dot4c_i32_i8 v199, v240, v144
	v_dot4c_i32_i8 v202, v225, v145
	v_dot4c_i32_i8 v201, v229, v145
	v_dot4c_i32_i8 v200, v236, v145
	v_dot4c_i32_i8 v199, v241, v145
	v_dot4c_i32_i8 v202, v226, v146
	v_dot4c_i32_i8 v201, v230, v146
	v_dot4c_i32_i8 v200, v238, v146
	v_dot4c_i32_i8 v199, v242, v146
	ds_read_b128 v[143:146], v214 offset:16928
	s_waitcnt lgkmcnt(0)
	v_dot4c_i32_i8 v193, v223, v143
	v_dot4c_i32_i8 v192, v227, v143
	v_dot4c_i32_i8 v191, v232, v143
	v_dot4c_i32_i8 v190, v239, v143
	v_dot4c_i32_i8 v193, v224, v144
	v_dot4c_i32_i8 v192, v228, v144
	v_dot4c_i32_i8 v191, v234, v144
	v_dot4c_i32_i8 v190, v240, v144
	v_dot4c_i32_i8 v193, v225, v145
	v_dot4c_i32_i8 v192, v229, v145
	v_dot4c_i32_i8 v191, v236, v145
	v_dot4c_i32_i8 v190, v241, v145
	v_dot4c_i32_i8 v193, v226, v146
	v_dot4c_i32_i8 v192, v230, v146
	v_dot4c_i32_i8 v191, v238, v146
	v_dot4c_i32_i8 v190, v242, v146
	ds_read_b128 v[143:146], v215 offset:16928
	s_waitcnt lgkmcnt(0)
	v_dot4c_i32_i8 v189, v223, v143
	v_dot4c_i32_i8 v188, v227, v143
	v_dot4c_i32_i8 v187, v232, v143
	v_dot4c_i32_i8 v186, v239, v143
	v_dot4c_i32_i8 v189, v224, v144
	v_dot4c_i32_i8 v188, v228, v144
	v_dot4c_i32_i8 v187, v234, v144
	v_dot4c_i32_i8 v186, v240, v144
	v_dot4c_i32_i8 v189, v225, v145
	v_dot4c_i32_i8 v188, v229, v145
	v_dot4c_i32_i8 v187, v236, v145
	v_dot4c_i32_i8 v186, v241, v145
	v_dot4c_i32_i8 v189, v226, v146
	v_dot4c_i32_i8 v188, v230, v146
	v_dot4c_i32_i8 v187, v238, v146
	v_dot4c_i32_i8 v186, v242, v146
	ds_read_b128 v[143:146], v216 offset:16928
	s_waitcnt lgkmcnt(0)
	v_dot4c_i32_i8 v175, v223, v143
	v_dot4c_i32_i8 v174, v227, v143
	v_dot4c_i32_i8 v173, v232, v143
	v_dot4c_i32_i8 v172, v239, v143
	v_dot4c_i32_i8 v175, v224, v144
	v_dot4c_i32_i8 v174, v228, v144
	v_dot4c_i32_i8 v173, v234, v144
	v_dot4c_i32_i8 v172, v240, v144
	v_dot4c_i32_i8 v175, v225, v145
	v_dot4c_i32_i8 v174, v229, v145
	v_dot4c_i32_i8 v173, v236, v145
	v_dot4c_i32_i8 v172, v241, v145
	v_dot4c_i32_i8 v175, v226, v146
	v_dot4c_i32_i8 v174, v230, v146
	v_dot4c_i32_i8 v173, v238, v146
	v_dot4c_i32_i8 v172, v242, v146
	ds_read_b128 v[143:146], v217 offset:16928
	s_waitcnt lgkmcnt(0)
	v_dot4c_i32_i8 v156, v223, v143
	v_dot4c_i32_i8 v153, v227, v143
	;; [unrolled: 1-line block ×4, first 2 shown]
	v_mov_b32_e32 v143, 0
	v_dot4c_i32_i8 v156, v224, v144
	v_dot4c_i32_i8 v153, v228, v144
	;; [unrolled: 1-line block ×4, first 2 shown]
	v_mov_b32_e32 v144, 0
	v_dot4c_i32_i8 v156, v225, v145
	v_dot4c_i32_i8 v153, v229, v145
	;; [unrolled: 1-line block ×10, first 2 shown]
	v_mov_b32_e32 v145, 0
	v_mov_b32_e32 v146, 0
	v_dot4c_i32_i8 v143, v224, v220
	ds_read2_b32 v[223:224], v231 offset0:4 offset1:5
	v_dot4c_i32_i8 v144, v228, v220
	v_dot4c_i32_i8 v145, v232, v219
	v_dot4c_i32_i8 v146, v239, v219
	v_dot4c_i32_i8 v143, v225, v221
	ds_read2_b32 v[227:228], v235 offset0:4 offset1:5
	v_dot4c_i32_i8 v144, v229, v221
	v_dot4c_i32_i8 v145, v234, v220
	v_dot4c_i32_i8 v146, v240, v220
	;; [unrolled: 5-line block ×3, first 2 shown]
	ds_read2_b32 v[229:230], v237 offset0:4 offset1:5
	ds_read2_b32 v[235:236], v235 offset0:6 offset1:7
	v_dot4c_i32_i8 v145, v238, v222
	v_dot4c_i32_i8 v146, v242, v222
	ds_read_b128 v[219:222], v211 offset:16912
	ds_read2_b32 v[231:232], v231 offset0:6 offset1:7
	ds_read2_b32 v[233:234], v233 offset0:6 offset1:7
	;; [unrolled: 1-line block ×3, first 2 shown]
	s_waitcnt lgkmcnt(8)
	v_and_b32_e32 v239, 0xf0f0f0f, v223
	v_and_b32_e32 v243, 0xf0f0f0f, v224
	s_waitcnt lgkmcnt(7)
	v_and_b32_e32 v241, 0xf0f0f0f, v227
	v_and_b32_e32 v245, 0xf0f0f0f, v228
	v_lshrrev_b32_e32 v227, 4, v227
	v_lshrrev_b32_e32 v228, 4, v228
	s_waitcnt lgkmcnt(6)
	v_and_b32_e32 v240, 0xf0f0f0f, v225
	v_and_b32_e32 v244, 0xf0f0f0f, v226
	;; [unrolled: 1-line block ×4, first 2 shown]
	s_waitcnt lgkmcnt(5)
	v_and_b32_e32 v242, 0xf0f0f0f, v229
	v_and_b32_e32 v246, 0xf0f0f0f, v230
	s_waitcnt lgkmcnt(4)
	v_and_b32_e32 v249, 0xf0f0f0f, v235
	v_and_b32_e32 v253, 0xf0f0f0f, v236
	v_lshrrev_b32_e32 v229, 4, v229
	s_waitcnt lgkmcnt(3)
	v_dot4c_i32_i8 v197, v239, v219
	v_dot4c_i32_i8 v196, v240, v219
	;; [unrolled: 1-line block ×4, first 2 shown]
	s_waitcnt lgkmcnt(2)
	v_and_b32_e32 v247, 0xf0f0f0f, v231
	v_dot4c_i32_i8 v197, v243, v220
	v_dot4c_i32_i8 v196, v244, v220
	;; [unrolled: 1-line block ×4, first 2 shown]
	s_waitcnt lgkmcnt(1)
	v_and_b32_e32 v248, 0xf0f0f0f, v233
	s_waitcnt lgkmcnt(0)
	v_and_b32_e32 v250, 0xf0f0f0f, v237
	v_dot4c_i32_i8 v197, v247, v221
	v_dot4c_i32_i8 v195, v249, v221
	v_and_b32_e32 v251, 0xf0f0f0f, v232
	v_dot4c_i32_i8 v196, v248, v221
	v_dot4c_i32_i8 v194, v250, v221
	v_and_b32_e32 v252, 0xf0f0f0f, v234
	v_and_b32_e32 v254, 0xf0f0f0f, v238
	v_dot4c_i32_i8 v197, v251, v222
	v_dot4c_i32_i8 v195, v253, v222
	v_lshrrev_b32_e32 v230, 4, v230
	v_dot4c_i32_i8 v196, v252, v222
	v_dot4c_i32_i8 v194, v254, v222
	ds_read_b128 v[219:222], v212 offset:16912
	v_and_b32_e32 v229, 0xf0f0f0f, v229
	v_and_b32_e32 v230, 0xf0f0f0f, v230
	s_waitcnt lgkmcnt(0)
	v_dot4c_i32_i8 v184, v239, v219
	v_dot4c_i32_i8 v183, v240, v219
	v_dot4c_i32_i8 v182, v241, v219
	v_dot4c_i32_i8 v180, v242, v219
	v_dot4c_i32_i8 v184, v243, v220
	v_dot4c_i32_i8 v183, v244, v220
	v_dot4c_i32_i8 v182, v245, v220
	v_dot4c_i32_i8 v180, v246, v220
	v_dot4c_i32_i8 v184, v247, v221
	v_dot4c_i32_i8 v183, v248, v221
	v_dot4c_i32_i8 v182, v249, v221
	v_dot4c_i32_i8 v180, v250, v221
	v_dot4c_i32_i8 v184, v251, v222
	v_dot4c_i32_i8 v183, v252, v222
	v_dot4c_i32_i8 v182, v253, v222
	v_dot4c_i32_i8 v180, v254, v222
	ds_read_b128 v[219:222], v213 offset:16912
	s_waitcnt lgkmcnt(0)
	v_dot4c_i32_i8 v179, v239, v219
	v_dot4c_i32_i8 v178, v240, v219
	v_dot4c_i32_i8 v177, v241, v219
	v_dot4c_i32_i8 v176, v242, v219
	v_dot4c_i32_i8 v179, v243, v220
	v_dot4c_i32_i8 v178, v244, v220
	v_dot4c_i32_i8 v177, v245, v220
	v_dot4c_i32_i8 v176, v246, v220
	v_dot4c_i32_i8 v179, v247, v221
	v_dot4c_i32_i8 v178, v248, v221
	v_dot4c_i32_i8 v177, v249, v221
	v_dot4c_i32_i8 v176, v250, v221
	v_dot4c_i32_i8 v179, v251, v222
	v_dot4c_i32_i8 v178, v252, v222
	v_dot4c_i32_i8 v177, v253, v222
	v_dot4c_i32_i8 v176, v254, v222
	ds_read_b128 v[219:222], v214 offset:16912
	;; [unrolled: 18-line block ×6, first 2 shown]
	s_waitcnt lgkmcnt(0)
	v_dot4c_i32_i8 v31, v239, v219
	v_dot4c_i32_i8 v32, v240, v219
	v_dot4c_i32_i8 v33, v241, v219
	v_dot4c_i32_i8 v142, v242, v219
	v_lshrrev_b32_e32 v219, 4, v223
	v_dot4c_i32_i8 v31, v243, v220
	v_dot4c_i32_i8 v32, v244, v220
	v_dot4c_i32_i8 v33, v245, v220
	v_dot4c_i32_i8 v142, v246, v220
	v_lshrrev_b32_e32 v220, 4, v224
	;; [unrolled: 5-line block ×4, first 2 shown]
	v_lshrrev_b32_e32 v223, 4, v225
	v_lshrrev_b32_e32 v224, 4, v226
	;; [unrolled: 1-line block ×8, first 2 shown]
	v_and_b32_e32 v235, 0xf0f0f0f, v219
	v_and_b32_e32 v236, 0xf0f0f0f, v220
	v_and_b32_e32 v237, 0xf0f0f0f, v221
	v_and_b32_e32 v238, 0xf0f0f0f, v222
	ds_read_b128 v[219:222], v211 offset:16944
	v_and_b32_e32 v223, 0xf0f0f0f, v223
	v_and_b32_e32 v224, 0xf0f0f0f, v224
	;; [unrolled: 1-line block ×8, first 2 shown]
	s_waitcnt lgkmcnt(0)
	v_dot4c_i32_i8 v210, v235, v219
	v_dot4c_i32_i8 v209, v223, v219
	;; [unrolled: 1-line block ×16, first 2 shown]
	ds_read_b128 v[219:222], v212 offset:16944
	s_waitcnt lgkmcnt(0)
	v_dot4c_i32_i8 v206, v235, v219
	v_dot4c_i32_i8 v205, v223, v219
	;; [unrolled: 1-line block ×16, first 2 shown]
	ds_read_b128 v[219:222], v213 offset:16944
	ds_read_b128 v[211:214], v214 offset:16944
	s_waitcnt lgkmcnt(1)
	v_dot4c_i32_i8 v201, v223, v219
	s_waitcnt lgkmcnt(0)
	v_dot4c_i32_i8 v193, v235, v211
	v_dot4c_i32_i8 v192, v223, v211
	;; [unrolled: 1-line block ×19, first 2 shown]
	ds_read_b128 v[211:214], v215 offset:16944
	v_dot4c_i32_i8 v201, v226, v222
	v_dot4c_i32_i8 v202, v235, v219
	;; [unrolled: 1-line block ×12, first 2 shown]
	s_waitcnt lgkmcnt(0)
	v_dot4c_i32_i8 v189, v235, v211
	v_dot4c_i32_i8 v188, v223, v211
	v_dot4c_i32_i8 v187, v227, v211
	v_dot4c_i32_i8 v186, v229, v211
	v_dot4c_i32_i8 v189, v236, v212
	v_dot4c_i32_i8 v188, v224, v212
	v_dot4c_i32_i8 v187, v228, v212
	v_dot4c_i32_i8 v186, v230, v212
	v_dot4c_i32_i8 v189, v237, v213
	v_dot4c_i32_i8 v188, v225, v213
	v_dot4c_i32_i8 v187, v231, v213
	v_dot4c_i32_i8 v186, v233, v213
	v_dot4c_i32_i8 v189, v238, v214
	v_dot4c_i32_i8 v188, v226, v214
	v_dot4c_i32_i8 v187, v232, v214
	v_dot4c_i32_i8 v186, v234, v214
	ds_read_b128 v[211:214], v216 offset:16944
	v_add3_u32 v216, s11, v124, v138
	s_waitcnt lgkmcnt(0)
	v_dot4c_i32_i8 v175, v235, v211
	v_dot4c_i32_i8 v174, v223, v211
	v_dot4c_i32_i8 v173, v227, v211
	v_dot4c_i32_i8 v172, v229, v211
	v_dot4c_i32_i8 v175, v236, v212
	v_dot4c_i32_i8 v174, v224, v212
	v_dot4c_i32_i8 v173, v228, v212
	v_dot4c_i32_i8 v172, v230, v212
	v_dot4c_i32_i8 v175, v237, v213
	v_dot4c_i32_i8 v174, v225, v213
	v_dot4c_i32_i8 v173, v231, v213
	v_dot4c_i32_i8 v172, v233, v213
	v_dot4c_i32_i8 v175, v238, v214
	v_dot4c_i32_i8 v174, v226, v214
	v_dot4c_i32_i8 v173, v232, v214
	v_dot4c_i32_i8 v172, v234, v214
	ds_read_b128 v[211:214], v217 offset:16944
	v_add3_u32 v217, s11, v123, v139
	s_waitcnt lgkmcnt(0)
	v_dot4c_i32_i8 v156, v235, v211
	v_dot4c_i32_i8 v153, v223, v211
	v_dot4c_i32_i8 v152, v227, v211
	v_dot4c_i32_i8 v151, v229, v211
	v_dot4c_i32_i8 v156, v236, v212
	v_dot4c_i32_i8 v153, v224, v212
	v_dot4c_i32_i8 v152, v228, v212
	v_dot4c_i32_i8 v151, v230, v212
	v_dot4c_i32_i8 v156, v237, v213
	v_dot4c_i32_i8 v153, v225, v213
	v_dot4c_i32_i8 v152, v231, v213
	v_dot4c_i32_i8 v151, v233, v213
	v_dot4c_i32_i8 v156, v238, v214
	v_dot4c_i32_i8 v153, v226, v214
	v_dot4c_i32_i8 v152, v232, v214
	v_dot4c_i32_i8 v151, v234, v214
	ds_read_b128 v[211:214], v218 offset:16944
	v_add3_u32 v218, s11, v122, v140
	s_waitcnt lgkmcnt(0)
	v_dot4c_i32_i8 v143, v235, v211
	v_dot4c_i32_i8 v144, v223, v211
	;; [unrolled: 1-line block ×4, first 2 shown]
	v_lshlrev_b32_e32 v211, 2, v6
	v_dot4c_i32_i8 v143, v236, v212
	v_dot4c_i32_i8 v144, v224, v212
	;; [unrolled: 1-line block ×4, first 2 shown]
	v_add3_u32 v215, s11, v125, v211
	v_lshrrev_b32_e32 v212, 1, v198
	v_dot4c_i32_i8 v144, v225, v213
	v_dot4c_i32_i8 v143, v237, v213
	;; [unrolled: 1-line block ×3, first 2 shown]
	ds_read_u16 v198, v215
	v_dot4c_i32_i8 v146, v233, v213
	v_dot4c_i32_i8 v144, v226, v214
	ds_read_b64 v[226:227], v212 offset:27200
	v_dot4c_i32_i8 v143, v238, v214
	v_dot4c_i32_i8 v145, v232, v214
	;; [unrolled: 1-line block ×3, first 2 shown]
	s_mov_b32 s11, 8
	s_waitcnt lgkmcnt(1)
	v_and_b32_e32 v211, 0xff, v198
	v_and_b32_sdwa v198, v141, v198 dst_sel:DWORD dst_unused:UNUSED_PAD src0_sel:DWORD src1_sel:BYTE_1
	v_mul_lo_u32 v197, v197, v211
	v_mul_lo_u32 v210, v210, v198
	;; [unrolled: 1-line block ×8, first 2 shown]
	v_cvt_f32_i32_e32 v197, v197
	v_cvt_f32_i32_e32 v210, v210
	;; [unrolled: 1-line block ×3, first 2 shown]
	v_mul_lo_u32 v165, v165, v211
	v_cvt_f32_i32_e32 v179, v179
	s_waitcnt lgkmcnt(0)
	v_fma_mix_f32 v197, v226, v197, 0 op_sel_hi:[1,0,0]
	v_cvt_f32_i32_e32 v170, v170
	v_mul_lo_u32 v189, v189, v198
	v_mul_lo_u32 v175, v175, v198
	;; [unrolled: 1-line block ×3, first 2 shown]
	v_fma_mix_f32 v197, v227, v210, v197 op_sel_hi:[1,0,0]
	ds_read_u16 v210, v216
	v_cvt_f32_i32_e32 v165, v165
	v_mul_lo_u32 v156, v156, v198
	v_mul_lo_u32 v160, v160, v211
	;; [unrolled: 1-line block ×4, first 2 shown]
	v_cvt_f32_i32_e32 v156, v156
	v_cvt_f32_i32_e32 v160, v160
	;; [unrolled: 1-line block ×4, first 2 shown]
	s_waitcnt lgkmcnt(0)
	v_and_b32_e32 v212, 0xff, v210
	v_and_b32_sdwa v210, v141, v210 dst_sel:DWORD dst_unused:UNUSED_PAD src0_sel:DWORD src1_sel:BYTE_1
	v_mul_lo_u32 v196, v196, v212
	v_mul_lo_u32 v209, v209, v210
	;; [unrolled: 1-line block ×8, first 2 shown]
	v_cvt_f32_i32_e32 v196, v196
	v_cvt_f32_i32_e32 v209, v209
	;; [unrolled: 1-line block ×5, first 2 shown]
	v_fma_mix_f32 v196, v226, v196, 0 op_sel_hi:[1,0,0]
	v_cvt_f32_i32_e32 v164, v164
	v_cvt_f32_i32_e32 v150, v150
	;; [unrolled: 1-line block ×3, first 2 shown]
	v_mul_lo_u32 v159, v159, v212
	v_fma_mix_f32 v196, v227, v209, v196 op_sel_hi:[1,0,0]
	ds_read_u16 v209, v217
	v_mul_lo_u32 v32, v32, v212
	v_mul_lo_u32 v144, v144, v210
	v_cvt_f32_i32_e32 v159, v159
	v_cvt_f32_i32_e32 v32, v32
	s_waitcnt lgkmcnt(0)
	v_and_b32_e32 v213, 0xff, v209
	v_and_b32_sdwa v209, v141, v209 dst_sel:DWORD dst_unused:UNUSED_PAD src0_sel:DWORD src1_sel:BYTE_1
	v_mul_lo_u32 v195, v195, v213
	v_mul_lo_u32 v208, v208, v209
	;; [unrolled: 1-line block ×8, first 2 shown]
	v_cvt_f32_i32_e32 v195, v195
	v_cvt_f32_i32_e32 v208, v208
	;; [unrolled: 1-line block ×5, first 2 shown]
	v_fma_mix_f32 v195, v226, v195, 0 op_sel_hi:[1,0,0]
	v_cvt_f32_i32_e32 v163, v163
	v_cvt_f32_i32_e32 v149, v149
	;; [unrolled: 1-line block ×3, first 2 shown]
	v_mul_lo_u32 v158, v158, v213
	v_fma_mix_f32 v195, v227, v208, v195 op_sel_hi:[1,0,0]
	ds_read_u16 v208, v218
	v_mul_lo_u32 v33, v33, v213
	v_mul_lo_u32 v145, v145, v209
	v_cvt_f32_i32_e32 v158, v158
	v_cvt_f32_i32_e32 v33, v33
	s_waitcnt lgkmcnt(0)
	v_and_b32_e32 v214, 0xff, v208
	v_and_b32_sdwa v208, v141, v208 dst_sel:DWORD dst_unused:UNUSED_PAD src0_sel:DWORD src1_sel:BYTE_1
	v_mul_lo_u32 v194, v194, v214
	v_mul_lo_u32 v207, v207, v208
	;; [unrolled: 1-line block ×8, first 2 shown]
	v_cvt_f32_i32_e32 v194, v194
	v_cvt_f32_i32_e32 v207, v207
	;; [unrolled: 1-line block ×5, first 2 shown]
	v_fma_mix_f32 v194, v226, v194, 0 op_sel_hi:[1,0,0]
	v_cvt_f32_i32_e32 v162, v162
	v_cvt_f32_i32_e32 v147, v147
	;; [unrolled: 1-line block ×3, first 2 shown]
	v_mul_lo_u32 v157, v157, v214
	v_fma_mix_f32 v194, v227, v207, v194 op_sel_hi:[1,0,0]
	ds_read_u16 v207, v216 offset:8
	ds_read_u16 v216, v217 offset:8
	;; [unrolled: 1-line block ×3, first 2 shown]
	ds_read_u8 v218, v215 offset:8
	ds_read_u8 v215, v215 offset:9
	v_mul_lo_u32 v142, v142, v214
	v_mul_lo_u32 v146, v146, v208
	v_cvt_f32_i32_e32 v157, v157
	v_cvt_f32_i32_e32 v142, v142
	s_waitcnt lgkmcnt(4)
	v_cvt_f32_ubyte0_e32 v221, v207
	s_waitcnt lgkmcnt(3)
	v_cvt_f32_ubyte0_e32 v223, v216
	;; [unrolled: 2-line block ×4, first 2 shown]
	v_cvt_f32_ubyte1_e32 v222, v207
	v_cvt_f32_ubyte1_e32 v224, v216
	;; [unrolled: 1-line block ×3, first 2 shown]
	s_waitcnt lgkmcnt(0)
	v_cvt_f32_ubyte0_e32 v219, v215
	v_fma_mix_f32 v207, v226, v221, 0 op_sel:[1,0,0] op_sel_hi:[1,0,0]
	v_fma_mix_f32 v215, v226, v223, 0 op_sel:[1,0,0] op_sel_hi:[1,0,0]
	;; [unrolled: 1-line block ×8, first 2 shown]
	ds_read_b64 v[226:227], v185 offset:27200
	v_cvt_f32_i32_e32 v185, v206
	s_waitcnt lgkmcnt(0)
	v_fma_mix_f32 v184, v184, v226, 0 op_sel_hi:[0,1,0]
	v_fma_mix_f32 v183, v183, v226, 0 op_sel_hi:[0,1,0]
	v_fma_mix_f32 v182, v182, v226, 0 op_sel_hi:[0,1,0]
	v_fma_mix_f32 v180, v180, v226, 0 op_sel_hi:[0,1,0]
	v_fma_mix_f32 v184, v185, v227, v184 op_sel_hi:[0,1,0]
	v_mul_lo_u32 v185, v205, v210
	v_fma_mix_f32 v205, v218, v226, 0 op_sel:[0,1,0] op_sel_hi:[0,1,0]
	v_fma_mix_f32 v205, v219, v227, v205 op_sel:[0,1,0] op_sel_hi:[0,1,0]
	v_cvt_f32_i32_e32 v185, v185
	v_fma_mix_f32 v183, v185, v227, v183 op_sel_hi:[0,1,0]
	v_mul_lo_u32 v185, v204, v209
	v_fma_mix_f32 v204, v225, v226, 0 op_sel:[0,1,0] op_sel_hi:[0,1,0]
	v_fma_mix_f32 v204, v220, v227, v204 op_sel:[0,1,0] op_sel_hi:[0,1,0]
	v_cvt_f32_i32_e32 v185, v185
	v_fma_mix_f32 v182, v185, v227, v182 op_sel_hi:[0,1,0]
	;; [unrolled: 5-line block ×3, first 2 shown]
	v_fma_mix_f32 v185, v221, v226, 0 op_sel:[0,1,0] op_sel_hi:[0,1,0]
	v_fma_mix_f32 v185, v222, v227, v185 op_sel:[0,1,0] op_sel_hi:[0,1,0]
	ds_read_b64 v[226:227], v181 offset:27200
	v_cvt_f32_i32_e32 v181, v202
	s_waitcnt lgkmcnt(0)
	v_fma_mix_f32 v179, v179, v226, 0 op_sel_hi:[0,1,0]
	v_fma_mix_f32 v178, v178, v226, 0 op_sel_hi:[0,1,0]
	;; [unrolled: 1-line block ×5, first 2 shown]
	v_mul_lo_u32 v181, v201, v210
	v_fma_mix_f32 v201, v218, v226, 0 op_sel:[0,1,0] op_sel_hi:[0,1,0]
	v_fma_mix_f32 v201, v219, v227, v201 op_sel:[0,1,0] op_sel_hi:[0,1,0]
	v_cvt_f32_i32_e32 v181, v181
	v_fma_mix_f32 v178, v181, v227, v178 op_sel_hi:[0,1,0]
	v_mul_lo_u32 v181, v200, v209
	v_fma_mix_f32 v200, v225, v226, 0 op_sel:[0,1,0] op_sel_hi:[0,1,0]
	v_fma_mix_f32 v200, v220, v227, v200 op_sel:[0,1,0] op_sel_hi:[0,1,0]
	v_cvt_f32_i32_e32 v181, v181
	v_fma_mix_f32 v177, v181, v227, v177 op_sel_hi:[0,1,0]
	;; [unrolled: 5-line block ×3, first 2 shown]
	v_fma_mix_f32 v181, v221, v226, 0 op_sel:[0,1,0] op_sel_hi:[0,1,0]
	v_fma_mix_f32 v181, v222, v227, v181 op_sel:[0,1,0] op_sel_hi:[0,1,0]
	ds_read_b64 v[226:227], v171 offset:27200
	v_cvt_f32_i32_e32 v171, v193
	v_mul_f32_e32 v181, v181, v5
	v_fma_f32 v178, v178, v26, -v181
	v_mul_f32_e32 v181, v199, v27
	v_add_f32_e32 v68, v68, v178
	v_fma_f32 v177, v177, v28, -v181
	v_mul_f32_e32 v181, v200, v29
	s_waitcnt lgkmcnt(0)
	v_fma_mix_f32 v170, v170, v226, 0 op_sel_hi:[0,1,0]
	v_fma_mix_f32 v169, v169, v226, 0 op_sel_hi:[0,1,0]
	;; [unrolled: 1-line block ×4, first 2 shown]
	v_fma_f32 v176, v176, v30, -v181
	v_fma_mix_f32 v170, v171, v227, v170 op_sel_hi:[0,1,0]
	v_mul_lo_u32 v171, v192, v210
	v_fma_mix_f32 v192, v218, v226, 0 op_sel:[0,1,0] op_sel_hi:[0,1,0]
	v_add_f32_e32 v66, v66, v177
	v_add_f32_e32 v65, v65, v176
	v_fma_mix_f32 v192, v219, v227, v192 op_sel:[0,1,0] op_sel_hi:[0,1,0]
	v_cvt_f32_i32_e32 v171, v171
	v_mul_f32_e32 v181, v192, v4
	v_fma_mix_f32 v169, v171, v227, v169 op_sel_hi:[0,1,0]
	v_mul_lo_u32 v171, v191, v209
	v_fma_mix_f32 v191, v225, v226, 0 op_sel:[0,1,0] op_sel_hi:[0,1,0]
	v_fma_f32 v170, v170, v3, -v181
	v_fma_mix_f32 v191, v220, v227, v191 op_sel:[0,1,0] op_sel_hi:[0,1,0]
	v_add_f32_e32 v61, v61, v170
	v_cvt_f32_i32_e32 v171, v171
	v_fma_mix_f32 v168, v171, v227, v168 op_sel_hi:[0,1,0]
	v_mul_lo_u32 v171, v190, v208
	v_fma_mix_f32 v190, v223, v226, 0 op_sel:[0,1,0] op_sel_hi:[0,1,0]
	v_fma_mix_f32 v190, v224, v227, v190 op_sel:[0,1,0] op_sel_hi:[0,1,0]
	v_cvt_f32_i32_e32 v171, v171
	v_fma_mix_f32 v166, v171, v227, v166 op_sel_hi:[0,1,0]
	v_fma_mix_f32 v171, v221, v226, 0 op_sel:[0,1,0] op_sel_hi:[0,1,0]
	v_fma_mix_f32 v171, v222, v227, v171 op_sel:[0,1,0] op_sel_hi:[0,1,0]
	ds_read_b64 v[226:227], v167 offset:27200
	v_cvt_f32_i32_e32 v167, v189
	v_mul_f32_e32 v171, v171, v5
	v_fma_f32 v169, v169, v26, -v171
	v_mul_f32_e32 v171, v190, v27
	v_add_f32_e32 v56, v56, v169
	v_fma_f32 v168, v168, v28, -v171
	v_mul_f32_e32 v171, v191, v29
	s_waitcnt lgkmcnt(0)
	v_fma_mix_f32 v165, v165, v226, 0 op_sel_hi:[0,1,0]
	v_fma_mix_f32 v164, v164, v226, 0 op_sel_hi:[0,1,0]
	;; [unrolled: 1-line block ×4, first 2 shown]
	v_fma_f32 v166, v166, v30, -v171
	v_fma_mix_f32 v165, v167, v227, v165 op_sel_hi:[0,1,0]
	v_mul_lo_u32 v167, v188, v210
	v_fma_mix_f32 v188, v218, v226, 0 op_sel:[0,1,0] op_sel_hi:[0,1,0]
	v_add_f32_e32 v53, v53, v168
	v_add_f32_e32 v52, v52, v166
	v_fma_mix_f32 v188, v219, v227, v188 op_sel:[0,1,0] op_sel_hi:[0,1,0]
	v_cvt_f32_i32_e32 v167, v167
	v_mul_f32_e32 v171, v188, v4
	v_fma_mix_f32 v164, v167, v227, v164 op_sel_hi:[0,1,0]
	v_mul_lo_u32 v167, v187, v209
	v_fma_mix_f32 v187, v225, v226, 0 op_sel:[0,1,0] op_sel_hi:[0,1,0]
	v_fma_f32 v165, v165, v3, -v171
	v_fma_mix_f32 v187, v220, v227, v187 op_sel:[0,1,0] op_sel_hi:[0,1,0]
	v_add_f32_e32 v50, v50, v165
	v_cvt_f32_i32_e32 v167, v167
	v_fma_mix_f32 v163, v167, v227, v163 op_sel_hi:[0,1,0]
	v_mul_lo_u32 v167, v186, v208
	v_fma_mix_f32 v186, v223, v226, 0 op_sel:[0,1,0] op_sel_hi:[0,1,0]
	v_fma_mix_f32 v186, v224, v227, v186 op_sel:[0,1,0] op_sel_hi:[0,1,0]
	v_cvt_f32_i32_e32 v167, v167
	v_fma_mix_f32 v162, v167, v227, v162 op_sel_hi:[0,1,0]
	v_fma_mix_f32 v167, v221, v226, 0 op_sel:[0,1,0] op_sel_hi:[0,1,0]
	v_fma_mix_f32 v167, v222, v227, v167 op_sel:[0,1,0] op_sel_hi:[0,1,0]
	ds_read_b64 v[226:227], v161 offset:27200
	v_cvt_f32_i32_e32 v161, v175
	v_cvt_f32_i32_e32 v175, v154
	ds_read_b64 v[154:155], v155 offset:27200
	v_mul_f32_e32 v167, v167, v5
	v_fma_f32 v164, v164, v26, -v167
	v_mul_f32_e32 v167, v186, v27
	v_add_f32_e32 v49, v49, v164
	v_fma_f32 v163, v163, v28, -v167
	v_mul_f32_e32 v167, v187, v29
	s_waitcnt lgkmcnt(1)
	v_fma_mix_f32 v160, v160, v226, 0 op_sel_hi:[0,1,0]
	v_fma_mix_f32 v159, v159, v226, 0 op_sel_hi:[0,1,0]
	;; [unrolled: 1-line block ×3, first 2 shown]
	s_waitcnt lgkmcnt(0)
	v_fma_mix_f32 v147, v147, v154, 0 op_sel_hi:[0,1,0]
	v_fma_mix_f32 v149, v149, v154, 0 op_sel_hi:[0,1,0]
	;; [unrolled: 1-line block ×6, first 2 shown]
	v_fma_mix_f32 v147, v221, v154, 0 op_sel:[0,1,0] op_sel_hi:[0,1,0]
	v_fma_mix_f32 v149, v152, v155, v149 op_sel_hi:[0,1,0]
	v_fma_mix_f32 v150, v153, v155, v150 op_sel_hi:[0,1,0]
	;; [unrolled: 1-line block ×3, first 2 shown]
	v_mul_lo_u32 v161, v174, v210
	v_fma_mix_f32 v152, v222, v155, v147 op_sel:[0,1,0] op_sel_hi:[0,1,0]
	v_fma_mix_f32 v147, v223, v154, 0 op_sel:[0,1,0] op_sel_hi:[0,1,0]
	v_fma_mix_f32 v157, v157, v226, 0 op_sel_hi:[0,1,0]
	v_fma_mix_f32 v174, v218, v226, 0 op_sel:[0,1,0] op_sel_hi:[0,1,0]
	v_fma_f32 v162, v162, v30, -v167
	v_mul_f32_e32 v152, v152, v5
	v_fma_mix_f32 v153, v224, v155, v147 op_sel:[0,1,0] op_sel_hi:[0,1,0]
	v_fma_mix_f32 v147, v225, v154, 0 op_sel:[0,1,0] op_sel_hi:[0,1,0]
	v_cvt_f32_i32_e32 v161, v161
	v_fma_mix_f32 v174, v219, v227, v174 op_sel:[0,1,0] op_sel_hi:[0,1,0]
	v_fma_f32 v150, v150, v26, -v152
	v_mul_f32_e32 v152, v153, v27
	v_fma_mix_f32 v175, v220, v155, v147 op_sel:[0,1,0] op_sel_hi:[0,1,0]
	v_fma_mix_f32 v147, v218, v154, 0 op_sel:[0,1,0] op_sel_hi:[0,1,0]
	v_fma_mix_f32 v159, v161, v227, v159 op_sel_hi:[0,1,0]
	v_mul_lo_u32 v161, v173, v209
	v_fma_f32 v149, v149, v28, -v152
	v_mul_f32_e32 v152, v175, v29
	v_fma_mix_f32 v154, v219, v155, v147 op_sel:[0,1,0] op_sel_hi:[0,1,0]
	v_lshrrev_b32_e32 v147, 1, v148
	v_fma_mix_f32 v173, v225, v226, 0 op_sel:[0,1,0] op_sel_hi:[0,1,0]
	v_mul_f32_e32 v167, v174, v4
	v_fma_f32 v151, v151, v30, -v152
	v_cvt_f32_i32_e32 v161, v161
	ds_read_b64 v[147:148], v147 offset:27200
	v_fma_mix_f32 v173, v220, v227, v173 op_sel:[0,1,0] op_sel_hi:[0,1,0]
	v_mul_f32_e32 v154, v154, v4
	v_fma_f32 v160, v160, v3, -v167
	v_fma_mix_f32 v158, v161, v227, v158 op_sel_hi:[0,1,0]
	v_mul_lo_u32 v161, v172, v208
	v_fma_mix_f32 v172, v223, v226, 0 op_sel:[0,1,0] op_sel_hi:[0,1,0]
	v_fma_f32 v154, v156, v3, -v154
	v_add_f32_e32 v48, v48, v163
	v_add_f32_e32 v47, v47, v162
	;; [unrolled: 1-line block ×3, first 2 shown]
	v_fma_mix_f32 v172, v224, v227, v172 op_sel:[0,1,0] op_sel_hi:[0,1,0]
	v_add_f32_e32 v41, v41, v154
	v_cvt_f32_i32_e32 v161, v161
	v_add_f32_e32 v40, v40, v150
	v_add_f32_e32 v39, v39, v149
	;; [unrolled: 1-line block ×3, first 2 shown]
	v_fma_mix_f32 v157, v161, v227, v157 op_sel_hi:[0,1,0]
	v_fma_mix_f32 v161, v221, v226, 0 op_sel:[0,1,0] op_sel_hi:[0,1,0]
	s_waitcnt lgkmcnt(0)
	v_fma_mix_f32 v31, v31, v147, 0 op_sel_hi:[0,1,0]
	v_fma_mix_f32 v32, v32, v147, 0 op_sel_hi:[0,1,0]
	v_fma_mix_f32 v202, v218, v147, 0 op_sel:[0,1,0] op_sel_hi:[0,1,0]
	v_fma_mix_f32 v33, v33, v147, 0 op_sel_hi:[0,1,0]
	v_fma_mix_f32 v155, v221, v147, 0 op_sel:[0,1,0] op_sel_hi:[0,1,0]
	v_fma_mix_f32 v31, v143, v148, v31 op_sel_hi:[0,1,0]
	v_cvt_f32_i32_e32 v143, v144
	v_fma_mix_f32 v189, v223, v147, 0 op_sel:[0,1,0] op_sel_hi:[0,1,0]
	v_fma_mix_f32 v193, v225, v147, 0 op_sel:[0,1,0] op_sel_hi:[0,1,0]
	;; [unrolled: 1-line block ×3, first 2 shown]
	v_fma_mix_f32 v142, v142, v147, 0 op_sel_hi:[0,1,0]
	v_fma_mix_f32 v32, v143, v148, v32 op_sel_hi:[0,1,0]
	v_cvt_f32_i32_e32 v143, v145
	v_fma_mix_f32 v161, v222, v227, v161 op_sel:[0,1,0] op_sel_hi:[0,1,0]
	v_fma_mix_f32 v155, v222, v148, v155 op_sel:[0,1,0] op_sel_hi:[0,1,0]
	v_fma_mix_f32 v189, v224, v148, v189 op_sel:[0,1,0] op_sel_hi:[0,1,0]
	v_fma_mix_f32 v193, v220, v148, v193 op_sel:[0,1,0] op_sel_hi:[0,1,0]
	v_fma_mix_f32 v33, v143, v148, v33 op_sel_hi:[0,1,0]
	v_cvt_f32_i32_e32 v143, v146
	v_mul_f32_e32 v152, v202, v4
	v_mul_f32_e32 v161, v161, v5
	;; [unrolled: 1-line block ×4, first 2 shown]
	v_fma_mix_f32 v142, v143, v148, v142 op_sel_hi:[0,1,0]
	v_mul_f32_e32 v148, v185, v5
	v_fma_f32 v31, v31, v3, -v152
	v_mul_f32_e32 v152, v155, v5
	v_fma_f32 v159, v159, v26, -v161
	;; [unrolled: 2-line block ×4, first 2 shown]
	v_mul_f32_e32 v152, v189, v27
	v_mul_f32_e32 v143, v217, v4
	;; [unrolled: 1-line block ×3, first 2 shown]
	v_fma_f32 v182, v182, v28, -v183
	v_mul_f32_e32 v183, v204, v29
	v_mul_f32_e32 v147, v205, v4
	v_fma_f32 v158, v158, v28, -v161
	v_mul_f32_e32 v161, v173, v29
	v_fma_f32 v33, v33, v28, -v152
	v_fma_f32 v180, v180, v30, -v183
	v_mul_f32_e32 v183, v201, v4
	v_mul_f32_e32 v152, v193, v29
	v_fma_f32 v143, v197, v3, -v143
	v_fma_f32 v144, v196, v26, -v144
	;; [unrolled: 1-line block ×8, first 2 shown]
	v_add_f32_e32 v91, v91, v143
	v_add_f32_e32 v87, v87, v144
	;; [unrolled: 1-line block ×16, first 2 shown]
	s_cbranch_vccnz .LBB132_6
; %bb.7:                                ;   in Loop: Header=BB132_5 Depth=1
	v_add_nc_u32_e32 v5, s0, v102
	v_add_nc_u32_e32 v2, 4, v2
	s_barrier
	buffer_gl0_inv
	v_add_nc_u32_e32 v3, v5, v94
	v_add_nc_u32_e32 v26, v5, v95
	;; [unrolled: 1-line block ×5, first 2 shown]
	v_mad_u64_u32 v[142:143], null, v2, 36, s[2:3]
	v_mad_i64_i32 v[3:4], null, v3, 36, v[24:25]
	v_add_nc_u32_e32 v144, v5, v99
	v_mad_i64_i32 v[26:27], null, v26, 36, v[24:25]
	v_add_nc_u32_e32 v146, v5, v100
	;; [unrolled: 2-line block ×3, first 2 shown]
	v_mad_i64_i32 v[30:31], null, v30, 36, v[24:25]
	v_mad_i64_i32 v[32:33], null, v32, 36, v[24:25]
	;; [unrolled: 1-line block ×5, first 2 shown]
	s_clause 0x8
	global_load_dword v2, v[142:143], off
	global_load_dword v3, v[3:4], off offset:4
	global_load_dword v4, v[26:27], off offset:4
	;; [unrolled: 1-line block ×8, first 2 shown]
	v_mov_b32_e32 v142, v120
	v_mov_b32_e32 v143, v119
	;; [unrolled: 1-line block ×3, first 2 shown]
	s_mov_b32 s0, 16
	s_mov_b32 s11, 0
	s_waitcnt vmcnt(8)
	ds_write_b32 v92, v2
	s_waitcnt vmcnt(7)
	ds_write_b32 v130, v3
	;; [unrolled: 2-line block ×9, first 2 shown]
	s_waitcnt lgkmcnt(0)
	s_barrier
	buffer_gl0_inv
	ds_read_b32 v2, v103
	ds_read_b32 v3, v104 offset:128
	ds_read_b32 v4, v105 offset:256
	;; [unrolled: 1-line block ×3, first 2 shown]
	s_waitcnt lgkmcnt(3)
	v_cvt_f32_f16_e32 v144, v2
	v_cvt_f32_f16_sdwa v145, v2 dst_sel:DWORD dst_unused:UNUSED_PAD src0_sel:WORD_1
	s_waitcnt lgkmcnt(2)
	v_cvt_f32_f16_sdwa v146, v3 dst_sel:DWORD dst_unused:UNUSED_PAD src0_sel:WORD_1
	v_cvt_f32_f16_e32 v147, v3
	s_waitcnt lgkmcnt(1)
	v_cvt_f32_f16_sdwa v148, v4 dst_sel:DWORD dst_unused:UNUSED_PAD src0_sel:WORD_1
	v_cvt_f32_f16_e32 v149, v4
	;; [unrolled: 3-line block ×3, first 2 shown]
.LBB132_8:                              ;   Parent Loop BB132_5 Depth=1
                                        ; =>  This Inner Loop Header: Depth=2
	v_add_nc_u32_e32 v4, 0x1080, v152
	v_add_nc_u32_e32 v26, 0x2100, v152
	;; [unrolled: 1-line block ×3, first 2 shown]
	ds_read2_b32 v[2:3], v152 offset1:1
	ds_read2_b32 v[30:31], v152 offset0:2 offset1:3
	ds_read2_b32 v[4:5], v4 offset1:1
	ds_read2_b32 v[26:27], v26 offset1:1
	;; [unrolled: 1-line block ×3, first 2 shown]
	ds_read_b128 v[153:156], v142
	ds_read_b128 v[185:188], v142 offset:6144
	v_add_nc_u32_e32 v32, 0x1088, v152
	v_mov_b32_e32 v196, 0
	v_mov_b32_e32 v195, 0
	v_mov_b32_e32 v194, 0
	v_mov_b32_e32 v193, 0
	ds_read2_b32 v[32:33], v32 offset1:1
	v_mov_b32_e32 v200, 0
	v_mov_b32_e32 v199, 0
	;; [unrolled: 1-line block ×7, first 2 shown]
	s_waitcnt lgkmcnt(7)
	v_and_b32_e32 v157, 0xf0f0f0f, v2
	v_and_b32_e32 v177, 0xf0f0f0f, v3
	s_waitcnt lgkmcnt(5)
	v_and_b32_e32 v158, 0xf0f0f0f, v4
	s_waitcnt lgkmcnt(4)
	v_and_b32_e32 v159, 0xf0f0f0f, v26
	s_waitcnt lgkmcnt(3)
	v_and_b32_e32 v179, 0xf0f0f0f, v28
	s_waitcnt lgkmcnt(2)
	v_dot4c_i32_i8 v196, v157, v153
	v_and_b32_e32 v181, 0xf0f0f0f, v5
	v_dot4c_i32_i8 v195, v158, v153
	v_dot4c_i32_i8 v194, v159, v153
	;; [unrolled: 1-line block ×3, first 2 shown]
	v_add_nc_u32_e32 v153, 0x2108, v152
	v_and_b32_e32 v182, 0xf0f0f0f, v27
	v_and_b32_e32 v183, 0xf0f0f0f, v29
	v_dot4c_i32_i8 v196, v177, v154
	v_and_b32_e32 v178, 0xf0f0f0f, v30
	ds_read2_b32 v[189:190], v153 offset1:1
	v_add_nc_u32_e32 v153, 0x3188, v152
	v_dot4c_i32_i8 v195, v181, v154
	v_dot4c_i32_i8 v194, v182, v154
	;; [unrolled: 1-line block ×3, first 2 shown]
	s_waitcnt lgkmcnt(1)
	v_and_b32_e32 v184, 0xf0f0f0f, v32
	ds_read2_b32 v[191:192], v153 offset1:1
	v_dot4c_i32_i8 v196, v178, v155
	v_and_b32_e32 v180, 0xf0f0f0f, v31
	v_and_b32_e32 v203, 0xf0f0f0f, v33
	v_dot4c_i32_i8 v195, v184, v155
	v_mov_b32_e32 v168, 0
	v_mov_b32_e32 v176, 0
	v_dot4c_i32_i8 v196, v180, v156
	v_mov_b32_e32 v174, 0
	v_dot4c_i32_i8 v195, v203, v156
	v_mov_b32_e32 v171, 0
	v_mov_b32_e32 v169, 0
	;; [unrolled: 1-line block ×4, first 2 shown]
	s_waitcnt lgkmcnt(1)
	v_and_b32_e32 v201, 0xf0f0f0f, v189
	v_and_b32_e32 v204, 0xf0f0f0f, v190
	v_mov_b32_e32 v163, 0
	v_mov_b32_e32 v161, 0
	;; [unrolled: 1-line block ×3, first 2 shown]
	v_dot4c_i32_i8 v194, v201, v155
	s_waitcnt lgkmcnt(0)
	v_and_b32_e32 v202, 0xf0f0f0f, v191
	v_and_b32_e32 v205, 0xf0f0f0f, v192
	v_mov_b32_e32 v166, 0
	v_mov_b32_e32 v164, 0
	v_dot4c_i32_i8 v194, v204, v156
	v_dot4c_i32_i8 v193, v202, v155
	ds_read_b128 v[208:211], v142 offset:7200
	v_mov_b32_e32 v162, 0
	v_mov_b32_e32 v160, 0
	v_lshrrev_b32_e32 v2, 4, v2
	v_dot4c_i32_i8 v193, v205, v156
	ds_read_b128 v[153:156], v142 offset:1024
	v_lshrrev_b32_e32 v4, 4, v4
	v_lshrrev_b32_e32 v3, 4, v3
	;; [unrolled: 1-line block ×7, first 2 shown]
	v_and_b32_e32 v212, 0xf0f0f0f, v2
	v_mov_b32_e32 v2, 0
	v_and_b32_e32 v4, 0xf0f0f0f, v4
	v_mov_b32_e32 v206, 0
	v_and_b32_e32 v3, 0xf0f0f0f, v3
	v_and_b32_e32 v213, 0xf0f0f0f, v30
	;; [unrolled: 1-line block ×6, first 2 shown]
	v_mov_b32_e32 v207, 0
	s_lshr_b32 s15, s0, 2
	s_waitcnt lgkmcnt(0)
	v_dot4c_i32_i8 v200, v157, v153
	v_dot4c_i32_i8 v199, v158, v153
	v_dot4c_i32_i8 v198, v159, v153
	v_dot4c_i32_i8 v197, v179, v153
	s_and_b32 s15, s15, 0x3ffffffc
	v_dot4c_i32_i8 v200, v177, v154
	v_dot4c_i32_i8 v199, v181, v154
	;; [unrolled: 1-line block ×4, first 2 shown]
	s_add_i32 s0, s0, 8
	v_dot4c_i32_i8 v200, v178, v155
	v_dot4c_i32_i8 v199, v184, v155
	;; [unrolled: 1-line block ×4, first 2 shown]
	ds_read_b128 v[30:33], v142 offset:6176
	v_dot4c_i32_i8 v200, v180, v156
	v_dot4c_i32_i8 v199, v203, v156
	v_dot4c_i32_i8 v198, v204, v156
	v_dot4c_i32_i8 v197, v205, v156
	ds_read_b128 v[153:156], v142 offset:2048
	s_waitcnt lgkmcnt(0)
	v_dot4c_i32_i8 v175, v157, v153
	v_dot4c_i32_i8 v172, v158, v153
	v_dot4c_i32_i8 v170, v159, v153
	v_dot4c_i32_i8 v168, v179, v153
	v_dot4c_i32_i8 v175, v177, v154
	v_dot4c_i32_i8 v172, v181, v154
	v_dot4c_i32_i8 v170, v182, v154
	v_dot4c_i32_i8 v168, v183, v154
	v_dot4c_i32_i8 v175, v178, v155
	v_dot4c_i32_i8 v172, v184, v155
	v_dot4c_i32_i8 v170, v201, v155
	v_dot4c_i32_i8 v168, v202, v155
	v_dot4c_i32_i8 v175, v180, v156
	v_dot4c_i32_i8 v172, v203, v156
	v_dot4c_i32_i8 v170, v204, v156
	v_dot4c_i32_i8 v168, v205, v156
	ds_read_b128 v[153:156], v142 offset:3072
	s_waitcnt lgkmcnt(0)
	v_dot4c_i32_i8 v176, v157, v153
	v_dot4c_i32_i8 v174, v158, v153
	v_dot4c_i32_i8 v171, v159, v153
	v_dot4c_i32_i8 v169, v179, v153
	v_dot4c_i32_i8 v176, v177, v154
	v_dot4c_i32_i8 v174, v181, v154
	v_dot4c_i32_i8 v171, v182, v154
	v_dot4c_i32_i8 v169, v183, v154
	v_dot4c_i32_i8 v176, v178, v155
	v_dot4c_i32_i8 v174, v184, v155
	v_dot4c_i32_i8 v171, v201, v155
	v_dot4c_i32_i8 v169, v202, v155
	;; [unrolled: 18-line block ×3, first 2 shown]
	v_dot4c_i32_i8 v167, v180, v156
	v_dot4c_i32_i8 v165, v203, v156
	;; [unrolled: 1-line block ×4, first 2 shown]
	ds_read_b128 v[153:156], v142 offset:5120
	s_waitcnt lgkmcnt(0)
	v_dot4c_i32_i8 v173, v157, v153
	v_dot4c_i32_i8 v166, v158, v153
	v_dot4c_i32_i8 v164, v159, v153
	v_dot4c_i32_i8 v162, v179, v153
	v_mov_b32_e32 v153, 0
	v_dot4c_i32_i8 v173, v177, v154
	v_dot4c_i32_i8 v166, v181, v154
	v_dot4c_i32_i8 v164, v182, v154
	v_dot4c_i32_i8 v162, v183, v154
	v_mov_b32_e32 v154, 0
	;; [unrolled: 5-line block ×4, first 2 shown]
	v_dot4c_i32_i8 v153, v158, v185
	v_dot4c_i32_i8 v154, v159, v185
	;; [unrolled: 1-line block ×16, first 2 shown]
	ds_read_b128 v[185:188], v142 offset:7168
	s_waitcnt lgkmcnt(0)
	v_dot4c_i32_i8 v160, v157, v185
	v_mov_b32_e32 v157, 0
	v_dot4c_i32_i8 v160, v177, v186
	v_dot4c_i32_i8 v157, v158, v185
	v_mov_b32_e32 v158, 0
	v_lshrrev_b32_e32 v177, 4, v26
	v_dot4c_i32_i8 v160, v178, v187
	v_dot4c_i32_i8 v157, v181, v186
	;; [unrolled: 1-line block ×3, first 2 shown]
	v_lshrrev_b32_e32 v178, 4, v27
	v_lshrrev_b32_e32 v181, 4, v28
	v_mov_b32_e32 v159, 0
	v_and_b32_e32 v217, 0xf0f0f0f, v177
	v_dot4c_i32_i8 v158, v182, v186
	v_lshrrev_b32_e32 v182, 4, v29
	ds_read_b128 v[26:29], v142 offset:32
	v_dot4c_i32_i8 v159, v179, v185
	v_and_b32_e32 v221, 0xf0f0f0f, v181
	v_dot4c_i32_i8 v158, v201, v187
	v_mov_b32_e32 v201, 0
	v_lshrrev_b32_e32 v179, 4, v189
	v_dot4c_i32_i8 v159, v183, v186
	v_lshrrev_b32_e32 v183, 4, v191
	v_dot4c_i32_i8 v158, v204, v188
	v_mov_b32_e32 v204, 0
	v_and_b32_e32 v218, 0xf0f0f0f, v178
	v_and_b32_e32 v222, 0xf0f0f0f, v182
	v_dot4c_i32_i8 v157, v184, v187
	v_dot4c_i32_i8 v160, v180, v188
	v_lshrrev_b32_e32 v180, 4, v190
	v_lshrrev_b32_e32 v184, 4, v192
	v_and_b32_e32 v219, 0xf0f0f0f, v179
	v_and_b32_e32 v223, 0xf0f0f0f, v183
	v_dot4c_i32_i8 v159, v202, v187
	v_and_b32_e32 v220, 0xf0f0f0f, v180
	s_waitcnt lgkmcnt(0)
	v_dot4c_i32_i8 v2, v212, v26
	v_dot4c_i32_i8 v206, v4, v26
	;; [unrolled: 1-line block ×4, first 2 shown]
	v_and_b32_e32 v224, 0xf0f0f0f, v184
	v_dot4c_i32_i8 v2, v3, v27
	v_dot4c_i32_i8 v206, v5, v27
	;; [unrolled: 1-line block ×14, first 2 shown]
	ds_read_b128 v[26:29], v142 offset:1056
	v_mov_b32_e32 v205, 0
	v_mov_b32_e32 v203, 0
	;; [unrolled: 1-line block ×19, first 2 shown]
	s_waitcnt lgkmcnt(0)
	v_dot4c_i32_i8 v207, v212, v26
	v_dot4c_i32_i8 v205, v4, v26
	v_dot4c_i32_i8 v203, v217, v26
	v_dot4c_i32_i8 v202, v221, v26
	v_dot4c_i32_i8 v207, v3, v27
	v_dot4c_i32_i8 v205, v5, v27
	v_dot4c_i32_i8 v203, v218, v27
	v_dot4c_i32_i8 v202, v222, v27
	v_dot4c_i32_i8 v207, v213, v28
	v_dot4c_i32_i8 v205, v215, v28
	v_dot4c_i32_i8 v203, v219, v28
	v_dot4c_i32_i8 v202, v223, v28
	v_dot4c_i32_i8 v207, v214, v29
	v_dot4c_i32_i8 v205, v216, v29
	v_dot4c_i32_i8 v203, v220, v29
	v_dot4c_i32_i8 v202, v224, v29
	ds_read_b128 v[26:29], v142 offset:2080
	s_waitcnt lgkmcnt(0)
	v_dot4c_i32_i8 v191, v212, v26
	v_dot4c_i32_i8 v188, v4, v26
	v_dot4c_i32_i8 v186, v217, v26
	v_dot4c_i32_i8 v184, v221, v26
	v_dot4c_i32_i8 v191, v3, v27
	v_dot4c_i32_i8 v188, v5, v27
	v_dot4c_i32_i8 v186, v218, v27
	v_dot4c_i32_i8 v184, v222, v27
	v_dot4c_i32_i8 v191, v213, v28
	v_dot4c_i32_i8 v188, v215, v28
	v_dot4c_i32_i8 v186, v219, v28
	v_dot4c_i32_i8 v184, v223, v28
	v_dot4c_i32_i8 v191, v214, v29
	v_dot4c_i32_i8 v188, v216, v29
	v_dot4c_i32_i8 v186, v220, v29
	v_dot4c_i32_i8 v184, v224, v29
	ds_read_b128 v[26:29], v142 offset:3104
	;; [unrolled: 18-line block ×4, first 2 shown]
	s_waitcnt lgkmcnt(0)
	v_dot4c_i32_i8 v189, v212, v26
	v_dot4c_i32_i8 v182, v4, v26
	v_dot4c_i32_i8 v180, v217, v26
	v_dot4c_i32_i8 v178, v221, v26
	v_mov_b32_e32 v26, 0
	v_dot4c_i32_i8 v189, v3, v27
	v_dot4c_i32_i8 v182, v5, v27
	v_dot4c_i32_i8 v180, v218, v27
	v_dot4c_i32_i8 v178, v222, v27
	v_mov_b32_e32 v27, 0
	;; [unrolled: 5-line block ×4, first 2 shown]
	v_dot4c_i32_i8 v26, v4, v30
	v_dot4c_i32_i8 v27, v217, v30
	;; [unrolled: 1-line block ×7, first 2 shown]
	v_mov_b32_e32 v30, 0
	v_dot4c_i32_i8 v29, v3, v31
	v_dot4c_i32_i8 v26, v215, v32
	;; [unrolled: 1-line block ×9, first 2 shown]
	v_mov_b32_e32 v31, 0
	v_dot4c_i32_i8 v29, v214, v33
	v_mov_b32_e32 v33, 0
	v_mov_b32_e32 v32, 0
	v_dot4c_i32_i8 v30, v5, v209
	v_dot4c_i32_i8 v31, v217, v208
	;; [unrolled: 1-line block ×6, first 2 shown]
	v_add_nc_u32_e32 v212, 0x1090, v152
	v_dot4c_i32_i8 v33, v3, v209
	v_dot4c_i32_i8 v32, v222, v209
	;; [unrolled: 1-line block ×3, first 2 shown]
	v_add_nc_u32_e32 v216, 0x3190, v152
	v_dot4c_i32_i8 v31, v219, v210
	v_dot4c_i32_i8 v33, v213, v210
	;; [unrolled: 1-line block ×3, first 2 shown]
	ds_read2_b32 v[3:4], v152 offset0:4 offset1:5
	ds_read2_b32 v[212:213], v212 offset1:1
	ds_read2_b32 v[216:217], v216 offset1:1
	v_dot4c_i32_i8 v33, v214, v211
	v_add_nc_u32_e32 v214, 0x2110, v152
	v_dot4c_i32_i8 v31, v220, v211
	v_dot4c_i32_i8 v32, v224, v211
	ds_read_b128 v[208:211], v142 offset:16
	ds_read2_b32 v[218:219], v152 offset0:6 offset1:7
	ds_read2_b32 v[214:215], v214 offset1:1
	s_waitcnt lgkmcnt(5)
	v_and_b32_e32 v5, 0xf0f0f0f, v3
	s_waitcnt lgkmcnt(4)
	v_and_b32_e32 v227, 0xf0f0f0f, v212
	;; [unrolled: 2-line block ×3, first 2 shown]
	v_and_b32_e32 v226, 0xf0f0f0f, v4
	v_and_b32_e32 v231, 0xf0f0f0f, v213
	;; [unrolled: 1-line block ×3, first 2 shown]
	v_lshrrev_b32_e32 v3, 4, v3
	s_waitcnt lgkmcnt(2)
	v_dot4c_i32_i8 v196, v5, v208
	v_dot4c_i32_i8 v195, v227, v208
	s_waitcnt lgkmcnt(0)
	v_and_b32_e32 v228, 0xf0f0f0f, v214
	v_dot4c_i32_i8 v193, v229, v208
	v_and_b32_e32 v232, 0xf0f0f0f, v215
	v_dot4c_i32_i8 v196, v226, v209
	v_dot4c_i32_i8 v195, v231, v209
	;; [unrolled: 1-line block ×3, first 2 shown]
	v_add_nc_u32_e32 v208, 0x1098, v152
	v_dot4c_i32_i8 v193, v233, v209
	v_lshrrev_b32_e32 v216, 4, v216
	v_lshrrev_b32_e32 v4, 4, v4
	v_dot4c_i32_i8 v194, v232, v209
	ds_read2_b32 v[220:221], v208 offset1:1
	v_add_nc_u32_e32 v208, 0x2118, v152
	v_and_b32_e32 v230, 0xf0f0f0f, v218
	v_and_b32_e32 v234, 0xf0f0f0f, v219
	v_lshrrev_b32_e32 v217, 4, v217
	v_and_b32_e32 v3, 0xf0f0f0f, v3
	ds_read2_b32 v[222:223], v208 offset1:1
	v_add_nc_u32_e32 v208, 0x3198, v152
	v_dot4c_i32_i8 v196, v230, v210
	v_and_b32_e32 v216, 0xf0f0f0f, v216
	v_and_b32_e32 v4, 0xf0f0f0f, v4
	;; [unrolled: 1-line block ×3, first 2 shown]
	ds_read2_b32 v[224:225], v208 offset1:1
	v_dot4c_i32_i8 v196, v234, v211
	v_add_nc_u32_e32 v152, 32, v152
	s_waitcnt lgkmcnt(2)
	v_and_b32_e32 v235, 0xf0f0f0f, v220
	v_and_b32_e32 v238, 0xf0f0f0f, v221
	v_dot4c_i32_i8 v195, v235, v210
	s_waitcnt lgkmcnt(1)
	v_and_b32_e32 v236, 0xf0f0f0f, v222
	v_and_b32_e32 v239, 0xf0f0f0f, v223
	v_dot4c_i32_i8 v195, v238, v211
	v_dot4c_i32_i8 v194, v236, v210
	s_waitcnt lgkmcnt(0)
	v_and_b32_e32 v237, 0xf0f0f0f, v224
	v_and_b32_e32 v240, 0xf0f0f0f, v225
	v_dot4c_i32_i8 v194, v239, v211
	v_dot4c_i32_i8 v193, v237, v210
	v_dot4c_i32_i8 v193, v240, v211
	ds_read_b128 v[208:211], v142 offset:1040
	s_waitcnt lgkmcnt(0)
	v_dot4c_i32_i8 v200, v5, v208
	v_dot4c_i32_i8 v199, v227, v208
	v_dot4c_i32_i8 v198, v228, v208
	v_dot4c_i32_i8 v197, v229, v208
	v_dot4c_i32_i8 v200, v226, v209
	v_dot4c_i32_i8 v199, v231, v209
	v_dot4c_i32_i8 v198, v232, v209
	v_dot4c_i32_i8 v197, v233, v209
	v_dot4c_i32_i8 v200, v230, v210
	v_dot4c_i32_i8 v199, v235, v210
	v_dot4c_i32_i8 v198, v236, v210
	v_dot4c_i32_i8 v197, v237, v210
	v_dot4c_i32_i8 v200, v234, v211
	v_dot4c_i32_i8 v199, v238, v211
	v_dot4c_i32_i8 v198, v239, v211
	v_dot4c_i32_i8 v197, v240, v211
	ds_read_b128 v[208:211], v142 offset:2064
	s_waitcnt lgkmcnt(0)
	v_dot4c_i32_i8 v175, v5, v208
	v_dot4c_i32_i8 v172, v227, v208
	v_dot4c_i32_i8 v170, v228, v208
	v_dot4c_i32_i8 v168, v229, v208
	v_dot4c_i32_i8 v175, v226, v209
	v_dot4c_i32_i8 v172, v231, v209
	v_dot4c_i32_i8 v170, v232, v209
	v_dot4c_i32_i8 v168, v233, v209
	v_dot4c_i32_i8 v175, v230, v210
	v_dot4c_i32_i8 v172, v235, v210
	v_dot4c_i32_i8 v170, v236, v210
	v_dot4c_i32_i8 v168, v237, v210
	v_dot4c_i32_i8 v175, v234, v211
	;; [unrolled: 18-line block ×6, first 2 shown]
	v_dot4c_i32_i8 v153, v238, v211
	v_dot4c_i32_i8 v154, v239, v211
	;; [unrolled: 1-line block ×3, first 2 shown]
	ds_read_b128 v[208:211], v142 offset:7184
	s_waitcnt lgkmcnt(0)
	v_dot4c_i32_i8 v160, v5, v208
	v_dot4c_i32_i8 v157, v227, v208
	v_dot4c_i32_i8 v158, v228, v208
	v_dot4c_i32_i8 v159, v229, v208
	v_lshrrev_b32_e32 v208, 4, v219
	v_dot4c_i32_i8 v160, v226, v209
	v_dot4c_i32_i8 v157, v231, v209
	v_dot4c_i32_i8 v158, v232, v209
	v_dot4c_i32_i8 v159, v233, v209
	v_lshrrev_b32_e32 v209, 4, v212
	;; [unrolled: 5-line block ×4, first 2 shown]
	v_lshrrev_b32_e32 v5, 4, v218
	v_lshrrev_b32_e32 v212, 4, v221
	;; [unrolled: 1-line block ×7, first 2 shown]
	v_and_b32_e32 v221, 0xf0f0f0f, v208
	v_and_b32_e32 v222, 0xf0f0f0f, v209
	;; [unrolled: 1-line block ×4, first 2 shown]
	ds_read_b128 v[208:211], v142 offset:48
	v_and_b32_e32 v213, 0xf0f0f0f, v213
	v_and_b32_e32 v214, 0xf0f0f0f, v214
	v_lshrrev_b32_e32 v220, 4, v225
	v_and_b32_e32 v5, 0xf0f0f0f, v5
	v_and_b32_e32 v215, 0xf0f0f0f, v215
	;; [unrolled: 1-line block ×6, first 2 shown]
	s_waitcnt lgkmcnt(0)
	v_dot4c_i32_i8 v2, v3, v208
	v_dot4c_i32_i8 v206, v222, v208
	v_dot4c_i32_i8 v204, v213, v208
	v_dot4c_i32_i8 v201, v216, v208
	v_dot4c_i32_i8 v2, v4, v209
	v_dot4c_i32_i8 v206, v223, v209
	v_dot4c_i32_i8 v204, v214, v209
	v_dot4c_i32_i8 v201, v217, v209
	v_dot4c_i32_i8 v2, v5, v210
	v_dot4c_i32_i8 v206, v224, v210
	v_dot4c_i32_i8 v204, v215, v210
	v_dot4c_i32_i8 v201, v219, v210
	v_dot4c_i32_i8 v2, v221, v211
	v_dot4c_i32_i8 v206, v212, v211
	v_dot4c_i32_i8 v204, v218, v211
	v_dot4c_i32_i8 v201, v220, v211
	ds_read_b128 v[208:211], v142 offset:1072
	s_waitcnt lgkmcnt(0)
	v_dot4c_i32_i8 v207, v3, v208
	v_dot4c_i32_i8 v205, v222, v208
	v_dot4c_i32_i8 v203, v213, v208
	v_dot4c_i32_i8 v202, v216, v208
	v_dot4c_i32_i8 v207, v4, v209
	v_dot4c_i32_i8 v205, v223, v209
	v_dot4c_i32_i8 v203, v214, v209
	v_dot4c_i32_i8 v202, v217, v209
	v_dot4c_i32_i8 v207, v5, v210
	v_dot4c_i32_i8 v205, v224, v210
	v_dot4c_i32_i8 v203, v215, v210
	v_dot4c_i32_i8 v202, v219, v210
	v_dot4c_i32_i8 v207, v221, v211
	v_dot4c_i32_i8 v205, v212, v211
	v_dot4c_i32_i8 v203, v218, v211
	v_dot4c_i32_i8 v202, v220, v211
	ds_read_b128 v[208:211], v142 offset:2096
	;; [unrolled: 18-line block ×7, first 2 shown]
	v_add_nc_u32_e32 v142, 64, v142
	s_waitcnt lgkmcnt(0)
	v_dot4c_i32_i8 v30, v222, v208
	v_dot4c_i32_i8 v31, v213, v208
	;; [unrolled: 1-line block ×13, first 2 shown]
	v_add_nc_u32_e32 v212, s1, v121
	v_dot4c_i32_i8 v33, v221, v211
	v_dot4c_i32_i8 v31, v218, v211
	;; [unrolled: 1-line block ×3, first 2 shown]
	s_add_i32 s1, s1, 2
	v_add3_u32 v213, v125, s15, v212
	v_add3_u32 v214, v124, s15, v212
	;; [unrolled: 1-line block ×4, first 2 shown]
	s_add_i32 s15, s11, 8
	ds_read_u16 v3, v213 offset:25088
	s_add_i32 s11, s11, 16
	s_cmp_lt_u32 s11, 24
	s_mov_b32 s11, s15
	s_waitcnt lgkmcnt(0)
	v_and_b32_e32 v209, 0xff, v3
	v_and_b32_sdwa v208, v141, v3 dst_sel:DWORD dst_unused:UNUSED_PAD src0_sel:DWORD src1_sel:BYTE_1
	v_mul_lo_u32 v3, v196, v209
	v_mul_lo_u32 v2, v2, v208
	;; [unrolled: 1-line block ×8, first 2 shown]
	v_cvt_f32_i32_e32 v196, v3
	v_cvt_f32_i32_e32 v210, v2
	ds_read2_b64 v[2:5], v143 offset1:16
	v_cvt_f32_i32_e32 v200, v200
	v_cvt_f32_i32_e32 v207, v207
	;; [unrolled: 1-line block ×6, first 2 shown]
	v_mul_lo_u32 v160, v160, v209
	v_mul_lo_u32 v33, v33, v208
	v_cvt_f32_i32_e32 v33, v33
	s_waitcnt lgkmcnt(0)
	v_fma_mix_f32 v200, v200, v4, 0 op_sel_hi:[0,1,0]
	v_fma_mix_f32 v196, v2, v196, 0 op_sel_hi:[1,0,0]
	v_fma_mix_f32 v200, v207, v5, v200 op_sel_hi:[0,1,0]
	ds_read_u16 v207, v214 offset:25600
	v_fma_mix_f32 v196, v3, v210, v196 op_sel_hi:[1,0,0]
	s_waitcnt lgkmcnt(0)
	v_and_b32_e32 v210, 0xff, v207
	v_and_b32_sdwa v207, v141, v207 dst_sel:DWORD dst_unused:UNUSED_PAD src0_sel:DWORD src1_sel:BYTE_1
	v_mul_lo_u32 v195, v195, v210
	v_mul_lo_u32 v206, v206, v207
	;; [unrolled: 1-line block ×8, first 2 shown]
	v_cvt_f32_i32_e32 v195, v195
	v_cvt_f32_i32_e32 v206, v206
	;; [unrolled: 1-line block ×5, first 2 shown]
	v_fma_mix_f32 v195, v2, v195, 0 op_sel_hi:[1,0,0]
	v_cvt_f32_i32_e32 v188, v188
	v_fma_mix_f32 v199, v199, v4, 0 op_sel_hi:[0,1,0]
	v_cvt_f32_i32_e32 v166, v166
	v_cvt_f32_i32_e32 v165, v165
	v_fma_mix_f32 v195, v3, v206, v195 op_sel_hi:[1,0,0]
	ds_read_u16 v206, v215 offset:26112
	v_mul_lo_u32 v181, v181, v207
	v_mul_lo_u32 v153, v153, v210
	;; [unrolled: 1-line block ×5, first 2 shown]
	v_cvt_f32_i32_e32 v181, v181
	v_cvt_f32_i32_e32 v153, v153
	;; [unrolled: 1-line block ×3, first 2 shown]
	s_waitcnt lgkmcnt(0)
	v_and_b32_e32 v211, 0xff, v206
	v_and_b32_sdwa v206, v141, v206 dst_sel:DWORD dst_unused:UNUSED_PAD src0_sel:DWORD src1_sel:BYTE_1
	v_mul_lo_u32 v194, v194, v211
	v_mul_lo_u32 v204, v204, v206
	;; [unrolled: 1-line block ×8, first 2 shown]
	v_cvt_f32_i32_e32 v194, v194
	v_cvt_f32_i32_e32 v204, v204
	;; [unrolled: 1-line block ×5, first 2 shown]
	v_fma_mix_f32 v194, v2, v194, 0 op_sel_hi:[1,0,0]
	v_cvt_f32_i32_e32 v186, v186
	v_fma_mix_f32 v198, v198, v4, 0 op_sel_hi:[0,1,0]
	v_cvt_f32_i32_e32 v164, v164
	v_mul_lo_u32 v179, v179, v206
	v_fma_mix_f32 v194, v3, v204, v194 op_sel_hi:[1,0,0]
	ds_read_u16 v204, v216 offset:26624
	v_cvt_f32_i32_e32 v163, v163
	v_mul_lo_u32 v154, v154, v211
	v_mul_lo_u32 v27, v27, v206
	;; [unrolled: 1-line block ×4, first 2 shown]
	v_cvt_f32_i32_e32 v179, v179
	v_cvt_f32_i32_e32 v27, v27
	s_waitcnt lgkmcnt(0)
	v_and_b32_e32 v212, 0xff, v204
	v_and_b32_sdwa v204, v141, v204 dst_sel:DWORD dst_unused:UNUSED_PAD src0_sel:DWORD src1_sel:BYTE_1
	v_mul_lo_u32 v193, v193, v212
	v_mul_lo_u32 v201, v201, v204
	;; [unrolled: 1-line block ×8, first 2 shown]
	v_cvt_f32_i32_e32 v193, v193
	v_cvt_f32_i32_e32 v201, v201
	;; [unrolled: 1-line block ×5, first 2 shown]
	v_fma_mix_f32 v193, v2, v193, 0 op_sel_hi:[1,0,0]
	v_cvt_f32_i32_e32 v169, v169
	v_fma_mix_f32 v197, v197, v4, 0 op_sel_hi:[0,1,0]
	v_cvt_f32_i32_e32 v161, v161
	v_cvt_f32_i32_e32 v177, v177
	v_fma_mix_f32 v193, v3, v201, v193 op_sel_hi:[1,0,0]
	v_mul_lo_u32 v201, v205, v207
	v_mul_lo_u32 v162, v162, v212
	;; [unrolled: 1-line block ×6, first 2 shown]
	v_cvt_f32_i32_e32 v201, v201
	v_cvt_f32_i32_e32 v162, v162
	;; [unrolled: 1-line block ×3, first 2 shown]
	v_fma_mix_f32 v199, v201, v5, v199 op_sel_hi:[0,1,0]
	v_mul_lo_u32 v201, v203, v206
	v_cvt_f32_i32_e32 v201, v201
	v_fma_mix_f32 v198, v201, v5, v198 op_sel_hi:[0,1,0]
	v_mul_lo_u32 v201, v202, v204
	v_cvt_f32_i32_e32 v201, v201
	v_fma_mix_f32 v197, v201, v5, v197 op_sel_hi:[0,1,0]
	ds_read_u16 v202, v213 offset:25096
	ds_read_u16 v201, v214 offset:25608
	;; [unrolled: 1-line block ×4, first 2 shown]
	s_waitcnt lgkmcnt(3)
	v_cvt_f32_ubyte0_e32 v213, v202
	s_waitcnt lgkmcnt(2)
	v_cvt_f32_ubyte0_e32 v214, v201
	;; [unrolled: 2-line block ×4, first 2 shown]
	v_cvt_f32_ubyte1_e32 v205, v205
	v_fma_mix_f32 v217, v2, v213, 0 op_sel:[1,0,0] op_sel_hi:[1,0,0]
	v_fma_mix_f32 v218, v2, v214, 0 op_sel:[1,0,0] op_sel_hi:[1,0,0]
	;; [unrolled: 1-line block ×4, first 2 shown]
	v_cvt_f32_ubyte1_e32 v202, v202
	v_cvt_f32_ubyte1_e32 v201, v201
	v_cvt_f32_ubyte1_e32 v203, v203
	v_fma_mix_f32 v220, v3, v205, v2 op_sel:[1,0,0] op_sel_hi:[1,0,0]
	v_fma_mix_f32 v2, v213, v4, 0 op_sel:[0,1,0] op_sel_hi:[0,1,0]
	;; [unrolled: 1-line block ×12, first 2 shown]
	v_mul_lo_u32 v2, v175, v209
	v_mul_lo_u32 v175, v191, v208
	v_cvt_f32_i32_e32 v191, v2
	ds_read2_b64 v[2:5], v143 offset0:32 offset1:48
	v_cvt_f32_i32_e32 v175, v175
	s_waitcnt lgkmcnt(0)
	v_fma_mix_f32 v168, v168, v2, 0 op_sel_hi:[0,1,0]
	v_fma_mix_f32 v174, v174, v4, 0 op_sel_hi:[0,1,0]
	;; [unrolled: 1-line block ×6, first 2 shown]
	v_mul_lo_u32 v184, v190, v207
	v_fma_mix_f32 v191, v191, v2, 0 op_sel_hi:[0,1,0]
	v_fma_mix_f32 v172, v172, v2, 0 op_sel_hi:[0,1,0]
	;; [unrolled: 1-line block ×3, first 2 shown]
	v_fma_mix_f32 v186, v215, v2, 0 op_sel:[0,1,0] op_sel_hi:[0,1,0]
	v_fma_mix_f32 v176, v176, v4, 0 op_sel_hi:[0,1,0]
	v_fma_mix_f32 v175, v175, v3, v191 op_sel_hi:[0,1,0]
	v_mul_lo_u32 v191, v192, v208
	v_cvt_f32_i32_e32 v184, v184
	v_fma_mix_f32 v172, v188, v3, v172 op_sel_hi:[0,1,0]
	v_fma_mix_f32 v186, v203, v3, v186 op_sel:[0,1,0] op_sel_hi:[0,1,0]
	v_fma_mix_f32 v174, v184, v5, v174 op_sel_hi:[0,1,0]
	v_mul_lo_u32 v184, v187, v206
	v_cvt_f32_i32_e32 v191, v191
	v_fma_mix_f32 v176, v191, v5, v176 op_sel_hi:[0,1,0]
	v_cvt_f32_i32_e32 v184, v184
	v_fma_mix_f32 v171, v184, v5, v171 op_sel_hi:[0,1,0]
	v_mul_lo_u32 v184, v185, v204
	v_fma_mix_f32 v185, v214, v2, 0 op_sel:[0,1,0] op_sel_hi:[0,1,0]
	v_fma_mix_f32 v185, v201, v3, v185 op_sel:[0,1,0] op_sel_hi:[0,1,0]
	v_cvt_f32_i32_e32 v184, v184
	v_fma_mix_f32 v169, v184, v5, v169 op_sel_hi:[0,1,0]
	v_fma_mix_f32 v184, v213, v2, 0 op_sel:[0,1,0] op_sel_hi:[0,1,0]
	v_fma_mix_f32 v2, v216, v2, 0 op_sel:[0,1,0] op_sel_hi:[0,1,0]
	;; [unrolled: 1-line block ×12, first 2 shown]
	v_mul_lo_u32 v2, v167, v209
	v_mul_lo_u32 v167, v183, v208
	v_cvt_f32_i32_e32 v183, v2
	ds_read2_b64 v[2:5], v143 offset0:64 offset1:80
	v_cvt_f32_i32_e32 v167, v167
	s_waitcnt lgkmcnt(0)
	v_fma_mix_f32 v161, v161, v2, 0 op_sel_hi:[0,1,0]
	v_fma_mix_f32 v166, v166, v4, 0 op_sel_hi:[0,1,0]
	;; [unrolled: 1-line block ×6, first 2 shown]
	v_mul_lo_u32 v177, v182, v207
	v_fma_mix_f32 v183, v183, v2, 0 op_sel_hi:[0,1,0]
	v_fma_mix_f32 v165, v165, v2, 0 op_sel_hi:[0,1,0]
	;; [unrolled: 1-line block ×3, first 2 shown]
	v_fma_mix_f32 v179, v215, v2, 0 op_sel:[0,1,0] op_sel_hi:[0,1,0]
	v_fma_mix_f32 v173, v173, v4, 0 op_sel_hi:[0,1,0]
	v_fma_mix_f32 v167, v167, v3, v183 op_sel_hi:[0,1,0]
	v_mul_lo_u32 v183, v189, v208
	v_cvt_f32_i32_e32 v177, v177
	v_fma_mix_f32 v165, v181, v3, v165 op_sel_hi:[0,1,0]
	v_fma_mix_f32 v179, v203, v3, v179 op_sel:[0,1,0] op_sel_hi:[0,1,0]
	v_fma_mix_f32 v166, v177, v5, v166 op_sel_hi:[0,1,0]
	v_mul_lo_u32 v177, v180, v206
	v_cvt_f32_i32_e32 v183, v183
	v_fma_mix_f32 v173, v183, v5, v173 op_sel_hi:[0,1,0]
	v_cvt_f32_i32_e32 v177, v177
	v_fma_mix_f32 v164, v177, v5, v164 op_sel_hi:[0,1,0]
	v_mul_lo_u32 v177, v178, v204
	v_fma_mix_f32 v178, v214, v2, 0 op_sel:[0,1,0] op_sel_hi:[0,1,0]
	v_fma_mix_f32 v178, v201, v3, v178 op_sel:[0,1,0] op_sel_hi:[0,1,0]
	v_cvt_f32_i32_e32 v177, v177
	v_fma_mix_f32 v162, v177, v5, v162 op_sel_hi:[0,1,0]
	v_fma_mix_f32 v177, v213, v2, 0 op_sel:[0,1,0] op_sel_hi:[0,1,0]
	v_fma_mix_f32 v2, v216, v2, 0 op_sel:[0,1,0] op_sel_hi:[0,1,0]
	;; [unrolled: 1-line block ×12, first 2 shown]
	ds_read2_b64 v[2:5], v143 offset0:96 offset1:112
	v_add_nc_u32_e32 v143, 8, v143
	s_waitcnt lgkmcnt(0)
	v_fma_mix_f32 v153, v153, v2, 0 op_sel_hi:[0,1,0]
	v_fma_mix_f32 v225, v213, v2, 0 op_sel:[0,1,0] op_sel_hi:[0,1,0]
	v_fma_mix_f32 v213, v213, v4, 0 op_sel:[0,1,0] op_sel_hi:[0,1,0]
	v_fma_mix_f32 v156, v156, v2, 0 op_sel_hi:[0,1,0]
	v_fma_mix_f32 v26, v26, v3, v153 op_sel_hi:[0,1,0]
	v_cvt_f32_i32_e32 v153, v154
	v_fma_mix_f32 v225, v202, v3, v225 op_sel:[0,1,0] op_sel_hi:[0,1,0]
	v_fma_mix_f32 v202, v202, v5, v213 op_sel:[0,1,0] op_sel_hi:[0,1,0]
	;; [unrolled: 1-line block ×4, first 2 shown]
	v_fma_mix_f32 v153, v153, v2, 0 op_sel_hi:[0,1,0]
	v_fma_mix_f32 v29, v29, v3, v156 op_sel_hi:[0,1,0]
	v_cvt_f32_i32_e32 v156, v160
	v_fma_mix_f32 v213, v201, v3, v213 op_sel:[0,1,0] op_sel_hi:[0,1,0]
	v_fma_mix_f32 v201, v201, v5, v214 op_sel:[0,1,0] op_sel_hi:[0,1,0]
	;; [unrolled: 1-line block ×4, first 2 shown]
	v_fma_mix_f32 v27, v27, v3, v153 op_sel_hi:[0,1,0]
	v_cvt_f32_i32_e32 v153, v155
	v_mul_f32_e32 v155, v225, v145
	v_fma_mix_f32 v214, v203, v3, v214 op_sel:[0,1,0] op_sel_hi:[0,1,0]
	v_fma_mix_f32 v203, v203, v5, v215 op_sel:[0,1,0] op_sel_hi:[0,1,0]
	;; [unrolled: 1-line block ×3, first 2 shown]
	v_fma_mix_f32 v2, v153, v2, 0 op_sel_hi:[0,1,0]
	v_mul_f32_e32 v153, v177, v145
	v_fma_f32 v29, v29, v144, -v155
	v_fma_mix_f32 v216, v216, v4, 0 op_sel:[0,1,0] op_sel_hi:[0,1,0]
	v_fma_mix_f32 v215, v205, v3, v215 op_sel:[0,1,0] op_sel_hi:[0,1,0]
	v_fma_mix_f32 v2, v28, v3, v2 op_sel_hi:[0,1,0]
	v_cvt_f32_i32_e32 v3, v157
	v_cvt_f32_i32_e32 v28, v30
	;; [unrolled: 1-line block ×3, first 2 shown]
	v_fma_f32 v153, v167, v144, -v153
	v_add_f32_e32 v41, v41, v29
	v_fma_mix_f32 v3, v3, v4, 0 op_sel_hi:[0,1,0]
	v_mul_f32_e32 v29, v213, v146
	v_fma_mix_f32 v156, v156, v4, 0 op_sel_hi:[0,1,0]
	v_add_f32_e32 v50, v50, v153
	v_mul_f32_e32 v153, v178, v146
	v_fma_mix_f32 v3, v28, v5, v3 op_sel_hi:[0,1,0]
	v_cvt_f32_i32_e32 v28, v158
	v_fma_f32 v26, v26, v147, -v29
	v_mul_f32_e32 v29, v214, v148
	v_fma_f32 v153, v165, v147, -v153
	v_mul_f32_e32 v165, v179, v148
	v_fma_mix_f32 v28, v28, v4, 0 op_sel_hi:[0,1,0]
	v_fma_mix_f32 v205, v205, v5, v216 op_sel:[0,1,0] op_sel_hi:[0,1,0]
	v_fma_f32 v27, v27, v149, -v29
	v_mul_f32_e32 v29, v215, v150
	v_fma_mix_f32 v33, v33, v5, v156 op_sel_hi:[0,1,0]
	v_fma_mix_f32 v28, v30, v5, v28 op_sel_hi:[0,1,0]
	v_cvt_f32_i32_e32 v30, v159
	v_mul_f32_e32 v31, v184, v145
	v_mul_f32_e32 v154, v181, v145
	v_fma_f32 v163, v163, v149, -v165
	v_mul_f32_e32 v165, v180, v150
	v_fma_mix_f32 v4, v30, v4, 0 op_sel_hi:[0,1,0]
	v_cvt_f32_i32_e32 v30, v32
	v_mul_f32_e32 v32, v188, v145
	v_fma_f32 v2, v2, v151, -v29
	v_mul_f32_e32 v29, v201, v146
	v_fma_f32 v31, v175, v144, -v31
	v_fma_mix_f32 v4, v30, v5, v4 op_sel_hi:[0,1,0]
	v_mul_f32_e32 v5, v217, v145
	v_mul_f32_e32 v30, v221, v145
	v_fma_f32 v32, v176, v144, -v32
	v_fma_f32 v154, v173, v144, -v154
	v_mul_f32_e32 v155, v202, v145
	v_fma_f32 v5, v196, v144, -v5
	v_fma_f32 v30, v200, v144, -v30
	v_mul_f32_e32 v160, v187, v150
	v_fma_f32 v161, v161, v151, -v165
	v_mul_f32_e32 v165, v183, v148
	;; [unrolled: 2-line block ×3, first 2 shown]
	v_fma_f32 v33, v33, v144, -v155
	v_add_f32_e32 v91, v91, v5
	v_mul_f32_e32 v5, v218, v146
	v_mul_f32_e32 v155, v219, v148
	;; [unrolled: 1-line block ×3, first 2 shown]
	v_add_f32_e32 v83, v83, v30
	v_mul_f32_e32 v30, v222, v146
	v_mul_f32_e32 v157, v223, v148
	;; [unrolled: 1-line block ×3, first 2 shown]
	v_add_f32_e32 v73, v73, v31
	v_mul_f32_e32 v31, v185, v146
	v_mul_f32_e32 v159, v186, v148
	v_fma_f32 v160, v168, v151, -v160
	v_add_f32_e32 v61, v61, v32
	v_mul_f32_e32 v32, v190, v146
	v_mul_f32_e32 v167, v191, v148
	;; [unrolled: 1-line block ×3, first 2 shown]
	v_add_f32_e32 v46, v46, v154
	v_mul_f32_e32 v154, v182, v146
	v_fma_f32 v164, v164, v149, -v165
	v_mul_f32_e32 v165, v189, v150
	v_fma_f32 v28, v28, v149, -v29
	;; [unrolled: 2-line block ×3, first 2 shown]
	v_fma_f32 v155, v194, v149, -v155
	v_fma_f32 v156, v193, v151, -v156
	;; [unrolled: 1-line block ×13, first 2 shown]
	v_add_f32_e32 v37, v37, v33
	v_add_f32_e32 v87, v87, v5
	;; [unrolled: 1-line block ×25, first 2 shown]
	s_cbranch_scc1 .LBB132_8
; %bb.9:                                ;   in Loop: Header=BB132_5 Depth=1
	s_add_i32 s9, s9, 1
	s_cmp_eq_u32 s9, s4
	s_barrier
	buffer_gl0_inv
	s_cbranch_scc0 .LBB132_5
; %bb.10:
	v_mov_b32_e32 v2, v44
.LBB132_11:
	s_mov_b32 s0, exec_lo
	v_cmpx_gt_u32_e64 s10, v2
	s_cbranch_execz .LBB132_62
; %bb.12:
	v_add_nc_u32_e32 v0, s6, v0
	v_mul_lo_u32 v5, v2, s14
	v_cmp_gt_u32_e32 vcc_lo, s14, v0
	s_and_saveexec_b32 s1, vcc_lo
	s_cbranch_execz .LBB132_14
; %bb.13:
	v_add_nc_u32_e32 v2, v0, v5
	v_mov_b32_e32 v3, 0
	v_lshlrev_b64 v[2:3], 2, v[2:3]
	s_waitcnt lgkmcnt(0)
	v_add_co_u32 v2, s0, s12, v2
	v_add_co_ci_u32_e64 v3, null, s13, v3, s0
	global_store_dword v[2:3], v91, off
.LBB132_14:
	s_or_b32 exec_lo, exec_lo, s1
	v_add_nc_u32_e32 v2, 32, v0
	v_cmp_gt_u32_e64 s0, s14, v2
	s_and_saveexec_b32 s2, s0
	s_cbranch_execz .LBB132_16
; %bb.15:
	v_add_nc_u32_e32 v3, v2, v5
	v_mov_b32_e32 v4, 0
	v_lshlrev_b64 v[3:4], 2, v[3:4]
	s_waitcnt lgkmcnt(0)
	v_add_co_u32 v3, s1, s12, v3
	v_add_co_ci_u32_e64 v4, null, s13, v4, s1
	global_store_dword v[3:4], v87, off
.LBB132_16:
	s_or_b32 exec_lo, exec_lo, s2
	v_add_nc_u32_e32 v3, 64, v0
	v_cmp_gt_u32_e64 s1, s14, v3
	s_and_saveexec_b32 s3, s1
	;; [unrolled: 14-line block ×3, first 2 shown]
	s_cbranch_execz .LBB132_20
; %bb.19:
	v_add_nc_u32_e32 v5, v4, v5
	v_mov_b32_e32 v6, 0
	v_lshlrev_b64 v[5:6], 2, v[5:6]
	s_waitcnt lgkmcnt(0)
	v_add_co_u32 v5, s3, s12, v5
	v_add_co_ci_u32_e64 v6, null, s13, v6, s3
	global_store_dword v[5:6], v84, off
.LBB132_20:
	s_or_b32 exec_lo, exec_lo, s4
	v_add3_u32 v5, v1, s7, 8
	v_cmp_gt_u32_e64 s3, s10, v5
	s_and_b32 exec_lo, exec_lo, s3
	s_cbranch_execz .LBB132_62
; %bb.21:
	v_mul_lo_u32 v5, v5, s14
	s_and_saveexec_b32 s4, vcc_lo
	s_cbranch_execnz .LBB132_63
; %bb.22:
	s_or_b32 exec_lo, exec_lo, s4
	s_and_saveexec_b32 s4, s0
	s_cbranch_execnz .LBB132_64
.LBB132_23:
	s_or_b32 exec_lo, exec_lo, s4
	s_and_saveexec_b32 s4, s1
	s_cbranch_execnz .LBB132_65
.LBB132_24:
	s_or_b32 exec_lo, exec_lo, s4
	s_and_saveexec_b32 s4, s2
	s_cbranch_execz .LBB132_26
.LBB132_25:
	v_add_nc_u32_e32 v5, v5, v4
	v_mov_b32_e32 v6, 0
	v_lshlrev_b64 v[5:6], 2, v[5:6]
	s_waitcnt lgkmcnt(0)
	v_add_co_u32 v5, s3, s12, v5
	v_add_co_ci_u32_e64 v6, null, s13, v6, s3
	global_store_dword v[5:6], v77, off
.LBB132_26:
	s_or_b32 exec_lo, exec_lo, s4
	v_add3_u32 v5, v1, s7, 16
	v_cmp_gt_u32_e64 s3, s10, v5
	s_and_b32 exec_lo, exec_lo, s3
	s_cbranch_execz .LBB132_62
; %bb.27:
	v_mul_lo_u32 v5, v5, s14
	s_and_saveexec_b32 s4, vcc_lo
	s_cbranch_execnz .LBB132_66
; %bb.28:
	s_or_b32 exec_lo, exec_lo, s4
	s_and_saveexec_b32 s4, s0
	s_cbranch_execnz .LBB132_67
.LBB132_29:
	s_or_b32 exec_lo, exec_lo, s4
	s_and_saveexec_b32 s4, s1
	s_cbranch_execnz .LBB132_68
.LBB132_30:
	s_or_b32 exec_lo, exec_lo, s4
	s_and_saveexec_b32 s4, s2
	s_cbranch_execz .LBB132_32
.LBB132_31:
	v_add_nc_u32_e32 v5, v5, v4
	v_mov_b32_e32 v6, 0
	v_lshlrev_b64 v[5:6], 2, v[5:6]
	s_waitcnt lgkmcnt(0)
	v_add_co_u32 v5, s3, s12, v5
	v_add_co_ci_u32_e64 v6, null, s13, v6, s3
	global_store_dword v[5:6], v65, off
.LBB132_32:
	s_or_b32 exec_lo, exec_lo, s4
	v_add3_u32 v5, v1, s7, 24
	v_cmp_gt_u32_e64 s3, s10, v5
	s_and_b32 exec_lo, exec_lo, s3
	s_cbranch_execz .LBB132_62
; %bb.33:
	v_mul_lo_u32 v5, v5, s14
	s_and_saveexec_b32 s4, vcc_lo
	s_cbranch_execnz .LBB132_69
; %bb.34:
	s_or_b32 exec_lo, exec_lo, s4
	s_and_saveexec_b32 s4, s0
	s_cbranch_execnz .LBB132_70
.LBB132_35:
	s_or_b32 exec_lo, exec_lo, s4
	s_and_saveexec_b32 s4, s1
	s_cbranch_execnz .LBB132_71
.LBB132_36:
	s_or_b32 exec_lo, exec_lo, s4
	s_and_saveexec_b32 s4, s2
	s_cbranch_execz .LBB132_38
.LBB132_37:
	v_add_nc_u32_e32 v5, v5, v4
	v_mov_b32_e32 v6, 0
	v_lshlrev_b64 v[5:6], 2, v[5:6]
	s_waitcnt lgkmcnt(0)
	v_add_co_u32 v5, s3, s12, v5
	v_add_co_ci_u32_e64 v6, null, s13, v6, s3
	global_store_dword v[5:6], v52, off
.LBB132_38:
	s_or_b32 exec_lo, exec_lo, s4
	v_add3_u32 v5, v1, s7, 32
	v_cmp_gt_u32_e64 s3, s10, v5
	s_and_b32 exec_lo, exec_lo, s3
	s_cbranch_execz .LBB132_62
; %bb.39:
	v_mul_lo_u32 v5, v5, s14
	s_and_saveexec_b32 s4, vcc_lo
	s_cbranch_execnz .LBB132_72
; %bb.40:
	s_or_b32 exec_lo, exec_lo, s4
	s_and_saveexec_b32 s4, s0
	s_cbranch_execnz .LBB132_73
.LBB132_41:
	s_or_b32 exec_lo, exec_lo, s4
	s_and_saveexec_b32 s4, s1
	s_cbranch_execnz .LBB132_74
.LBB132_42:
	s_or_b32 exec_lo, exec_lo, s4
	s_and_saveexec_b32 s4, s2
	s_cbranch_execz .LBB132_44
.LBB132_43:
	v_add_nc_u32_e32 v5, v5, v4
	v_mov_b32_e32 v6, 0
	v_lshlrev_b64 v[5:6], 2, v[5:6]
	s_waitcnt lgkmcnt(0)
	v_add_co_u32 v5, s3, s12, v5
	v_add_co_ci_u32_e64 v6, null, s13, v6, s3
	global_store_dword v[5:6], v47, off
.LBB132_44:
	s_or_b32 exec_lo, exec_lo, s4
	v_add3_u32 v5, v1, s7, 40
	v_cmp_gt_u32_e64 s3, s10, v5
	s_and_b32 exec_lo, exec_lo, s3
	s_cbranch_execz .LBB132_62
; %bb.45:
	v_mul_lo_u32 v5, v5, s14
	s_and_saveexec_b32 s4, vcc_lo
	s_cbranch_execnz .LBB132_75
; %bb.46:
	s_or_b32 exec_lo, exec_lo, s4
	s_and_saveexec_b32 s4, s0
	s_cbranch_execnz .LBB132_76
.LBB132_47:
	s_or_b32 exec_lo, exec_lo, s4
	s_and_saveexec_b32 s4, s1
	s_cbranch_execnz .LBB132_77
.LBB132_48:
	s_or_b32 exec_lo, exec_lo, s4
	s_and_saveexec_b32 s4, s2
	s_cbranch_execz .LBB132_50
.LBB132_49:
	v_add_nc_u32_e32 v5, v5, v4
	v_mov_b32_e32 v6, 0
	v_lshlrev_b64 v[5:6], 2, v[5:6]
	s_waitcnt lgkmcnt(0)
	v_add_co_u32 v5, s3, s12, v5
	v_add_co_ci_u32_e64 v6, null, s13, v6, s3
	global_store_dword v[5:6], v42, off
.LBB132_50:
	s_or_b32 exec_lo, exec_lo, s4
	v_add3_u32 v5, v1, s7, 48
	v_cmp_gt_u32_e64 s3, s10, v5
	s_and_b32 exec_lo, exec_lo, s3
	s_cbranch_execz .LBB132_62
; %bb.51:
	v_mul_lo_u32 v5, v5, s14
	s_and_saveexec_b32 s4, vcc_lo
	s_cbranch_execnz .LBB132_78
; %bb.52:
	s_or_b32 exec_lo, exec_lo, s4
	s_and_saveexec_b32 s4, s0
	s_cbranch_execnz .LBB132_79
.LBB132_53:
	s_or_b32 exec_lo, exec_lo, s4
	s_and_saveexec_b32 s4, s1
	s_cbranch_execnz .LBB132_80
.LBB132_54:
	s_or_b32 exec_lo, exec_lo, s4
	s_and_saveexec_b32 s4, s2
	s_cbranch_execz .LBB132_56
.LBB132_55:
	v_add_nc_u32_e32 v5, v5, v4
	v_mov_b32_e32 v6, 0
	v_lshlrev_b64 v[5:6], 2, v[5:6]
	s_waitcnt lgkmcnt(0)
	v_add_co_u32 v5, s3, s12, v5
	v_add_co_ci_u32_e64 v6, null, s13, v6, s3
	global_store_dword v[5:6], v38, off
.LBB132_56:
	s_or_b32 exec_lo, exec_lo, s4
	v_add3_u32 v1, v1, s7, 56
	v_cmp_gt_u32_e64 s3, s10, v1
	s_and_b32 exec_lo, exec_lo, s3
	s_cbranch_execz .LBB132_62
; %bb.57:
	v_mul_lo_u32 v1, v1, s14
	s_and_saveexec_b32 s3, vcc_lo
	s_cbranch_execnz .LBB132_81
; %bb.58:
	s_or_b32 exec_lo, exec_lo, s3
	s_and_saveexec_b32 s3, s0
	s_cbranch_execnz .LBB132_82
.LBB132_59:
	s_or_b32 exec_lo, exec_lo, s3
	s_and_saveexec_b32 s0, s1
	s_cbranch_execnz .LBB132_83
.LBB132_60:
	s_or_b32 exec_lo, exec_lo, s0
	s_and_b32 exec_lo, exec_lo, s2
	s_cbranch_execz .LBB132_62
.LBB132_61:
	v_add_nc_u32_e32 v0, v1, v4
	v_mov_b32_e32 v1, 0
	v_lshlrev_b64 v[0:1], 2, v[0:1]
	s_waitcnt lgkmcnt(0)
	v_add_co_u32 v0, vcc_lo, s12, v0
	v_add_co_ci_u32_e64 v1, null, s13, v1, vcc_lo
	global_store_dword v[0:1], v34, off
.LBB132_62:
	s_endpgm
.LBB132_63:
	v_add_nc_u32_e32 v6, v5, v0
	v_mov_b32_e32 v7, 0
	v_lshlrev_b64 v[6:7], 2, v[6:7]
	s_waitcnt lgkmcnt(0)
	v_add_co_u32 v6, s3, s12, v6
	v_add_co_ci_u32_e64 v7, null, s13, v7, s3
	global_store_dword v[6:7], v83, off
	s_or_b32 exec_lo, exec_lo, s4
	s_and_saveexec_b32 s4, s0
	s_cbranch_execz .LBB132_23
.LBB132_64:
	v_add_nc_u32_e32 v6, v5, v2
	v_mov_b32_e32 v7, 0
	v_lshlrev_b64 v[6:7], 2, v[6:7]
	s_waitcnt lgkmcnt(0)
	v_add_co_u32 v6, s3, s12, v6
	v_add_co_ci_u32_e64 v7, null, s13, v7, s3
	global_store_dword v[6:7], v82, off
	s_or_b32 exec_lo, exec_lo, s4
	s_and_saveexec_b32 s4, s1
	s_cbranch_execz .LBB132_24
.LBB132_65:
	v_add_nc_u32_e32 v6, v5, v3
	v_mov_b32_e32 v7, 0
	v_lshlrev_b64 v[6:7], 2, v[6:7]
	s_waitcnt lgkmcnt(0)
	v_add_co_u32 v6, s3, s12, v6
	v_add_co_ci_u32_e64 v7, null, s13, v7, s3
	global_store_dword v[6:7], v81, off
	s_or_b32 exec_lo, exec_lo, s4
	s_and_saveexec_b32 s4, s2
	s_cbranch_execnz .LBB132_25
	s_branch .LBB132_26
.LBB132_66:
	v_add_nc_u32_e32 v6, v5, v0
	v_mov_b32_e32 v7, 0
	v_lshlrev_b64 v[6:7], 2, v[6:7]
	s_waitcnt lgkmcnt(0)
	v_add_co_u32 v6, s3, s12, v6
	v_add_co_ci_u32_e64 v7, null, s13, v7, s3
	global_store_dword v[6:7], v73, off
	s_or_b32 exec_lo, exec_lo, s4
	s_and_saveexec_b32 s4, s0
	s_cbranch_execz .LBB132_29
.LBB132_67:
	v_add_nc_u32_e32 v6, v5, v2
	v_mov_b32_e32 v7, 0
	v_lshlrev_b64 v[6:7], 2, v[6:7]
	s_waitcnt lgkmcnt(0)
	v_add_co_u32 v6, s3, s12, v6
	v_add_co_ci_u32_e64 v7, null, s13, v7, s3
	global_store_dword v[6:7], v68, off
	s_or_b32 exec_lo, exec_lo, s4
	s_and_saveexec_b32 s4, s1
	s_cbranch_execz .LBB132_30
.LBB132_68:
	v_add_nc_u32_e32 v6, v5, v3
	v_mov_b32_e32 v7, 0
	v_lshlrev_b64 v[6:7], 2, v[6:7]
	s_waitcnt lgkmcnt(0)
	v_add_co_u32 v6, s3, s12, v6
	v_add_co_ci_u32_e64 v7, null, s13, v7, s3
	global_store_dword v[6:7], v66, off
	s_or_b32 exec_lo, exec_lo, s4
	s_and_saveexec_b32 s4, s2
	s_cbranch_execnz .LBB132_31
	s_branch .LBB132_32
.LBB132_69:
	v_add_nc_u32_e32 v6, v5, v0
	v_mov_b32_e32 v7, 0
	v_lshlrev_b64 v[6:7], 2, v[6:7]
	s_waitcnt lgkmcnt(0)
	v_add_co_u32 v6, s3, s12, v6
	v_add_co_ci_u32_e64 v7, null, s13, v7, s3
	global_store_dword v[6:7], v61, off
	s_or_b32 exec_lo, exec_lo, s4
	s_and_saveexec_b32 s4, s0
	s_cbranch_execz .LBB132_35
.LBB132_70:
	v_add_nc_u32_e32 v6, v5, v2
	v_mov_b32_e32 v7, 0
	v_lshlrev_b64 v[6:7], 2, v[6:7]
	s_waitcnt lgkmcnt(0)
	v_add_co_u32 v6, s3, s12, v6
	v_add_co_ci_u32_e64 v7, null, s13, v7, s3
	global_store_dword v[6:7], v56, off
	s_or_b32 exec_lo, exec_lo, s4
	s_and_saveexec_b32 s4, s1
	s_cbranch_execz .LBB132_36
.LBB132_71:
	v_add_nc_u32_e32 v6, v5, v3
	v_mov_b32_e32 v7, 0
	v_lshlrev_b64 v[6:7], 2, v[6:7]
	s_waitcnt lgkmcnt(0)
	v_add_co_u32 v6, s3, s12, v6
	v_add_co_ci_u32_e64 v7, null, s13, v7, s3
	global_store_dword v[6:7], v53, off
	s_or_b32 exec_lo, exec_lo, s4
	s_and_saveexec_b32 s4, s2
	s_cbranch_execnz .LBB132_37
	s_branch .LBB132_38
.LBB132_72:
	v_add_nc_u32_e32 v6, v5, v0
	v_mov_b32_e32 v7, 0
	v_lshlrev_b64 v[6:7], 2, v[6:7]
	s_waitcnt lgkmcnt(0)
	v_add_co_u32 v6, s3, s12, v6
	v_add_co_ci_u32_e64 v7, null, s13, v7, s3
	global_store_dword v[6:7], v50, off
	s_or_b32 exec_lo, exec_lo, s4
	s_and_saveexec_b32 s4, s0
	s_cbranch_execz .LBB132_41
.LBB132_73:
	v_add_nc_u32_e32 v6, v5, v2
	v_mov_b32_e32 v7, 0
	v_lshlrev_b64 v[6:7], 2, v[6:7]
	s_waitcnt lgkmcnt(0)
	v_add_co_u32 v6, s3, s12, v6
	v_add_co_ci_u32_e64 v7, null, s13, v7, s3
	global_store_dword v[6:7], v49, off
	s_or_b32 exec_lo, exec_lo, s4
	s_and_saveexec_b32 s4, s1
	s_cbranch_execz .LBB132_42
.LBB132_74:
	v_add_nc_u32_e32 v6, v5, v3
	v_mov_b32_e32 v7, 0
	v_lshlrev_b64 v[6:7], 2, v[6:7]
	s_waitcnt lgkmcnt(0)
	v_add_co_u32 v6, s3, s12, v6
	v_add_co_ci_u32_e64 v7, null, s13, v7, s3
	global_store_dword v[6:7], v48, off
	s_or_b32 exec_lo, exec_lo, s4
	s_and_saveexec_b32 s4, s2
	s_cbranch_execnz .LBB132_43
	s_branch .LBB132_44
.LBB132_75:
	v_add_nc_u32_e32 v6, v5, v0
	v_mov_b32_e32 v7, 0
	v_lshlrev_b64 v[6:7], 2, v[6:7]
	s_waitcnt lgkmcnt(0)
	v_add_co_u32 v6, s3, s12, v6
	v_add_co_ci_u32_e64 v7, null, s13, v7, s3
	global_store_dword v[6:7], v46, off
	s_or_b32 exec_lo, exec_lo, s4
	s_and_saveexec_b32 s4, s0
	s_cbranch_execz .LBB132_47
.LBB132_76:
	v_add_nc_u32_e32 v6, v5, v2
	v_mov_b32_e32 v7, 0
	v_lshlrev_b64 v[6:7], 2, v[6:7]
	s_waitcnt lgkmcnt(0)
	v_add_co_u32 v6, s3, s12, v6
	v_add_co_ci_u32_e64 v7, null, s13, v7, s3
	global_store_dword v[6:7], v45, off
	s_or_b32 exec_lo, exec_lo, s4
	s_and_saveexec_b32 s4, s1
	s_cbranch_execz .LBB132_48
.LBB132_77:
	v_add_nc_u32_e32 v6, v5, v3
	v_mov_b32_e32 v7, 0
	v_lshlrev_b64 v[6:7], 2, v[6:7]
	s_waitcnt lgkmcnt(0)
	v_add_co_u32 v6, s3, s12, v6
	v_add_co_ci_u32_e64 v7, null, s13, v7, s3
	global_store_dword v[6:7], v43, off
	s_or_b32 exec_lo, exec_lo, s4
	s_and_saveexec_b32 s4, s2
	s_cbranch_execnz .LBB132_49
	s_branch .LBB132_50
.LBB132_78:
	v_add_nc_u32_e32 v6, v5, v0
	v_mov_b32_e32 v7, 0
	v_lshlrev_b64 v[6:7], 2, v[6:7]
	s_waitcnt lgkmcnt(0)
	v_add_co_u32 v6, s3, s12, v6
	v_add_co_ci_u32_e64 v7, null, s13, v7, s3
	global_store_dword v[6:7], v41, off
	s_or_b32 exec_lo, exec_lo, s4
	s_and_saveexec_b32 s4, s0
	s_cbranch_execz .LBB132_53
.LBB132_79:
	v_add_nc_u32_e32 v6, v5, v2
	v_mov_b32_e32 v7, 0
	v_lshlrev_b64 v[6:7], 2, v[6:7]
	s_waitcnt lgkmcnt(0)
	v_add_co_u32 v6, s3, s12, v6
	v_add_co_ci_u32_e64 v7, null, s13, v7, s3
	global_store_dword v[6:7], v40, off
	s_or_b32 exec_lo, exec_lo, s4
	s_and_saveexec_b32 s4, s1
	s_cbranch_execz .LBB132_54
.LBB132_80:
	v_add_nc_u32_e32 v6, v5, v3
	v_mov_b32_e32 v7, 0
	v_lshlrev_b64 v[6:7], 2, v[6:7]
	s_waitcnt lgkmcnt(0)
	v_add_co_u32 v6, s3, s12, v6
	v_add_co_ci_u32_e64 v7, null, s13, v7, s3
	global_store_dword v[6:7], v39, off
	s_or_b32 exec_lo, exec_lo, s4
	s_and_saveexec_b32 s4, s2
	s_cbranch_execnz .LBB132_55
	s_branch .LBB132_56
.LBB132_81:
	v_add_nc_u32_e32 v5, v1, v0
	v_mov_b32_e32 v6, 0
	v_lshlrev_b64 v[5:6], 2, v[5:6]
	s_waitcnt lgkmcnt(0)
	v_add_co_u32 v5, vcc_lo, s12, v5
	v_add_co_ci_u32_e64 v6, null, s13, v6, vcc_lo
	global_store_dword v[5:6], v37, off
	s_or_b32 exec_lo, exec_lo, s3
	s_and_saveexec_b32 s3, s0
	s_cbranch_execz .LBB132_59
.LBB132_82:
	v_add_nc_u32_e32 v5, v1, v2
	v_mov_b32_e32 v6, 0
	v_lshlrev_b64 v[5:6], 2, v[5:6]
	s_waitcnt lgkmcnt(0)
	v_add_co_u32 v5, vcc_lo, s12, v5
	v_add_co_ci_u32_e64 v6, null, s13, v6, vcc_lo
	global_store_dword v[5:6], v36, off
	s_or_b32 exec_lo, exec_lo, s3
	s_and_saveexec_b32 s0, s1
	s_cbranch_execz .LBB132_60
.LBB132_83:
	v_add_nc_u32_e32 v2, v1, v3
	v_mov_b32_e32 v3, 0
	v_lshlrev_b64 v[2:3], 2, v[2:3]
	s_waitcnt lgkmcnt(0)
	v_add_co_u32 v2, vcc_lo, s12, v2
	v_add_co_ci_u32_e64 v3, null, s13, v3, vcc_lo
	global_store_dword v[2:3], v35, off
	s_or_b32 exec_lo, exec_lo, s0
	s_and_b32 exec_lo, exec_lo, s2
	s_cbranch_execnz .LBB132_61
	s_branch .LBB132_62
	.section	.rodata,"a",@progbits
	.p2align	6, 0x0
	.amdhsa_kernel _ZL12mul_mat_q4_KIfLb1EEvPKvS1_PT_iiiii
		.amdhsa_group_segment_fixed_size 28752
		.amdhsa_private_segment_fixed_size 0
		.amdhsa_kernarg_size 44
		.amdhsa_user_sgpr_count 6
		.amdhsa_user_sgpr_private_segment_buffer 1
		.amdhsa_user_sgpr_dispatch_ptr 0
		.amdhsa_user_sgpr_queue_ptr 0
		.amdhsa_user_sgpr_kernarg_segment_ptr 1
		.amdhsa_user_sgpr_dispatch_id 0
		.amdhsa_user_sgpr_flat_scratch_init 0
		.amdhsa_user_sgpr_private_segment_size 0
		.amdhsa_wavefront_size32 1
		.amdhsa_uses_dynamic_stack 0
		.amdhsa_system_sgpr_private_segment_wavefront_offset 0
		.amdhsa_system_sgpr_workgroup_id_x 1
		.amdhsa_system_sgpr_workgroup_id_y 1
		.amdhsa_system_sgpr_workgroup_id_z 0
		.amdhsa_system_sgpr_workgroup_info 0
		.amdhsa_system_vgpr_workitem_id 1
		.amdhsa_next_free_vgpr 255
		.amdhsa_next_free_sgpr 17
		.amdhsa_reserve_vcc 1
		.amdhsa_reserve_flat_scratch 0
		.amdhsa_float_round_mode_32 0
		.amdhsa_float_round_mode_16_64 0
		.amdhsa_float_denorm_mode_32 3
		.amdhsa_float_denorm_mode_16_64 3
		.amdhsa_dx10_clamp 1
		.amdhsa_ieee_mode 1
		.amdhsa_fp16_overflow 0
		.amdhsa_workgroup_processor_mode 1
		.amdhsa_memory_ordered 1
		.amdhsa_forward_progress 1
		.amdhsa_shared_vgpr_count 0
		.amdhsa_exception_fp_ieee_invalid_op 0
		.amdhsa_exception_fp_denorm_src 0
		.amdhsa_exception_fp_ieee_div_zero 0
		.amdhsa_exception_fp_ieee_overflow 0
		.amdhsa_exception_fp_ieee_underflow 0
		.amdhsa_exception_fp_ieee_inexact 0
		.amdhsa_exception_int_div_zero 0
	.end_amdhsa_kernel
	.section	.text._ZL12mul_mat_q4_KIfLb1EEvPKvS1_PT_iiiii,"axG",@progbits,_ZL12mul_mat_q4_KIfLb1EEvPKvS1_PT_iiiii,comdat
.Lfunc_end132:
	.size	_ZL12mul_mat_q4_KIfLb1EEvPKvS1_PT_iiiii, .Lfunc_end132-_ZL12mul_mat_q4_KIfLb1EEvPKvS1_PT_iiiii
                                        ; -- End function
	.set _ZL12mul_mat_q4_KIfLb1EEvPKvS1_PT_iiiii.num_vgpr, 255
	.set _ZL12mul_mat_q4_KIfLb1EEvPKvS1_PT_iiiii.num_agpr, 0
	.set _ZL12mul_mat_q4_KIfLb1EEvPKvS1_PT_iiiii.numbered_sgpr, 17
	.set _ZL12mul_mat_q4_KIfLb1EEvPKvS1_PT_iiiii.num_named_barrier, 0
	.set _ZL12mul_mat_q4_KIfLb1EEvPKvS1_PT_iiiii.private_seg_size, 0
	.set _ZL12mul_mat_q4_KIfLb1EEvPKvS1_PT_iiiii.uses_vcc, 1
	.set _ZL12mul_mat_q4_KIfLb1EEvPKvS1_PT_iiiii.uses_flat_scratch, 0
	.set _ZL12mul_mat_q4_KIfLb1EEvPKvS1_PT_iiiii.has_dyn_sized_stack, 0
	.set _ZL12mul_mat_q4_KIfLb1EEvPKvS1_PT_iiiii.has_recursion, 0
	.set _ZL12mul_mat_q4_KIfLb1EEvPKvS1_PT_iiiii.has_indirect_call, 0
	.section	.AMDGPU.csdata,"",@progbits
; Kernel info:
; codeLenInByte = 18620
; TotalNumSgprs: 19
; NumVgprs: 255
; ScratchSize: 0
; MemoryBound: 0
; FloatMode: 240
; IeeeMode: 1
; LDSByteSize: 28752 bytes/workgroup (compile time only)
; SGPRBlocks: 0
; VGPRBlocks: 31
; NumSGPRsForWavesPerEU: 19
; NumVGPRsForWavesPerEU: 255
; Occupancy: 4
; WaveLimiterHint : 0
; COMPUTE_PGM_RSRC2:SCRATCH_EN: 0
; COMPUTE_PGM_RSRC2:USER_SGPR: 6
; COMPUTE_PGM_RSRC2:TRAP_HANDLER: 0
; COMPUTE_PGM_RSRC2:TGID_X_EN: 1
; COMPUTE_PGM_RSRC2:TGID_Y_EN: 1
; COMPUTE_PGM_RSRC2:TGID_Z_EN: 0
; COMPUTE_PGM_RSRC2:TIDIG_COMP_CNT: 1
	.section	.text._ZL12mul_mat_q5_KIfLb0EEvPKvS1_PT_iiiii,"axG",@progbits,_ZL12mul_mat_q5_KIfLb0EEvPKvS1_PT_iiiii,comdat
	.globl	_ZL12mul_mat_q5_KIfLb0EEvPKvS1_PT_iiiii ; -- Begin function _ZL12mul_mat_q5_KIfLb0EEvPKvS1_PT_iiiii
	.p2align	8
	.type	_ZL12mul_mat_q5_KIfLb0EEvPKvS1_PT_iiiii,@function
_ZL12mul_mat_q5_KIfLb0EEvPKvS1_PT_iiiii: ; @_ZL12mul_mat_q5_KIfLb0EEvPKvS1_PT_iiiii
; %bb.0:
	s_clause 0x1
	s_load_dword s14, s[4:5], 0x18
	s_load_dwordx4 s[8:11], s[4:5], 0x20
	s_lshl_b32 s7, s7, 6
	v_add_nc_u32_e32 v35, s7, v1
	s_waitcnt lgkmcnt(0)
	s_cmpk_gt_i32 s14, 0xff
	s_cbranch_scc1 .LBB133_2
; %bb.1:
	v_add_nc_u32_e32 v2, s7, v1
	s_mov_b32 s0, 0
	s_branch .LBB133_3
.LBB133_2:
	s_mov_b32 s0, -1
                                        ; implicit-def: $vgpr2
.LBB133_3:
	s_load_dwordx2 s[12:13], s[4:5], 0x10
	v_mov_b32_e32 v21, 0
	v_mov_b32_e32 v25, 0
	;; [unrolled: 1-line block ×32, first 2 shown]
	s_andn2_b32 vcc_lo, exec_lo, s0
	s_lshl_b32 s6, s6, 7
	s_cbranch_vccnz .LBB133_11
; %bb.4:
	s_load_dwordx4 s[0:3], s[4:5], 0x0
	s_ashr_i32 s4, s14, 31
	s_ashr_i32 s5, s9, 31
	s_lshr_b32 s4, s4, 24
	s_lshr_b32 s5, s5, 27
	s_add_i32 s14, s14, s4
	s_add_i32 s5, s9, s5
	s_ashr_i32 s4, s14, 8
	v_lshrrev_b32_e32 v5, 2, v0
	s_mul_i32 s9, s4, s6
	v_and_b32_e32 v6, 7, v0
	s_ashr_i32 s11, s5, 5
	s_mul_i32 s5, s9, 0xb0
	v_lshlrev_b32_e32 v7, 3, v1
	v_add_nc_u32_e32 v8, 8, v35
	s_mul_hi_i32 s9, s9, 0xb0
	v_add_nc_u32_e32 v9, 16, v35
	v_add_nc_u32_e32 v11, 32, v35
	v_and_b32_e32 v60, 6, v5
	v_lshlrev_b32_e32 v30, 2, v6
	s_waitcnt lgkmcnt(0)
	s_add_u32 s5, s0, s5
	s_addc_u32 s9, s1, s9
	s_add_i32 s14, s8, -1
	v_add_nc_u32_e32 v32, v5, v7
	v_add_nc_u16 v36, v5, v7
	v_cvt_f64_u32_e32 v[5:6], v8
	v_cvt_f64_i32_e32 v[17:18], s14
	v_cvt_f64_u32_e32 v[3:4], v35
	v_add_nc_u32_e32 v10, 24, v35
	v_add_nc_u32_e32 v13, 40, v35
	;; [unrolled: 1-line block ×4, first 2 shown]
	v_cvt_f64_u32_e32 v[7:8], v9
	v_cvt_f64_u32_e32 v[11:12], v11
	;; [unrolled: 1-line block ×6, first 2 shown]
	s_lshl_b32 s1, s4, 3
	v_lshlrev_b32_e32 v43, 2, v0
	v_mad_i32_i24 v45, s4, v1, s1
	v_lshlrev_b32_e32 v49, 5, v1
	v_and_b32_e32 v2, 3, v0
	v_lshlrev_b32_e32 v22, 3, v0
	v_and_b32_e32 v34, 4, v43
	v_add_nc_u32_e32 v47, s1, v45
	v_add_nc_u32_e32 v31, v49, v0
	v_cmp_lt_u32_e32 vcc_lo, 1, v2
	v_min_f64 v[5:6], v[5:6], v[17:18]
	v_min_f64 v[3:4], v[3:4], v[17:18]
	v_add_nc_u32_e32 v51, s1, v47
	v_mul_u32_u24_e32 v21, 0x41, v1
	v_and_or_b32 v22, 0xc0, v22, v30
	v_and_b32_e32 v30, 0x7f, v31
	v_min_f64 v[7:8], v[7:8], v[17:18]
	v_min_f64 v[11:12], v[11:12], v[17:18]
	;; [unrolled: 1-line block ×6, first 2 shown]
	v_lshrrev_b32_e32 v31, 3, v31
	v_cndmask_b32_e32 v70, 0, v34, vcc_lo
	v_and_b32_e32 v34, 0x7f, v32
	v_add_nc_u32_e32 v55, s1, v51
	v_lshl_add_u32 v73, v21, 2, v22
	v_and_b32_e32 v21, 12, v31
	v_lshlrev_b32_e32 v22, 2, v30
	v_xor_b32_e32 v37, 64, v34
	v_add_nc_u32_e32 v57, s1, v55
	v_add_nc_u32_e32 v33, 0xfe, v2
	v_cvt_i32_f64_e32 v5, v[5:6]
	v_add3_u32 v76, v22, v21, 0xae40
	v_lshlrev_b32_e32 v22, 2, v2
	v_lshrrev_b32_e32 v19, 1, v37
	v_and_b32_e32 v6, 63, v32
	v_add_nc_u32_e32 v61, s1, v57
	v_cvt_i32_f64_e32 v4, v[3:4]
	v_lshl_or_b32 v3, v37, 4, v22
	v_cvt_i32_f64_e32 v7, v[7:8]
	v_and_b32_e32 v8, 60, v19
	v_cvt_i32_f64_e32 v11, v[11:12]
	v_or_b32_e32 v12, s7, v6
	v_add_nc_u32_e32 v62, s1, v61
	v_cvt_i32_f64_e32 v9, v[9:10]
	v_add3_u32 v85, v3, v8, 0xa200
	v_cvt_i32_f64_e32 v13, v[13:14]
	v_min_i32_e32 v3, s14, v12
	v_cvt_i32_f64_e32 v12, v[17:18]
	v_add_nc_u32_e32 v64, s1, v62
	v_cvt_i32_f64_e32 v8, v[15:16]
	v_and_b32_e32 v33, 0xff, v33
	v_cmp_gt_u32_e64 s0, 2, v2
	v_mul_i32_i24_e32 v74, s4, v30
	v_add_nc_u32_e32 v65, s1, v64
	v_lshrrev_b32_e32 v42, 5, v0
	v_add_nc_u32_e32 v23, 8, v1
	v_cndmask_b32_e64 v30, v33, v2, s0
	v_cmp_ne_u32_e64 s0, 0, v2
	v_add_nc_u32_e32 v67, s1, v65
	v_mad_u64_u32 v[2:3], null, v3, s11, v[2:3]
	v_add_nc_u32_e32 v3, 32, v0
	v_mul_lo_u32 v88, s11, v4
	v_add_nc_u32_e32 v69, s1, v67
	v_add_nc_u32_e32 v4, 64, v0
	;; [unrolled: 1-line block ×3, first 2 shown]
	v_lshrrev_b32_e32 v96, 3, v3
	v_add_nc_u32_e32 v25, 24, v1
	v_add_nc_u32_e32 v72, s1, v69
	v_mul_lo_u32 v95, s11, v12
	v_add_nc_u32_e32 v12, 0x60, v0
	v_add_nc_u32_e32 v26, 32, v1
	;; [unrolled: 1-line block ×5, first 2 shown]
	v_lshrrev_b32_e32 v98, 3, v12
	v_add_nc_u32_e32 v29, 56, v1
	v_lshrrev_b16 v31, 1, v36
	v_and_b32_e32 v10, 31, v0
	v_lshl_or_b32 v6, v6, 4, v22
	v_lshlrev_b32_e32 v14, 2, v42
	v_lshrrev_b32_e32 v97, 3, v4
	v_and_b32_e32 v16, 60, v96
	v_and_b32_e32 v59, 28, v43
	v_add_nc_u32_e32 v77, s1, v75
	v_lshlrev_b32_e32 v17, 2, v3
	v_and_b32_e32 v3, 60, v98
	v_add_co_ci_u32_e64 v21, null, 0, v30, s0
	s_movk_i32 s0, 0x2080
	v_cndmask_b32_e64 v33, 0, 1, vcc_lo
	v_lshl_or_b32 v36, v34, 4, v22
	v_and_b32_e32 v31, 60, v31
	v_lshl_or_b32 v10, v10, 2, 0x8200
	v_add_nc_u32_e32 v86, 0xaa40, v6
	v_lshlrev_b32_e32 v6, 7, v1
	v_mul_lo_u32 v89, s11, v5
	v_lshlrev_b32_e32 v5, 7, v23
	v_mul_lo_u32 v90, s11, v7
	;; [unrolled: 2-line block ×6, first 2 shown]
	v_lshlrev_b32_e32 v8, 7, v28
	v_lshlrev_b32_e32 v15, 7, v29
	v_add3_u32 v99, v43, v14, 0xae40
	v_and_b32_e32 v14, 60, v97
	v_add3_u32 v100, v43, v16, 0xae40
	v_lshlrev_b32_e32 v16, 2, v4
	v_lshlrev_b32_e32 v12, 2, v12
	v_mad_u32_u24 v111, 0x104, v0, s0
	s_movk_i32 s0, 0x4100
	v_add_nc_u32_e32 v78, s1, v77
	v_add3_u32 v102, v43, v3, 0xae40
	s_movk_i32 s1, 0x6180
	v_mad_u32_u24 v112, 0x104, v0, s0
	v_add_co_u32 v3, s0, s2, v59
	v_and_b32_e32 v58, 0x7c, v43
	v_mul_i32_i24_e32 v66, s4, v1
	v_or_b32_e32 v68, 1, v60
	v_lshlrev_b32_e32 v80, 1, v30
	v_mul_i32_i24_e32 v81, s4, v34
	v_add3_u32 v82, v36, v31, 0xa200
	v_mul_i32_i24_e32 v83, s4, v37
	v_lshrrev_b32_e32 v87, 3, v0
	v_add3_u32 v101, v43, v14, 0xae40
	v_lshlrev_b32_e32 v103, 5, v23
	v_lshlrev_b32_e32 v104, 5, v24
	v_lshlrev_b32_e32 v105, 5, v25
	v_lshlrev_b32_e32 v106, 5, v26
	v_lshlrev_b32_e32 v107, 5, v27
	v_lshlrev_b32_e32 v108, 5, v28
	v_lshlrev_b32_e32 v109, 5, v29
	v_mul_u32_u24_e32 v110, 0x104, v0
	v_mad_u32_u24 v113, 0x104, v0, s1
	v_add_co_ci_u32_e64 v4, null, s3, 0, s0
	v_lshlrev_b32_e32 v114, 2, v21
	v_lshlrev_b32_e32 v115, 2, v33
	v_add_nc_u32_e32 v116, v10, v6
	v_add_nc_u32_e32 v117, v10, v5
	;; [unrolled: 1-line block ×23, first 2 shown]
	v_mov_b32_e32 v139, 0xffff
	v_lshlrev_b32_e32 v140, 2, v17
	v_lshlrev_b32_e32 v141, 2, v16
	;; [unrolled: 1-line block ×3, first 2 shown]
	v_mov_b32_e32 v84, 0
	v_mov_b32_e32 v56, 0
	v_mov_b32_e32 v50, 0
	v_mov_b32_e32 v41, 0
	v_mov_b32_e32 v37, 0
	v_mov_b32_e32 v32, 0
	v_mov_b32_e32 v28, 0
	v_mov_b32_e32 v24, 0
	v_mov_b32_e32 v79, 0
	v_mov_b32_e32 v54, 0
	v_mov_b32_e32 v48, 0
	v_mov_b32_e32 v40, 0
	v_mov_b32_e32 v36, 0
	v_mov_b32_e32 v31, 0
	v_mov_b32_e32 v27, 0
	v_mov_b32_e32 v23, 0
	v_mov_b32_e32 v71, 0
	v_mov_b32_e32 v53, 0
	v_mov_b32_e32 v46, 0
	v_mov_b32_e32 v39, 0
	v_mov_b32_e32 v34, 0
	v_mov_b32_e32 v30, 0
	v_mov_b32_e32 v26, 0
	v_mov_b32_e32 v22, 0
	v_mov_b32_e32 v63, 0
	v_mov_b32_e32 v52, 0
	v_mov_b32_e32 v44, 0
	v_mov_b32_e32 v38, 0
	v_mov_b32_e32 v33, 0
	v_mov_b32_e32 v29, 0
	v_mov_b32_e32 v25, 0
	v_mov_b32_e32 v21, 0
	s_mov_b32 s11, 0
.LBB133_5:                              ; =>This Loop Header: Depth=1
                                        ;     Child Loop BB133_6 Depth 2
                                        ;     Child Loop BB133_8 Depth 2
	s_mul_i32 s0, s11, 0xb0
	s_mul_hi_u32 s1, s11, 0xb0
	s_add_u32 s0, s5, s0
	s_addc_u32 s1, s9, s1
	s_mov_b32 s14, -1
	v_mad_u64_u32 v[5:6], null, 0xb0, v42, s[0:1]
	v_mad_u64_u32 v[7:8], null, 0xb0, v66, v[5:6]
	;; [unrolled: 1-line block ×5, first 2 shown]
	v_add_co_u32 v11, vcc_lo, v7, v58
	v_add_co_ci_u32_e64 v12, null, 0, v8, vcc_lo
	v_add_co_u32 v7, vcc_lo, v7, v59
	v_add_co_ci_u32_e64 v8, null, 0, v8, vcc_lo
	;; [unrolled: 2-line block ×6, first 2 shown]
	v_add_co_u32 v143, vcc_lo, v17, v58
	v_mad_u64_u32 v[145:146], null, 0xb0, v55, v[5:6]
	v_add_co_ci_u32_e64 v144, null, 0, v18, vcc_lo
	v_add_co_u32 v17, vcc_lo, v17, v59
	v_add_co_ci_u32_e64 v18, null, 0, v18, vcc_lo
	s_clause 0x7
	global_load_dword v151, v[11:12], off offset:48
	global_load_dword v152, v[7:8], off offset:16
	;; [unrolled: 1-line block ×8, first 2 shown]
	v_mad_u64_u32 v[9:10], null, 0xb0, v57, v[5:6]
	v_add_co_u32 v7, vcc_lo, v145, v58
	v_mad_u64_u32 v[13:14], null, 0xb0, v61, v[5:6]
	v_add_co_ci_u32_e64 v8, null, 0, v146, vcc_lo
	v_add_co_u32 v11, vcc_lo, v145, v59
	v_add_co_ci_u32_e64 v12, null, 0, v146, vcc_lo
	v_add_co_u32 v15, vcc_lo, v9, v58
	v_mad_u64_u32 v[19:20], null, 0xb0, v62, v[5:6]
	v_add_co_ci_u32_e64 v16, null, 0, v10, vcc_lo
	v_add_co_u32 v9, vcc_lo, v9, v59
	v_add_co_ci_u32_e64 v10, null, 0, v10, vcc_lo
	;; [unrolled: 5-line block ×3, first 2 shown]
	v_add_co_u32 v145, vcc_lo, v19, v58
	v_add_co_ci_u32_e64 v146, null, 0, v20, vcc_lo
	v_add_co_u32 v19, vcc_lo, v19, v59
	v_add_co_ci_u32_e64 v20, null, 0, v20, vcc_lo
	v_add_co_u32 v147, vcc_lo, v143, v58
	v_mad_u64_u32 v[149:150], null, 0xb0, v65, v[5:6]
	v_add_co_ci_u32_e64 v148, null, 0, v144, vcc_lo
	v_add_co_u32 v143, vcc_lo, v143, v59
	v_add_co_ci_u32_e64 v144, null, 0, v144, vcc_lo
	s_clause 0x9
	global_load_dword v159, v[7:8], off offset:48
	global_load_dword v160, v[11:12], off offset:16
	;; [unrolled: 1-line block ×10, first 2 shown]
	v_mad_u64_u32 v[7:8], null, 0xb0, v67, v[5:6]
	v_add_co_u32 v9, vcc_lo, v149, v58
	v_add_co_ci_u32_e64 v10, null, 0, v150, vcc_lo
	v_add_co_u32 v11, vcc_lo, v149, v59
	v_add_co_ci_u32_e64 v12, null, 0, v150, vcc_lo
	;; [unrolled: 2-line block ×4, first 2 shown]
	s_clause 0x3
	global_load_dword v149, v[9:10], off offset:48
	global_load_dword v150, v[11:12], off offset:16
	;; [unrolled: 1-line block ×4, first 2 shown]
	v_mad_u64_u32 v[7:8], null, 0xb0, v69, v[5:6]
	v_mad_u64_u32 v[11:12], null, 0xb0, v72, v[5:6]
	;; [unrolled: 1-line block ×4, first 2 shown]
	v_add_co_u32 v9, vcc_lo, v7, v58
	v_add_co_ci_u32_e64 v10, null, 0, v8, vcc_lo
	v_add_co_u32 v7, vcc_lo, v7, v59
	v_add_co_ci_u32_e64 v8, null, 0, v8, vcc_lo
	s_clause 0x1
	global_load_dword v168, v[9:10], off offset:48
	global_load_dword v169, v[7:8], off offset:16
	v_mad_u64_u32 v[7:8], null, 0xb0, v75, v[5:6]
	v_add_co_u32 v9, vcc_lo, v11, v58
	v_add_co_ci_u32_e64 v10, null, 0, v12, vcc_lo
	v_add_co_u32 v11, vcc_lo, v11, v59
	v_add_co_ci_u32_e64 v12, null, 0, v12, vcc_lo
	v_add_co_u32 v13, vcc_lo, v7, v58
	v_mad_u64_u32 v[5:6], null, 0xb0, v78, v[5:6]
	v_add_co_ci_u32_e64 v14, null, 0, v8, vcc_lo
	v_add_co_u32 v7, vcc_lo, v7, v59
	v_add_co_ci_u32_e64 v8, null, 0, v8, vcc_lo
	v_add_co_u32 v17, vcc_lo, v15, v58
	;; [unrolled: 2-line block ×5, first 2 shown]
	v_add_co_ci_u32_e64 v6, null, 0, v6, vcc_lo
	s_clause 0x7
	global_load_dword v170, v[9:10], off offset:48
	global_load_dword v171, v[11:12], off offset:16
	;; [unrolled: 1-line block ×8, first 2 shown]
	v_mad_u64_u32 v[7:8], null, 0xb0, v83, s[0:1]
	v_add_co_u32 v9, vcc_lo, v143, v114
	v_mad_u64_u32 v[5:6], null, 0xb0, v74, s[0:1]
	s_lshl_b32 s0, s11, 3
	v_add_co_ci_u32_e64 v10, null, 0, v144, vcc_lo
	v_add_co_u32 v11, vcc_lo, v143, v115
	v_add_nc_u32_e32 v15, s0, v87
	v_add_co_ci_u32_e64 v12, null, 0, v144, vcc_lo
	v_add_co_u32 v13, vcc_lo, v7, v114
	v_add_co_ci_u32_e64 v14, null, 0, v8, vcc_lo
	v_add_co_u32 v7, vcc_lo, v7, v115
	v_add_co_ci_u32_e64 v8, null, 0, v8, vcc_lo
	v_add_nc_u32_e32 v16, v15, v88
	s_clause 0x4
	global_load_dword v178, v[5:6], off
	global_load_dword v179, v[9:10], off offset:4
	global_load_dword v180, v[11:12], off offset:4
	;; [unrolled: 1-line block ×4, first 2 shown]
	v_add_nc_u32_e32 v7, v15, v89
	v_add_nc_u32_e32 v9, v15, v90
	;; [unrolled: 1-line block ×4, first 2 shown]
	v_mad_i64_i32 v[5:6], null, v16, 36, v[3:4]
	v_add_nc_u32_e32 v16, v15, v93
	v_mad_i64_i32 v[7:8], null, v7, 36, v[3:4]
	v_add_nc_u32_e32 v17, v15, v94
	;; [unrolled: 2-line block ×3, first 2 shown]
	v_add_nc_u32_e32 v148, s0, v2
	v_mad_i64_i32 v[11:12], null, v11, 36, v[3:4]
	v_mad_i64_i32 v[13:14], null, v13, 36, v[3:4]
	;; [unrolled: 1-line block ×5, first 2 shown]
	v_mad_u64_u32 v[143:144], null, v148, 36, s[2:3]
	s_clause 0x8
	global_load_dword v5, v[5:6], off offset:4
	global_load_dword v6, v[7:8], off offset:4
	;; [unrolled: 1-line block ×8, first 2 shown]
	global_load_dword v13, v[143:144], off
	s_mov_b32 s1, 0
	s_waitcnt vmcnt(45)
	v_lshrrev_b32_e32 v15, 4, v151
	s_waitcnt vmcnt(44)
	v_ashrrev_i32_e32 v16, v60, v152
	v_ashrrev_i32_e32 v17, v68, v152
	s_waitcnt vmcnt(43)
	v_lshrrev_b32_e32 v19, 4, v153
	s_waitcnt vmcnt(42)
	v_ashrrev_i32_e32 v20, v60, v154
	v_ashrrev_i32_e32 v143, v68, v154
	v_and_b32_e32 v14, 0xf0f0f0f, v151
	v_and_b32_e32 v18, 0xf0f0f0f, v153
	s_waitcnt vmcnt(41)
	v_lshrrev_b32_e32 v151, 4, v155
	s_waitcnt vmcnt(40)
	v_ashrrev_i32_e32 v152, v60, v156
	v_ashrrev_i32_e32 v153, v68, v156
	v_and_b32_e32 v144, 0xf0f0f0f, v155
	s_waitcnt vmcnt(39)
	v_and_b32_e32 v154, 0xf0f0f0f, v157
	v_lshrrev_b32_e32 v155, 4, v157
	s_waitcnt vmcnt(38)
	v_ashrrev_i32_e32 v156, v60, v158
	v_ashrrev_i32_e32 v157, v68, v158
	v_and_b32_e32 v15, 0xf0f0f0f, v15
	v_lshlrev_b32_e32 v16, 4, v16
	v_lshlrev_b32_e32 v17, 4, v17
	v_and_b32_e32 v19, 0xf0f0f0f, v19
	v_lshlrev_b32_e32 v20, 4, v20
	v_lshlrev_b32_e32 v143, 4, v143
	v_and_b32_e32 v151, 0xf0f0f0f, v151
	v_lshlrev_b32_e32 v152, 4, v152
	v_lshlrev_b32_e32 v153, 4, v153
	v_and_b32_e32 v155, 0xf0f0f0f, v155
	v_lshlrev_b32_e32 v156, 4, v156
	v_lshlrev_b32_e32 v157, 4, v157
	v_and_or_b32 v14, 0x10101010, v16, v14
	v_and_or_b32 v15, 0x10101010, v17, v15
	;; [unrolled: 1-line block ×8, first 2 shown]
	s_waitcnt vmcnt(37)
	v_and_b32_e32 v158, 0xf0f0f0f, v159
	v_lshrrev_b32_e32 v159, 4, v159
	s_waitcnt vmcnt(36)
	v_ashrrev_i32_e32 v183, v60, v160
	v_ashrrev_i32_e32 v160, v68, v160
	s_waitcnt vmcnt(35)
	v_and_b32_e32 v184, 0xf0f0f0f, v161
	v_lshrrev_b32_e32 v161, 4, v161
	s_waitcnt vmcnt(34)
	v_ashrrev_i32_e32 v185, v60, v162
	v_ashrrev_i32_e32 v162, v68, v162
	;; [unrolled: 6-line block ×5, first 2 shown]
	v_and_b32_e32 v159, 0xf0f0f0f, v159
	v_lshlrev_b32_e32 v183, 4, v183
	v_lshlrev_b32_e32 v160, 4, v160
	v_and_b32_e32 v161, 0xf0f0f0f, v161
	v_lshlrev_b32_e32 v185, 4, v185
	s_waitcnt vmcnt(27)
	v_and_b32_e32 v192, 0xf0f0f0f, v149
	v_lshrrev_b32_e32 v149, 4, v149
	s_waitcnt vmcnt(26)
	v_ashrrev_i32_e32 v193, v60, v150
	v_ashrrev_i32_e32 v150, v68, v150
	s_waitcnt vmcnt(24)
	v_ashrrev_i32_e32 v195, v60, v167
	v_lshlrev_b32_e32 v162, 4, v162
	v_and_b32_e32 v163, 0xf0f0f0f, v163
	v_lshlrev_b32_e32 v187, 4, v187
	v_lshlrev_b32_e32 v164, 4, v164
	v_and_b32_e32 v145, 0xf0f0f0f, v145
	v_lshlrev_b32_e32 v189, 4, v189
	v_lshlrev_b32_e32 v146, 4, v146
	v_and_b32_e32 v147, 0xf0f0f0f, v147
	v_lshlrev_b32_e32 v191, 4, v191
	v_lshlrev_b32_e32 v165, 4, v165
	v_lshrrev_b32_e32 v194, 4, v166
	v_ashrrev_i32_e32 v167, v68, v167
	v_and_or_b32 v144, 0x10101010, v183, v158
	v_and_or_b32 v151, 0x10101010, v160, v159
	v_and_b32_e32 v149, 0xf0f0f0f, v149
	v_lshlrev_b32_e32 v193, 4, v193
	v_and_or_b32 v152, 0x10101010, v185, v184
	v_and_or_b32 v153, 0x10101010, v162, v161
	;; [unrolled: 1-line block ×8, first 2 shown]
	ds_write2_b32 v73, v14, v15 offset1:8
	ds_write2_b32 v124, v16, v17 offset0:8 offset1:16
	ds_write2_b32 v125, v18, v19 offset0:16 offset1:24
	;; [unrolled: 1-line block ×8, first 2 shown]
	v_lshlrev_b32_e32 v14, 4, v150
	v_and_b32_e32 v15, 0xf0f0f0f, v166
	v_lshlrev_b32_e32 v16, 4, v195
	v_and_b32_e32 v17, 0xf0f0f0f, v194
	v_lshlrev_b32_e32 v18, 4, v167
	v_and_or_b32 v19, 0x10101010, v193, v192
	v_and_or_b32 v14, 0x10101010, v14, v149
	;; [unrolled: 1-line block ×3, first 2 shown]
	s_waitcnt vmcnt(22)
	v_ashrrev_i32_e32 v16, v60, v169
	v_lshrrev_b32_e32 v20, 4, v168
	v_ashrrev_i32_e32 v143, v68, v169
	v_and_or_b32 v17, 0x10101010, v18, v17
	v_and_b32_e32 v18, 0xf0f0f0f, v168
	v_lshlrev_b32_e32 v16, 4, v16
	ds_write2_b32 v132, v19, v14 offset0:72 offset1:80
	ds_write2_b32 v133, v15, v17 offset0:80 offset1:88
	v_and_b32_e32 v14, 0xf0f0f0f, v20
	v_lshlrev_b32_e32 v15, 4, v143
	v_and_or_b32 v16, 0x10101010, v16, v18
	s_waitcnt vmcnt(21)
	v_lshrrev_b32_e32 v18, 4, v170
	s_waitcnt vmcnt(20)
	v_ashrrev_i32_e32 v17, v60, v171
	v_ashrrev_i32_e32 v19, v68, v171
	v_and_or_b32 v14, 0x10101010, v15, v14
	v_and_b32_e32 v15, 0xf0f0f0f, v170
	v_and_b32_e32 v18, 0xf0f0f0f, v18
	v_lshlrev_b32_e32 v17, 4, v17
	v_lshlrev_b32_e32 v19, 4, v19
	ds_write2_b32 v134, v16, v14 offset0:88 offset1:96
	s_waitcnt vmcnt(18)
	v_ashrrev_i32_e32 v16, v60, v173
	s_waitcnt vmcnt(17)
	v_lshrrev_b32_e32 v20, 4, v174
	s_waitcnt vmcnt(16)
	v_ashrrev_i32_e32 v143, v60, v175
	v_ashrrev_i32_e32 v144, v68, v175
	v_lshrrev_b32_e32 v14, 4, v172
	v_and_or_b32 v15, 0x10101010, v17, v15
	v_and_or_b32 v17, 0x10101010, v19, v18
	v_and_b32_e32 v18, 0xf0f0f0f, v172
	v_ashrrev_i32_e32 v19, v68, v173
	v_lshlrev_b32_e32 v16, 4, v16
	v_and_b32_e32 v145, 0xf0f0f0f, v174
	v_and_b32_e32 v20, 0xf0f0f0f, v20
	v_lshlrev_b32_e32 v143, 4, v143
	v_lshlrev_b32_e32 v144, 4, v144
	v_and_b32_e32 v14, 0xf0f0f0f, v14
	v_lshlrev_b32_e32 v19, 4, v19
	ds_write2_b32 v135, v15, v17 offset0:96 offset1:104
	v_and_or_b32 v15, 0x10101010, v16, v18
	v_and_or_b32 v16, 0x10101010, v143, v145
	;; [unrolled: 1-line block ×3, first 2 shown]
	s_waitcnt vmcnt(15)
	v_lshrrev_b32_e32 v18, 4, v176
	s_waitcnt vmcnt(14)
	v_ashrrev_i32_e32 v20, v60, v177
	v_ashrrev_i32_e32 v143, v68, v177
	s_waitcnt vmcnt(12)
	v_ashrrev_i32_e32 v144, v70, v179
	s_waitcnt vmcnt(10)
	v_ashrrev_i32_e32 v145, v70, v181
	v_and_or_b32 v14, 0x10101010, v19, v14
	v_and_b32_e32 v19, 0xf0f0f0f, v176
	v_and_b32_e32 v18, 0xf0f0f0f, v18
	v_lshlrev_b32_e32 v20, 4, v20
	v_lshlrev_b32_e32 v143, 4, v143
	v_and_b32_e32 v144, 0xf0f0f0f, v144
	v_ashrrev_i32_e32 v146, v80, v180
	v_and_b32_e32 v145, 0xf0f0f0f, v145
	s_waitcnt vmcnt(9)
	v_ashrrev_i32_e32 v147, v80, v182
	v_and_or_b32 v19, 0x10101010, v20, v19
	v_and_or_b32 v18, 0x10101010, v143, v18
	ds_write2_b32 v136, v15, v14 offset0:104 offset1:112
	v_and_or_b32 v14, 0x30303030, v146, v144
	v_and_or_b32 v15, 0x30303030, v147, v145
	ds_write2_b32 v137, v16, v17 offset0:112 offset1:120
	ds_write2_b32 v138, v19, v18 offset0:120 offset1:128
	ds_write_b32 v76, v178
	ds_write_b32 v82, v14
	;; [unrolled: 1-line block ×3, first 2 shown]
	s_waitcnt vmcnt(8)
	ds_write_b32 v116, v5
	s_waitcnt vmcnt(7)
	ds_write_b32 v117, v6
	s_waitcnt vmcnt(6)
	ds_write_b32 v118, v7
	s_waitcnt vmcnt(5)
	ds_write_b32 v119, v8
	s_waitcnt vmcnt(4)
	ds_write_b32 v120, v9
	s_waitcnt vmcnt(3)
	ds_write_b32 v121, v10
	s_waitcnt vmcnt(2)
	ds_write_b32 v122, v11
	s_waitcnt vmcnt(1)
	ds_write_b32 v123, v12
	s_waitcnt vmcnt(0)
	ds_write_b32 v86, v13
	s_waitcnt lgkmcnt(0)
	s_barrier
	buffer_gl0_inv
	ds_read_b32 v5, v99
	ds_read_b32 v6, v100 offset:128
	ds_read_b32 v7, v101 offset:256
	;; [unrolled: 1-line block ×3, first 2 shown]
	s_waitcnt lgkmcnt(3)
	v_cvt_f32_f16_e32 v149, v5
	v_cvt_f32_f16_sdwa v150, v5 dst_sel:DWORD dst_unused:UNUSED_PAD src0_sel:WORD_1
	s_waitcnt lgkmcnt(2)
	v_cvt_f32_f16_sdwa v151, v6 dst_sel:DWORD dst_unused:UNUSED_PAD src0_sel:WORD_1
	v_cvt_f32_f16_e32 v152, v6
	s_waitcnt lgkmcnt(1)
	v_cvt_f32_f16_sdwa v153, v7 dst_sel:DWORD dst_unused:UNUSED_PAD src0_sel:WORD_1
	v_cvt_f32_f16_e32 v154, v7
	;; [unrolled: 3-line block ×3, first 2 shown]
.LBB133_6:                              ;   Parent Loop BB133_5 Depth=1
                                        ; =>  This Inner Loop Header: Depth=2
	s_lshl_b32 s15, s1, 1
	s_lshl_b32 s16, s1, 3
	v_or_b32_e32 v143, s15, v49
	v_add_nc_u32_e32 v144, s16, v110
	v_add_nc_u32_e32 v158, s16, v111
	;; [unrolled: 1-line block ×4, first 2 shown]
	v_lshlrev_b32_e32 v147, 2, v143
	v_mov_b32_e32 v145, 0
	v_mov_b32_e32 v146, 0
	;; [unrolled: 1-line block ×3, first 2 shown]
	ds_read2_b32 v[5:6], v144 offset1:1
	ds_read_b128 v[165:168], v147 offset:33280
	ds_read2_b32 v[7:8], v158 offset1:1
	ds_read2_b32 v[9:10], v160 offset1:1
	ds_read2_b32 v[15:16], v158 offset0:2 offset1:3
	ds_read2_b32 v[13:14], v144 offset0:2 offset1:3
	ds_read2_b32 v[11:12], v164 offset1:1
	ds_read2_b32 v[19:20], v164 offset0:2 offset1:3
	ds_read2_b32 v[17:18], v160 offset0:2 offset1:3
	v_mov_b32_e32 v159, 0
	v_or_b32_e32 v162, s15, v103
	v_mov_b32_e32 v161, 0
	v_mov_b32_e32 v163, 0
	v_mov_b32_e32 v172, 0
	v_mov_b32_e32 v178, 0
	v_mov_b32_e32 v184, 0
	v_mov_b32_e32 v190, 0
	v_mov_b32_e32 v196, 0
	v_or_b32_e32 v198, s15, v109
	v_mov_b32_e32 v197, 0
	v_mov_b32_e32 v238, 0
	s_waitcnt lgkmcnt(7)
	v_dot4c_i32_i8 v145, v5, v165
	s_waitcnt lgkmcnt(6)
	v_dot4c_i32_i8 v146, v7, v165
	;; [unrolled: 2-line block ×3, first 2 shown]
	v_mov_b32_e32 v239, 0
	v_mov_b32_e32 v217, 0
	s_waitcnt lgkmcnt(2)
	v_dot4c_i32_i8 v159, v11, v165
	v_dot4c_i32_i8 v145, v6, v166
	;; [unrolled: 1-line block ×4, first 2 shown]
	v_mov_b32_e32 v165, 0
	v_dot4c_i32_i8 v159, v12, v166
	v_dot4c_i32_i8 v145, v13, v167
	;; [unrolled: 1-line block ×3, first 2 shown]
	s_waitcnt lgkmcnt(0)
	v_dot4c_i32_i8 v157, v17, v167
	v_lshlrev_b32_e32 v166, 2, v162
	v_dot4c_i32_i8 v159, v19, v167
	v_dot4c_i32_i8 v145, v14, v168
	;; [unrolled: 1-line block ×4, first 2 shown]
	v_mov_b32_e32 v167, 0
	v_dot4c_i32_i8 v159, v20, v168
	ds_read_b128 v[168:171], v166 offset:33280
	v_mov_b32_e32 v216, 0
	v_mov_b32_e32 v215, 0
	;; [unrolled: 1-line block ×12, first 2 shown]
	s_lshr_b32 s1, s1, 2
	s_and_b32 vcc_lo, exec_lo, s14
	s_add_i32 s1, s1, 0xa200
	s_mov_b32 s14, 0
	s_waitcnt lgkmcnt(0)
	v_dot4c_i32_i8 v161, v5, v168
	v_dot4c_i32_i8 v163, v7, v168
	v_dot4c_i32_i8 v165, v9, v168
	v_dot4c_i32_i8 v167, v11, v168
	v_mov_b32_e32 v168, 0
	v_dot4c_i32_i8 v161, v6, v169
	v_dot4c_i32_i8 v163, v8, v169
	v_dot4c_i32_i8 v165, v10, v169
	v_dot4c_i32_i8 v167, v12, v169
	v_or_b32_e32 v169, s15, v104
	v_dot4c_i32_i8 v161, v13, v170
	v_dot4c_i32_i8 v163, v15, v170
	v_dot4c_i32_i8 v165, v17, v170
	v_dot4c_i32_i8 v167, v19, v170
	v_lshlrev_b32_e32 v173, 2, v169
	v_dot4c_i32_i8 v161, v14, v171
	v_dot4c_i32_i8 v163, v16, v171
	v_dot4c_i32_i8 v165, v18, v171
	v_dot4c_i32_i8 v167, v20, v171
	ds_read_b128 v[174:177], v173 offset:33280
	v_mov_b32_e32 v170, 0
	v_mov_b32_e32 v171, 0
	s_waitcnt lgkmcnt(0)
	v_dot4c_i32_i8 v168, v5, v174
	v_dot4c_i32_i8 v170, v7, v174
	v_dot4c_i32_i8 v171, v9, v174
	v_dot4c_i32_i8 v172, v11, v174
	v_mov_b32_e32 v174, 0
	v_dot4c_i32_i8 v168, v6, v175
	v_dot4c_i32_i8 v170, v8, v175
	v_dot4c_i32_i8 v171, v10, v175
	v_dot4c_i32_i8 v172, v12, v175
	v_or_b32_e32 v175, s15, v105
	v_dot4c_i32_i8 v168, v13, v176
	v_dot4c_i32_i8 v170, v15, v176
	v_dot4c_i32_i8 v171, v17, v176
	v_dot4c_i32_i8 v172, v19, v176
	v_lshlrev_b32_e32 v179, 2, v175
	v_dot4c_i32_i8 v168, v14, v177
	v_dot4c_i32_i8 v170, v16, v177
	v_dot4c_i32_i8 v171, v18, v177
	v_dot4c_i32_i8 v172, v20, v177
	ds_read_b128 v[180:183], v179 offset:33280
	v_mov_b32_e32 v176, 0
	v_mov_b32_e32 v177, 0
	;; [unrolled: 23-line block ×5, first 2 shown]
	s_waitcnt lgkmcnt(0)
	v_dot4c_i32_i8 v192, v5, v200
	v_dot4c_i32_i8 v194, v7, v200
	;; [unrolled: 1-line block ×4, first 2 shown]
	v_lshlrev_b32_e32 v200, 2, v198
	v_dot4c_i32_i8 v192, v6, v201
	v_dot4c_i32_i8 v194, v8, v201
	;; [unrolled: 1-line block ×12, first 2 shown]
	ds_read_b128 v[201:204], v200 offset:33280
	s_waitcnt lgkmcnt(0)
	v_dot4c_i32_i8 v197, v5, v201
	v_mov_b32_e32 v5, 0
	v_dot4c_i32_i8 v197, v6, v202
	v_mov_b32_e32 v6, 0
	;; [unrolled: 2-line block ×3, first 2 shown]
	v_dot4c_i32_i8 v197, v13, v203
	v_dot4c_i32_i8 v6, v9, v201
	;; [unrolled: 1-line block ×4, first 2 shown]
	v_mov_b32_e32 v201, 0
	v_dot4c_i32_i8 v197, v14, v204
	v_dot4c_i32_i8 v6, v10, v202
	ds_read2_b32 v[222:223], v144 offset0:8 offset1:9
	ds_read_b128 v[8:11], v147 offset:33312
	ds_read2_b32 v[224:225], v158 offset0:8 offset1:9
	ds_read2_b32 v[226:227], v160 offset0:8 offset1:9
	;; [unrolled: 1-line block ×7, first 2 shown]
	ds_read_b128 v[218:221], v199 offset:33312
	v_dot4c_i32_i8 v7, v12, v202
	v_dot4c_i32_i8 v5, v15, v203
	;; [unrolled: 1-line block ×3, first 2 shown]
	v_mov_b32_e32 v202, 0
	v_mov_b32_e32 v15, 0
	v_dot4c_i32_i8 v7, v19, v203
	v_dot4c_i32_i8 v5, v16, v204
	;; [unrolled: 1-line block ×3, first 2 shown]
	v_mov_b32_e32 v203, 0
	v_mov_b32_e32 v19, 0
	v_dot4c_i32_i8 v7, v20, v204
	s_waitcnt lgkmcnt(8)
	v_dot4c_i32_i8 v238, v222, v8
	s_waitcnt lgkmcnt(7)
	;; [unrolled: 2-line block ×3, first 2 shown]
	v_dot4c_i32_i8 v217, v226, v8
	v_mov_b32_e32 v204, 0
	v_mov_b32_e32 v20, 0
	s_waitcnt lgkmcnt(3)
	v_dot4c_i32_i8 v216, v228, v8
	v_dot4c_i32_i8 v238, v223, v9
	;; [unrolled: 1-line block ×4, first 2 shown]
	v_mov_b32_e32 v18, 0
	v_dot4c_i32_i8 v216, v229, v9
	v_dot4c_i32_i8 v238, v230, v10
	;; [unrolled: 1-line block ×3, first 2 shown]
	s_waitcnt lgkmcnt(1)
	v_dot4c_i32_i8 v217, v234, v10
	v_mov_b32_e32 v16, 0
	v_dot4c_i32_i8 v216, v236, v10
	v_dot4c_i32_i8 v238, v231, v11
	;; [unrolled: 1-line block ×4, first 2 shown]
	v_mov_b32_e32 v14, 0
	v_dot4c_i32_i8 v216, v237, v11
	ds_read_b128 v[8:11], v166 offset:33312
	v_mov_b32_e32 v13, 0
	v_mov_b32_e32 v12, 0
	s_waitcnt lgkmcnt(1)
	v_dot4c_i32_i8 v14, v222, v218
	v_mov_b32_e32 v17, 0
	v_dot4c_i32_i8 v13, v224, v218
	v_dot4c_i32_i8 v12, v226, v218
	;; [unrolled: 1-line block ×9, first 2 shown]
	s_waitcnt lgkmcnt(0)
	v_dot4c_i32_i8 v215, v222, v8
	v_dot4c_i32_i8 v214, v224, v8
	;; [unrolled: 1-line block ×18, first 2 shown]
	ds_read_b128 v[8:11], v173 offset:33312
	s_waitcnt lgkmcnt(0)
	v_dot4c_i32_i8 v211, v222, v8
	v_dot4c_i32_i8 v210, v224, v8
	v_dot4c_i32_i8 v209, v226, v8
	v_dot4c_i32_i8 v208, v228, v8
	v_dot4c_i32_i8 v211, v223, v9
	v_dot4c_i32_i8 v210, v225, v9
	v_dot4c_i32_i8 v209, v227, v9
	v_dot4c_i32_i8 v208, v229, v9
	v_dot4c_i32_i8 v211, v230, v10
	v_dot4c_i32_i8 v210, v232, v10
	v_dot4c_i32_i8 v209, v234, v10
	v_dot4c_i32_i8 v208, v236, v10
	v_dot4c_i32_i8 v211, v231, v11
	v_dot4c_i32_i8 v210, v233, v11
	v_dot4c_i32_i8 v209, v235, v11
	v_dot4c_i32_i8 v208, v237, v11
	ds_read_b128 v[8:11], v179 offset:33312
	s_waitcnt lgkmcnt(0)
	v_dot4c_i32_i8 v207, v222, v8
	v_dot4c_i32_i8 v206, v224, v8
	v_dot4c_i32_i8 v205, v226, v8
	v_dot4c_i32_i8 v204, v228, v8
	v_dot4c_i32_i8 v207, v223, v9
	v_dot4c_i32_i8 v206, v225, v9
	v_dot4c_i32_i8 v205, v227, v9
	v_dot4c_i32_i8 v204, v229, v9
	v_dot4c_i32_i8 v207, v230, v10
	v_dot4c_i32_i8 v206, v232, v10
	v_dot4c_i32_i8 v205, v234, v10
	v_dot4c_i32_i8 v204, v236, v10
	v_dot4c_i32_i8 v207, v231, v11
	v_dot4c_i32_i8 v206, v233, v11
	v_dot4c_i32_i8 v205, v235, v11
	v_dot4c_i32_i8 v204, v237, v11
	;; [unrolled: 18-line block ×3, first 2 shown]
	ds_read_b128 v[8:11], v191 offset:33312
	s_waitcnt lgkmcnt(0)
	v_dot4c_i32_i8 v19, v222, v8
	v_dot4c_i32_i8 v18, v224, v8
	v_dot4c_i32_i8 v16, v226, v8
	v_dot4c_i32_i8 v15, v228, v8
	v_mov_b32_e32 v8, 0
	v_dot4c_i32_i8 v19, v223, v9
	v_dot4c_i32_i8 v18, v225, v9
	v_dot4c_i32_i8 v16, v227, v9
	v_dot4c_i32_i8 v15, v229, v9
	v_mov_b32_e32 v9, 0
	;; [unrolled: 5-line block ×4, first 2 shown]
	v_dot4c_i32_i8 v11, v228, v218
	v_dot4c_i32_i8 v11, v229, v219
	;; [unrolled: 1-line block ×4, first 2 shown]
	ds_read_b128 v[218:221], v200 offset:33312
	s_waitcnt lgkmcnt(0)
	v_dot4c_i32_i8 v8, v222, v218
	v_dot4c_i32_i8 v9, v224, v218
	;; [unrolled: 1-line block ×16, first 2 shown]
	ds_read2_b32 v[222:223], v144 offset0:4 offset1:5
	ds_read_b128 v[218:221], v147 offset:33296
	ds_read2_b32 v[224:225], v158 offset0:4 offset1:5
	ds_read2_b32 v[226:227], v160 offset0:4 offset1:5
	;; [unrolled: 1-line block ×7, first 2 shown]
	s_waitcnt lgkmcnt(7)
	v_dot4c_i32_i8 v145, v222, v218
	s_waitcnt lgkmcnt(6)
	v_dot4c_i32_i8 v146, v224, v218
	;; [unrolled: 2-line block ×4, first 2 shown]
	v_dot4c_i32_i8 v145, v223, v219
	v_dot4c_i32_i8 v146, v225, v219
	;; [unrolled: 1-line block ×6, first 2 shown]
	s_waitcnt lgkmcnt(0)
	v_dot4c_i32_i8 v157, v234, v220
	v_dot4c_i32_i8 v159, v236, v220
	v_dot4c_i32_i8 v145, v231, v221
	v_dot4c_i32_i8 v146, v233, v221
	v_dot4c_i32_i8 v157, v235, v221
	v_dot4c_i32_i8 v159, v237, v221
	ds_read_b128 v[218:221], v166 offset:33296
	s_waitcnt lgkmcnt(0)
	v_dot4c_i32_i8 v161, v222, v218
	v_dot4c_i32_i8 v163, v224, v218
	v_dot4c_i32_i8 v165, v226, v218
	v_dot4c_i32_i8 v167, v228, v218
	v_dot4c_i32_i8 v161, v223, v219
	v_dot4c_i32_i8 v163, v225, v219
	v_dot4c_i32_i8 v165, v227, v219
	v_dot4c_i32_i8 v167, v229, v219
	v_dot4c_i32_i8 v161, v230, v220
	v_dot4c_i32_i8 v163, v232, v220
	v_dot4c_i32_i8 v165, v234, v220
	v_dot4c_i32_i8 v167, v236, v220
	v_dot4c_i32_i8 v161, v231, v221
	v_dot4c_i32_i8 v163, v233, v221
	v_dot4c_i32_i8 v165, v235, v221
	v_dot4c_i32_i8 v167, v237, v221
	ds_read_b128 v[218:221], v173 offset:33296
	s_waitcnt lgkmcnt(0)
	v_dot4c_i32_i8 v168, v222, v218
	v_dot4c_i32_i8 v170, v224, v218
	v_dot4c_i32_i8 v171, v226, v218
	v_dot4c_i32_i8 v172, v228, v218
	v_dot4c_i32_i8 v168, v223, v219
	v_dot4c_i32_i8 v170, v225, v219
	v_dot4c_i32_i8 v171, v227, v219
	v_dot4c_i32_i8 v172, v229, v219
	v_dot4c_i32_i8 v168, v230, v220
	v_dot4c_i32_i8 v170, v232, v220
	;; [unrolled: 18-line block ×7, first 2 shown]
	v_dot4c_i32_i8 v6, v234, v220
	v_dot4c_i32_i8 v7, v236, v220
	;; [unrolled: 1-line block ×6, first 2 shown]
	ds_read2_b32 v[222:223], v144 offset0:12 offset1:13
	ds_read_b128 v[218:221], v147 offset:33328
	ds_read2_b32 v[224:225], v158 offset0:12 offset1:13
	ds_read2_b32 v[226:227], v160 offset0:12 offset1:13
	;; [unrolled: 1-line block ×7, first 2 shown]
	v_lshrrev_b32_e32 v147, 1, v143
	v_lshlrev_b32_e32 v143, 2, v87
	v_lshlrev_b32_e32 v144, 2, v43
	v_add3_u32 v158, s1, v143, v144
	s_waitcnt lgkmcnt(7)
	v_dot4c_i32_i8 v238, v222, v218
	s_waitcnt lgkmcnt(6)
	v_dot4c_i32_i8 v239, v224, v218
	s_waitcnt lgkmcnt(5)
	v_dot4c_i32_i8 v217, v226, v218
	ds_read_u16 v160, v158
	s_waitcnt lgkmcnt(3)
	v_dot4c_i32_i8 v216, v228, v218
	v_dot4c_i32_i8 v238, v223, v219
	v_dot4c_i32_i8 v239, v225, v219
	v_dot4c_i32_i8 v217, v227, v219
	v_dot4c_i32_i8 v216, v229, v219
	v_dot4c_i32_i8 v238, v230, v220
	v_dot4c_i32_i8 v239, v232, v220
	s_waitcnt lgkmcnt(2)
	v_dot4c_i32_i8 v217, v234, v220
	s_waitcnt lgkmcnt(1)
	v_dot4c_i32_i8 v216, v236, v220
	v_dot4c_i32_i8 v238, v231, v221
	v_dot4c_i32_i8 v239, v233, v221
	v_dot4c_i32_i8 v217, v235, v221
	v_dot4c_i32_i8 v216, v237, v221
	ds_read_b128 v[218:221], v166 offset:33328
	s_waitcnt lgkmcnt(0)
	v_dot4c_i32_i8 v215, v222, v218
	v_dot4c_i32_i8 v214, v224, v218
	v_dot4c_i32_i8 v213, v226, v218
	v_dot4c_i32_i8 v212, v228, v218
	v_dot4c_i32_i8 v215, v223, v219
	v_dot4c_i32_i8 v214, v225, v219
	v_dot4c_i32_i8 v213, v227, v219
	v_dot4c_i32_i8 v212, v229, v219
	v_dot4c_i32_i8 v215, v230, v220
	v_dot4c_i32_i8 v214, v232, v220
	v_dot4c_i32_i8 v213, v234, v220
	v_dot4c_i32_i8 v212, v236, v220
	v_dot4c_i32_i8 v215, v231, v221
	v_dot4c_i32_i8 v214, v233, v221
	v_dot4c_i32_i8 v213, v235, v221
	v_dot4c_i32_i8 v212, v237, v221
	ds_read_b128 v[218:221], v173 offset:33328
	s_waitcnt lgkmcnt(0)
	v_dot4c_i32_i8 v211, v222, v218
	v_dot4c_i32_i8 v210, v224, v218
	v_dot4c_i32_i8 v209, v226, v218
	v_dot4c_i32_i8 v208, v228, v218
	v_dot4c_i32_i8 v211, v223, v219
	v_dot4c_i32_i8 v210, v225, v219
	v_dot4c_i32_i8 v209, v227, v219
	v_dot4c_i32_i8 v208, v229, v219
	v_dot4c_i32_i8 v211, v230, v220
	v_dot4c_i32_i8 v210, v232, v220
	v_dot4c_i32_i8 v209, v234, v220
	;; [unrolled: 18-line block ×6, first 2 shown]
	v_dot4c_i32_i8 v11, v236, v220
	v_dot4c_i32_i8 v14, v231, v221
	;; [unrolled: 1-line block ×5, first 2 shown]
	ds_read_b128 v[218:221], v200 offset:33328
	ds_read_b64 v[199:200], v147 offset:43584
	v_and_b32_sdwa v164, v139, v160 dst_sel:DWORD dst_unused:UNUSED_PAD src0_sel:DWORD src1_sel:BYTE_1
	v_and_b32_e32 v160, 0xff, v160
	v_mul_lo_u32 v166, v238, v164
	v_mul_lo_u32 v145, v145, v160
	;; [unrolled: 1-line block ×4, first 2 shown]
	v_cvt_f32_i32_e32 v166, v166
	v_cvt_f32_i32_e32 v145, v145
	s_waitcnt lgkmcnt(1)
	v_dot4c_i32_i8 v8, v222, v218
	s_waitcnt lgkmcnt(0)
	v_fma_mix_f32 v145, v199, v145, 0 op_sel_hi:[1,0,0]
	v_dot4c_i32_i8 v9, v224, v218
	v_dot4c_i32_i8 v10, v226, v218
	v_dot4c_i32_i8 v17, v228, v218
	v_dot4c_i32_i8 v8, v223, v219
	v_fma_mix_f32 v166, v200, v166, v145 op_sel_hi:[1,0,0]
	v_lshlrev_b32_e32 v145, 2, v96
	v_dot4c_i32_i8 v9, v225, v219
	v_dot4c_i32_i8 v10, v227, v219
	;; [unrolled: 1-line block ×4, first 2 shown]
	v_add3_u32 v173, s1, v145, v140
	v_dot4c_i32_i8 v9, v232, v220
	v_dot4c_i32_i8 v10, v234, v220
	;; [unrolled: 1-line block ×4, first 2 shown]
	ds_read_u16 v147, v173
	v_dot4c_i32_i8 v9, v233, v221
	v_dot4c_i32_i8 v10, v235, v221
	;; [unrolled: 1-line block ×3, first 2 shown]
	v_mul_lo_u32 v8, v8, v164
	v_cvt_f32_i32_e32 v8, v8
	s_waitcnt lgkmcnt(0)
	v_and_b32_e32 v179, 0xff, v147
	v_and_b32_sdwa v185, v139, v147 dst_sel:DWORD dst_unused:UNUSED_PAD src0_sel:DWORD src1_sel:BYTE_1
	v_mul_lo_u32 v146, v146, v179
	v_mul_lo_u32 v147, v239, v185
	;; [unrolled: 1-line block ×6, first 2 shown]
	v_cvt_f32_i32_e32 v146, v146
	v_cvt_f32_i32_e32 v147, v147
	;; [unrolled: 1-line block ×5, first 2 shown]
	v_fma_mix_f32 v146, v199, v146, 0 op_sel_hi:[1,0,0]
	v_cvt_f32_i32_e32 v9, v9
	v_fma_mix_f32 v191, v200, v147, v146 op_sel_hi:[1,0,0]
	v_lshlrev_b32_e32 v146, 2, v97
	v_add3_u32 v218, s1, v146, v141
	ds_read_u16 v147, v218
	s_waitcnt lgkmcnt(0)
	v_and_b32_e32 v219, 0xff, v147
	v_and_b32_sdwa v220, v139, v147 dst_sel:DWORD dst_unused:UNUSED_PAD src0_sel:DWORD src1_sel:BYTE_1
	v_mul_lo_u32 v147, v157, v219
	v_mul_lo_u32 v157, v217, v220
	;; [unrolled: 1-line block ×6, first 2 shown]
	v_cvt_f32_i32_e32 v147, v147
	v_cvt_f32_i32_e32 v157, v157
	;; [unrolled: 1-line block ×5, first 2 shown]
	v_fma_mix_f32 v147, v199, v147, 0 op_sel_hi:[1,0,0]
	v_fma_mix_f32 v217, v200, v157, v147 op_sel_hi:[1,0,0]
	v_lshlrev_b32_e32 v147, 2, v98
	v_add3_u32 v157, s1, v147, v142
	s_mov_b32 s1, 8
	ds_read_u16 v221, v157
	s_waitcnt lgkmcnt(0)
	v_and_b32_e32 v222, 0xff, v221
	v_and_b32_sdwa v221, v139, v221 dst_sel:DWORD dst_unused:UNUSED_PAD src0_sel:DWORD src1_sel:BYTE_1
	v_mul_lo_u32 v159, v159, v222
	v_mul_lo_u32 v216, v216, v221
	;; [unrolled: 1-line block ×7, first 2 shown]
	v_cvt_f32_i32_e32 v159, v159
	v_cvt_f32_i32_e32 v216, v216
	;; [unrolled: 1-line block ×5, first 2 shown]
	v_fma_mix_f32 v159, v199, v159, 0 op_sel_hi:[1,0,0]
	v_cvt_f32_i32_e32 v7, v7
	v_fma_mix_f32 v159, v200, v216, v159 op_sel_hi:[1,0,0]
	ds_read_u8 v216, v158 offset:8
	ds_read_u8 v158, v158 offset:9
	ds_read_u16 v173, v173 offset:8
	ds_read_u16 v218, v218 offset:8
	;; [unrolled: 1-line block ×3, first 2 shown]
	s_waitcnt lgkmcnt(4)
	v_cvt_f32_ubyte0_e32 v216, v216
	s_waitcnt lgkmcnt(3)
	v_cvt_f32_ubyte0_e32 v223, v158
	;; [unrolled: 2-line block ×3, first 2 shown]
	v_cvt_f32_ubyte1_e32 v173, v173
	s_waitcnt lgkmcnt(0)
	v_cvt_f32_ubyte0_e32 v226, v157
	v_cvt_f32_ubyte1_e32 v227, v157
	v_fma_mix_f32 v157, v199, v216, 0 op_sel:[1,0,0] op_sel_hi:[1,0,0]
	v_cvt_f32_ubyte0_e32 v225, v218
	v_cvt_f32_ubyte1_e32 v218, v218
	v_mul_lo_u32 v158, v161, v160
	v_mul_lo_u32 v161, v215, v164
	v_fma_mix_f32 v228, v200, v223, v157 op_sel:[1,0,0] op_sel_hi:[1,0,0]
	v_fma_mix_f32 v157, v199, v224, 0 op_sel:[1,0,0] op_sel_hi:[1,0,0]
	;; [unrolled: 1-line block ×4, first 2 shown]
	v_cvt_f32_i32_e32 v161, v161
	v_fma_mix_f32 v230, v200, v218, v157 op_sel:[1,0,0] op_sel_hi:[1,0,0]
	v_fma_mix_f32 v157, v199, v226, 0 op_sel:[1,0,0] op_sel_hi:[1,0,0]
	;; [unrolled: 1-line block ×3, first 2 shown]
	v_lshrrev_b32_e32 v157, 1, v162
	v_cvt_f32_i32_e32 v162, v158
	ds_read_b64 v[157:158], v157 offset:43584
	s_waitcnt lgkmcnt(0)
	v_fma_mix_f32 v162, v162, v157, 0 op_sel_hi:[0,1,0]
	v_fma_mix_f32 v200, v224, v157, 0 op_sel:[0,1,0] op_sel_hi:[0,1,0]
	v_fma_mix_f32 v161, v161, v158, v162 op_sel_hi:[0,1,0]
	v_mul_lo_u32 v162, v163, v179
	v_mul_lo_u32 v163, v214, v185
	v_fma_mix_f32 v200, v173, v158, v200 op_sel:[0,1,0] op_sel_hi:[0,1,0]
	v_cvt_f32_i32_e32 v162, v162
	v_cvt_f32_i32_e32 v163, v163
	v_fma_mix_f32 v162, v162, v157, 0 op_sel_hi:[0,1,0]
	v_fma_mix_f32 v162, v163, v158, v162 op_sel_hi:[0,1,0]
	v_mul_lo_u32 v163, v165, v219
	v_mul_lo_u32 v165, v213, v220
	v_cvt_f32_i32_e32 v163, v163
	v_cvt_f32_i32_e32 v165, v165
	v_fma_mix_f32 v163, v163, v157, 0 op_sel_hi:[0,1,0]
	v_fma_mix_f32 v163, v165, v158, v163 op_sel_hi:[0,1,0]
	v_mul_lo_u32 v165, v167, v222
	v_mul_lo_u32 v167, v212, v221
	v_fma_mix_f32 v212, v225, v157, 0 op_sel:[0,1,0] op_sel_hi:[0,1,0]
	v_fma_mix_f32 v212, v218, v158, v212 op_sel:[0,1,0] op_sel_hi:[0,1,0]
	v_cvt_f32_i32_e32 v165, v165
	v_cvt_f32_i32_e32 v167, v167
	v_fma_mix_f32 v165, v165, v157, 0 op_sel_hi:[0,1,0]
	v_fma_mix_f32 v165, v167, v158, v165 op_sel_hi:[0,1,0]
	v_fma_mix_f32 v167, v216, v157, 0 op_sel:[0,1,0] op_sel_hi:[0,1,0]
	v_fma_mix_f32 v157, v226, v157, 0 op_sel:[0,1,0] op_sel_hi:[0,1,0]
	;; [unrolled: 1-line block ×4, first 2 shown]
	v_mul_lo_u32 v158, v168, v160
	v_lshrrev_b32_e32 v157, 1, v169
	v_mul_lo_u32 v168, v211, v164
	v_cvt_f32_i32_e32 v169, v158
	ds_read_b64 v[157:158], v157 offset:43584
	v_cvt_f32_i32_e32 v168, v168
	s_waitcnt lgkmcnt(0)
	v_fma_mix_f32 v169, v169, v157, 0 op_sel_hi:[0,1,0]
	v_fma_mix_f32 v168, v168, v158, v169 op_sel_hi:[0,1,0]
	v_mul_lo_u32 v169, v170, v179
	v_mul_lo_u32 v170, v210, v185
	v_cvt_f32_i32_e32 v169, v169
	v_cvt_f32_i32_e32 v170, v170
	v_fma_mix_f32 v169, v169, v157, 0 op_sel_hi:[0,1,0]
	v_fma_mix_f32 v169, v170, v158, v169 op_sel_hi:[0,1,0]
	v_mul_lo_u32 v170, v171, v219
	v_mul_lo_u32 v171, v209, v220
	v_fma_mix_f32 v209, v225, v157, 0 op_sel:[0,1,0] op_sel_hi:[0,1,0]
	v_fma_mix_f32 v209, v218, v158, v209 op_sel:[0,1,0] op_sel_hi:[0,1,0]
	v_cvt_f32_i32_e32 v170, v170
	v_cvt_f32_i32_e32 v171, v171
	v_fma_mix_f32 v170, v170, v157, 0 op_sel_hi:[0,1,0]
	v_fma_mix_f32 v170, v171, v158, v170 op_sel_hi:[0,1,0]
	v_mul_lo_u32 v171, v172, v222
	v_mul_lo_u32 v172, v208, v221
	v_fma_mix_f32 v208, v224, v157, 0 op_sel:[0,1,0] op_sel_hi:[0,1,0]
	v_fma_mix_f32 v208, v173, v158, v208 op_sel:[0,1,0] op_sel_hi:[0,1,0]
	v_cvt_f32_i32_e32 v171, v171
	v_cvt_f32_i32_e32 v172, v172
	v_fma_mix_f32 v171, v171, v157, 0 op_sel_hi:[0,1,0]
	v_fma_mix_f32 v171, v172, v158, v171 op_sel_hi:[0,1,0]
	v_fma_mix_f32 v172, v216, v157, 0 op_sel:[0,1,0] op_sel_hi:[0,1,0]
	v_fma_mix_f32 v157, v226, v157, 0 op_sel:[0,1,0] op_sel_hi:[0,1,0]
	;; [unrolled: 1-line block ×4, first 2 shown]
	v_mul_lo_u32 v158, v174, v160
	v_lshrrev_b32_e32 v157, 1, v175
	v_mul_lo_u32 v174, v207, v164
	v_cvt_f32_i32_e32 v175, v158
	ds_read_b64 v[157:158], v157 offset:43584
	v_cvt_f32_i32_e32 v174, v174
	s_waitcnt lgkmcnt(0)
	v_fma_mix_f32 v175, v175, v157, 0 op_sel_hi:[0,1,0]
	v_fma_mix_f32 v174, v174, v158, v175 op_sel_hi:[0,1,0]
	v_mul_lo_u32 v175, v176, v179
	v_mul_lo_u32 v176, v206, v185
	v_cvt_f32_i32_e32 v175, v175
	v_cvt_f32_i32_e32 v176, v176
	v_fma_mix_f32 v175, v175, v157, 0 op_sel_hi:[0,1,0]
	v_fma_mix_f32 v175, v176, v158, v175 op_sel_hi:[0,1,0]
	v_mul_lo_u32 v176, v177, v219
	v_mul_lo_u32 v177, v205, v220
	v_fma_mix_f32 v205, v225, v157, 0 op_sel:[0,1,0] op_sel_hi:[0,1,0]
	v_fma_mix_f32 v205, v218, v158, v205 op_sel:[0,1,0] op_sel_hi:[0,1,0]
	v_cvt_f32_i32_e32 v176, v176
	v_cvt_f32_i32_e32 v177, v177
	v_fma_mix_f32 v176, v176, v157, 0 op_sel_hi:[0,1,0]
	v_fma_mix_f32 v176, v177, v158, v176 op_sel_hi:[0,1,0]
	v_mul_lo_u32 v177, v178, v222
	v_mul_lo_u32 v178, v204, v221
	v_fma_mix_f32 v204, v224, v157, 0 op_sel:[0,1,0] op_sel_hi:[0,1,0]
	v_fma_mix_f32 v204, v173, v158, v204 op_sel:[0,1,0] op_sel_hi:[0,1,0]
	v_cvt_f32_i32_e32 v177, v177
	v_cvt_f32_i32_e32 v178, v178
	v_fma_mix_f32 v177, v177, v157, 0 op_sel_hi:[0,1,0]
	v_fma_mix_f32 v177, v178, v158, v177 op_sel_hi:[0,1,0]
	v_fma_mix_f32 v178, v216, v157, 0 op_sel:[0,1,0] op_sel_hi:[0,1,0]
	v_fma_mix_f32 v157, v226, v157, 0 op_sel:[0,1,0] op_sel_hi:[0,1,0]
	;; [unrolled: 1-line block ×4, first 2 shown]
	v_mul_lo_u32 v158, v180, v160
	v_lshrrev_b32_e32 v157, 1, v181
	v_mul_lo_u32 v180, v203, v164
	v_mul_f32_e32 v164, v209, v153
	v_cvt_f32_i32_e32 v181, v158
	ds_read_b64 v[157:158], v157 offset:43584
	v_cvt_f32_i32_e32 v180, v180
	v_fma_f32 v164, v170, v154, -v164
	v_add_f32_e32 v46, v46, v164
	s_waitcnt lgkmcnt(0)
	v_fma_mix_f32 v181, v181, v157, 0 op_sel_hi:[0,1,0]
	v_fma_mix_f32 v180, v180, v158, v181 op_sel_hi:[0,1,0]
	v_mul_lo_u32 v181, v182, v179
	v_mul_lo_u32 v182, v202, v185
	v_cvt_f32_i32_e32 v181, v181
	v_cvt_f32_i32_e32 v182, v182
	v_fma_mix_f32 v181, v181, v157, 0 op_sel_hi:[0,1,0]
	v_fma_mix_f32 v181, v182, v158, v181 op_sel_hi:[0,1,0]
	v_mul_lo_u32 v182, v183, v219
	v_mul_lo_u32 v183, v201, v220
	v_cvt_f32_i32_e32 v182, v182
	v_cvt_f32_i32_e32 v183, v183
	v_fma_mix_f32 v182, v182, v157, 0 op_sel_hi:[0,1,0]
	v_fma_mix_f32 v182, v183, v158, v182 op_sel_hi:[0,1,0]
	v_mul_lo_u32 v183, v184, v222
	v_cvt_f32_i32_e32 v183, v183
	v_fma_mix_f32 v183, v183, v157, 0 op_sel_hi:[0,1,0]
	v_fma_mix_f32 v183, v20, v158, v183 op_sel_hi:[0,1,0]
	v_fma_mix_f32 v20, v216, v157, 0 op_sel:[0,1,0] op_sel_hi:[0,1,0]
	v_fma_mix_f32 v184, v223, v158, v20 op_sel:[0,1,0] op_sel_hi:[0,1,0]
	;; [unrolled: 1-line block ×3, first 2 shown]
	v_mul_f32_e32 v170, v184, v150
	v_fma_mix_f32 v201, v173, v158, v20 op_sel:[0,1,0] op_sel_hi:[0,1,0]
	v_fma_mix_f32 v20, v225, v157, 0 op_sel:[0,1,0] op_sel_hi:[0,1,0]
	v_fma_f32 v170, v180, v149, -v170
	v_fma_mix_f32 v202, v218, v158, v20 op_sel:[0,1,0] op_sel_hi:[0,1,0]
	v_fma_mix_f32 v20, v226, v157, 0 op_sel:[0,1,0] op_sel_hi:[0,1,0]
	v_add_f32_e32 v37, v37, v170
	v_fma_mix_f32 v157, v227, v158, v20 op_sel:[0,1,0] op_sel_hi:[0,1,0]
	v_lshrrev_b32_e32 v20, 1, v187
	v_mul_lo_u32 v158, v186, v160
	v_cvt_f32_i32_e32 v186, v19
	v_mul_f32_e32 v157, v157, v155
	ds_read_b64 v[19:20], v20 offset:43584
	v_cvt_f32_i32_e32 v158, v158
	v_fma_f32 v157, v183, v156, -v157
	v_add_f32_e32 v33, v33, v157
	s_waitcnt lgkmcnt(0)
	v_fma_mix_f32 v158, v158, v19, 0 op_sel_hi:[0,1,0]
	v_fma_mix_f32 v158, v186, v20, v158 op_sel_hi:[0,1,0]
	v_mul_lo_u32 v186, v188, v179
	v_cvt_f32_i32_e32 v186, v186
	v_fma_mix_f32 v186, v186, v19, 0 op_sel_hi:[0,1,0]
	v_fma_mix_f32 v18, v18, v20, v186 op_sel_hi:[0,1,0]
	v_mul_lo_u32 v186, v189, v219
	v_cvt_f32_i32_e32 v186, v186
	;; [unrolled: 4-line block ×3, first 2 shown]
	v_cvt_f32_i32_e32 v186, v186
	v_fma_mix_f32 v186, v186, v19, 0 op_sel_hi:[0,1,0]
	v_fma_mix_f32 v186, v15, v20, v186 op_sel_hi:[0,1,0]
	v_fma_mix_f32 v15, v216, v19, 0 op_sel:[0,1,0] op_sel_hi:[0,1,0]
	v_fma_mix_f32 v187, v223, v20, v15 op_sel:[0,1,0] op_sel_hi:[0,1,0]
	;; [unrolled: 1-line block ×8, first 2 shown]
	v_lshrrev_b32_e32 v15, 1, v193
	v_mul_lo_u32 v20, v192, v160
	v_mul_lo_u32 v160, v197, v160
	v_mul_f32_e32 v19, v19, v155
	ds_read_b64 v[14:15], v15 offset:43584
	v_cvt_f32_i32_e32 v20, v20
	v_cvt_f32_i32_e32 v160, v160
	v_fma_f32 v19, v186, v156, -v19
	v_add_f32_e32 v29, v29, v19
	s_waitcnt lgkmcnt(0)
	v_fma_mix_f32 v20, v20, v14, 0 op_sel_hi:[0,1,0]
	v_fma_mix_f32 v20, v190, v15, v20 op_sel_hi:[0,1,0]
	v_mul_lo_u32 v190, v194, v179
	v_cvt_f32_i32_e32 v190, v190
	v_fma_mix_f32 v190, v190, v14, 0 op_sel_hi:[0,1,0]
	v_fma_mix_f32 v13, v13, v15, v190 op_sel_hi:[0,1,0]
	v_mul_lo_u32 v190, v195, v219
	v_cvt_f32_i32_e32 v190, v190
	;; [unrolled: 4-line block ×3, first 2 shown]
	v_fma_mix_f32 v12, v12, v14, 0 op_sel_hi:[0,1,0]
	v_fma_mix_f32 v192, v11, v15, v12 op_sel_hi:[0,1,0]
	v_fma_mix_f32 v11, v216, v14, 0 op_sel:[0,1,0] op_sel_hi:[0,1,0]
	v_fma_mix_f32 v193, v223, v15, v11 op_sel:[0,1,0] op_sel_hi:[0,1,0]
	;; [unrolled: 1-line block ×8, first 2 shown]
	v_lshrrev_b32_e32 v11, 1, v198
	v_mul_f32_e32 v14, v14, v155
	ds_read_b64 v[11:12], v11 offset:43584
	v_fma_f32 v14, v192, v156, -v14
	v_add_f32_e32 v25, v25, v14
	s_waitcnt lgkmcnt(0)
	v_fma_mix_f32 v5, v5, v11, 0 op_sel_hi:[0,1,0]
	v_fma_mix_f32 v6, v6, v11, 0 op_sel_hi:[0,1,0]
	;; [unrolled: 1-line block ×3, first 2 shown]
	v_fma_mix_f32 v15, v216, v11, 0 op_sel:[0,1,0] op_sel_hi:[0,1,0]
	v_fma_mix_f32 v196, v224, v11, 0 op_sel:[0,1,0] op_sel_hi:[0,1,0]
	v_fma_mix_f32 v5, v9, v12, v5 op_sel_hi:[0,1,0]
	v_cvt_f32_i32_e32 v9, v10
	v_fma_mix_f32 v198, v226, v11, 0 op_sel:[0,1,0] op_sel_hi:[0,1,0]
	v_fma_mix_f32 v15, v223, v12, v15 op_sel:[0,1,0] op_sel_hi:[0,1,0]
	v_fma_mix_f32 v173, v173, v12, v196 op_sel:[0,1,0] op_sel_hi:[0,1,0]
	v_fma_mix_f32 v196, v225, v11, 0 op_sel:[0,1,0] op_sel_hi:[0,1,0]
	v_fma_mix_f32 v6, v9, v12, v6 op_sel_hi:[0,1,0]
	v_cvt_f32_i32_e32 v9, v17
	v_fma_mix_f32 v160, v160, v11, 0 op_sel_hi:[0,1,0]
	v_fma_mix_f32 v198, v227, v12, v198 op_sel:[0,1,0] op_sel_hi:[0,1,0]
	v_fma_mix_f32 v196, v218, v12, v196 op_sel:[0,1,0] op_sel_hi:[0,1,0]
	v_mul_f32_e32 v17, v167, v150
	v_fma_mix_f32 v7, v9, v12, v7 op_sel_hi:[0,1,0]
	v_mul_f32_e32 v9, v228, v150
	v_fma_mix_f32 v8, v8, v12, v160 op_sel_hi:[0,1,0]
	v_mul_f32_e32 v12, v199, v155
	v_mul_f32_e32 v15, v15, v150
	v_fma_f32 v17, v161, v149, -v17
	v_fma_f32 v9, v166, v149, -v9
	v_mul_f32_e32 v166, v178, v150
	v_fma_f32 v12, v159, v156, -v12
	v_mul_f32_e32 v159, v200, v151
	v_mul_f32_e32 v160, v212, v153
	;; [unrolled: 1-line block ×3, first 2 shown]
	v_fma_f32 v166, v174, v149, -v166
	v_mul_f32_e32 v174, v187, v150
	v_fma_f32 v8, v8, v149, -v15
	v_mul_f32_e32 v15, v173, v151
	v_fma_f32 v159, v162, v152, -v159
	v_fma_f32 v160, v163, v154, -v160
	;; [unrolled: 1-line block ×3, first 2 shown]
	v_mul_f32_e32 v174, v188, v151
	v_fma_f32 v161, v165, v156, -v161
	v_mul_f32_e32 v162, v172, v150
	v_mul_f32_e32 v163, v208, v151
	;; [unrolled: 1-line block ×3, first 2 shown]
	v_fma_f32 v18, v18, v152, -v174
	v_mul_f32_e32 v174, v189, v153
	v_fma_f32 v5, v5, v152, -v15
	v_mul_f32_e32 v15, v196, v153
	v_mul_f32_e32 v10, v229, v151
	;; [unrolled: 1-line block ×3, first 2 shown]
	v_fma_f32 v16, v16, v154, -v174
	v_mul_f32_e32 v174, v193, v150
	v_fma_f32 v162, v168, v149, -v162
	v_fma_f32 v163, v169, v152, -v163
	;; [unrolled: 1-line block ×3, first 2 shown]
	v_mul_f32_e32 v167, v204, v151
	v_fma_f32 v20, v20, v149, -v174
	v_mul_f32_e32 v174, v194, v151
	v_mul_f32_e32 v168, v205, v153
	;; [unrolled: 1-line block ×5, first 2 shown]
	v_fma_f32 v13, v13, v152, -v174
	v_mul_f32_e32 v174, v195, v153
	v_fma_f32 v6, v6, v154, -v15
	v_mul_f32_e32 v15, v198, v155
	v_fma_f32 v10, v191, v152, -v10
	v_fma_f32 v11, v217, v154, -v11
	;; [unrolled: 1-line block ×9, first 2 shown]
	v_add_f32_e32 v84, v84, v9
	v_add_f32_e32 v79, v79, v10
	;; [unrolled: 1-line block ×27, first 2 shown]
	s_cbranch_vccnz .LBB133_6
; %bb.7:                                ;   in Loop: Header=BB133_5 Depth=1
	v_add_nc_u32_e32 v17, s0, v96
	v_add_nc_u32_e32 v15, 4, v148
	s_barrier
	buffer_gl0_inv
	v_add_nc_u32_e32 v5, v17, v88
	v_add_nc_u32_e32 v7, v17, v89
	;; [unrolled: 1-line block ×5, first 2 shown]
	v_mad_u64_u32 v[15:16], null, v15, 36, s[2:3]
	v_mad_i64_i32 v[5:6], null, v5, 36, v[3:4]
	v_add_nc_u32_e32 v18, v17, v93
	v_mad_i64_i32 v[7:8], null, v7, 36, v[3:4]
	v_add_nc_u32_e32 v19, v17, v94
	;; [unrolled: 2-line block ×3, first 2 shown]
	v_mad_i64_i32 v[11:12], null, v11, 36, v[3:4]
	v_mad_i64_i32 v[13:14], null, v13, 36, v[3:4]
	v_mad_i64_i32 v[17:18], null, v18, 36, v[3:4]
	v_mad_i64_i32 v[19:20], null, v19, 36, v[3:4]
	v_mad_i64_i32 v[148:149], null, v148, 36, v[3:4]
	s_clause 0x8
	global_load_dword v15, v[15:16], off
	global_load_dword v5, v[5:6], off offset:4
	global_load_dword v6, v[7:8], off offset:4
	;; [unrolled: 1-line block ×8, first 2 shown]
	s_mov_b32 s0, 16
	s_waitcnt vmcnt(8)
	ds_write_b32 v86, v15
	s_waitcnt vmcnt(7)
	ds_write_b32 v116, v5
	;; [unrolled: 2-line block ×9, first 2 shown]
	s_waitcnt lgkmcnt(0)
	s_barrier
	buffer_gl0_inv
	ds_read_b32 v5, v99
	ds_read_b32 v6, v100 offset:128
	ds_read_b32 v7, v101 offset:256
	;; [unrolled: 1-line block ×3, first 2 shown]
	s_waitcnt lgkmcnt(3)
	v_cvt_f32_f16_e32 v148, v5
	v_cvt_f32_f16_sdwa v149, v5 dst_sel:DWORD dst_unused:UNUSED_PAD src0_sel:WORD_1
	s_waitcnt lgkmcnt(2)
	v_cvt_f32_f16_sdwa v150, v6 dst_sel:DWORD dst_unused:UNUSED_PAD src0_sel:WORD_1
	v_cvt_f32_f16_e32 v151, v6
	s_waitcnt lgkmcnt(1)
	v_cvt_f32_f16_sdwa v152, v7 dst_sel:DWORD dst_unused:UNUSED_PAD src0_sel:WORD_1
	v_cvt_f32_f16_e32 v153, v7
	;; [unrolled: 3-line block ×3, first 2 shown]
.LBB133_8:                              ;   Parent Loop BB133_5 Depth=1
                                        ; =>  This Inner Loop Header: Depth=2
	s_lshl_b32 s1, s0, 1
	s_lshl_b32 s14, s0, 3
	s_and_b32 s1, s1, 16
	v_add_nc_u32_e32 v159, s14, v110
	v_or_b32_e32 v157, s1, v49
	v_add_nc_u32_e32 v162, s14, v111
	v_add_nc_u32_e32 v164, s14, v112
	;; [unrolled: 1-line block ×3, first 2 shown]
	v_mov_b32_e32 v156, 0
	v_lshlrev_b32_e32 v160, 2, v157
	v_mov_b32_e32 v158, 0
	v_mov_b32_e32 v161, 0
	;; [unrolled: 1-line block ×3, first 2 shown]
	ds_read2_b32 v[5:6], v159 offset1:1
	ds_read_b128 v[168:171], v160 offset:33280
	ds_read2_b32 v[7:8], v162 offset1:1
	ds_read2_b32 v[9:10], v164 offset1:1
	ds_read2_b32 v[15:16], v162 offset0:2 offset1:3
	ds_read2_b32 v[13:14], v159 offset0:2 offset1:3
	ds_read2_b32 v[11:12], v167 offset1:1
	ds_read2_b32 v[19:20], v167 offset0:2 offset1:3
	ds_read2_b32 v[17:18], v164 offset0:2 offset1:3
	v_or_b32_e32 v166, s1, v103
	v_mov_b32_e32 v165, 0
	v_mov_b32_e32 v176, 0
	;; [unrolled: 1-line block ×11, first 2 shown]
	s_waitcnt lgkmcnt(7)
	v_dot4c_i32_i8 v156, v5, v168
	s_waitcnt lgkmcnt(6)
	v_dot4c_i32_i8 v158, v7, v168
	;; [unrolled: 2-line block ×3, first 2 shown]
	v_mov_b32_e32 v232, 0
	v_mov_b32_e32 v231, 0
	s_waitcnt lgkmcnt(2)
	v_dot4c_i32_i8 v163, v11, v168
	v_dot4c_i32_i8 v156, v6, v169
	;; [unrolled: 1-line block ×4, first 2 shown]
	v_mov_b32_e32 v168, 0
	v_dot4c_i32_i8 v163, v12, v169
	v_dot4c_i32_i8 v156, v13, v170
	;; [unrolled: 1-line block ×3, first 2 shown]
	s_waitcnt lgkmcnt(0)
	v_dot4c_i32_i8 v161, v17, v170
	v_mov_b32_e32 v169, 0
	v_dot4c_i32_i8 v163, v19, v170
	v_lshlrev_b32_e32 v170, 2, v166
	v_dot4c_i32_i8 v156, v14, v171
	v_dot4c_i32_i8 v158, v16, v171
	;; [unrolled: 1-line block ×4, first 2 shown]
	ds_read_b128 v[172:175], v170 offset:33280
	v_mov_b32_e32 v171, 0
	v_mov_b32_e32 v230, 0
	;; [unrolled: 1-line block ×19, first 2 shown]
	s_waitcnt lgkmcnt(0)
	v_dot4c_i32_i8 v165, v5, v172
	v_dot4c_i32_i8 v168, v7, v172
	;; [unrolled: 1-line block ×4, first 2 shown]
	v_mov_b32_e32 v172, 0
	v_dot4c_i32_i8 v165, v6, v173
	v_dot4c_i32_i8 v168, v8, v173
	v_dot4c_i32_i8 v169, v10, v173
	v_dot4c_i32_i8 v171, v12, v173
	v_or_b32_e32 v173, s1, v104
	v_dot4c_i32_i8 v165, v13, v174
	v_dot4c_i32_i8 v168, v15, v174
	;; [unrolled: 1-line block ×4, first 2 shown]
	v_lshlrev_b32_e32 v177, 2, v173
	v_dot4c_i32_i8 v165, v14, v175
	v_dot4c_i32_i8 v168, v16, v175
	v_dot4c_i32_i8 v169, v18, v175
	v_dot4c_i32_i8 v171, v20, v175
	ds_read_b128 v[178:181], v177 offset:33280
	v_mov_b32_e32 v174, 0
	v_mov_b32_e32 v175, 0
	;; [unrolled: 1-line block ×3, first 2 shown]
	s_waitcnt lgkmcnt(0)
	v_dot4c_i32_i8 v172, v5, v178
	v_dot4c_i32_i8 v174, v7, v178
	v_dot4c_i32_i8 v175, v9, v178
	v_dot4c_i32_i8 v176, v11, v178
	v_mov_b32_e32 v178, 0
	v_dot4c_i32_i8 v172, v6, v179
	v_dot4c_i32_i8 v174, v8, v179
	v_dot4c_i32_i8 v175, v10, v179
	v_dot4c_i32_i8 v176, v12, v179
	v_or_b32_e32 v179, s1, v105
	v_dot4c_i32_i8 v172, v13, v180
	v_dot4c_i32_i8 v174, v15, v180
	v_dot4c_i32_i8 v175, v17, v180
	v_dot4c_i32_i8 v176, v19, v180
	v_lshlrev_b32_e32 v183, 2, v179
	v_dot4c_i32_i8 v172, v14, v181
	v_dot4c_i32_i8 v174, v16, v181
	v_dot4c_i32_i8 v175, v18, v181
	v_dot4c_i32_i8 v176, v20, v181
	ds_read_b128 v[184:187], v183 offset:33280
	v_mov_b32_e32 v180, 0
	v_mov_b32_e32 v181, 0
	s_waitcnt lgkmcnt(0)
	v_dot4c_i32_i8 v178, v5, v184
	v_dot4c_i32_i8 v180, v7, v184
	v_dot4c_i32_i8 v181, v9, v184
	v_dot4c_i32_i8 v182, v11, v184
	v_mov_b32_e32 v184, 0
	v_dot4c_i32_i8 v178, v6, v185
	v_dot4c_i32_i8 v180, v8, v185
	v_dot4c_i32_i8 v181, v10, v185
	v_dot4c_i32_i8 v182, v12, v185
	v_or_b32_e32 v185, s1, v106
	v_dot4c_i32_i8 v178, v13, v186
	v_dot4c_i32_i8 v180, v15, v186
	v_dot4c_i32_i8 v181, v17, v186
	v_dot4c_i32_i8 v182, v19, v186
	v_lshlrev_b32_e32 v189, 2, v185
	v_dot4c_i32_i8 v178, v14, v187
	v_dot4c_i32_i8 v180, v16, v187
	v_dot4c_i32_i8 v181, v18, v187
	v_dot4c_i32_i8 v182, v20, v187
	ds_read_b128 v[190:193], v189 offset:33280
	v_mov_b32_e32 v186, 0
	v_mov_b32_e32 v187, 0
	;; [unrolled: 23-line block ×4, first 2 shown]
	s_waitcnt lgkmcnt(0)
	v_dot4c_i32_i8 v196, v5, v206
	v_dot4c_i32_i8 v199, v7, v206
	;; [unrolled: 1-line block ×4, first 2 shown]
	v_or_b32_e32 v206, s1, v109
	v_dot4c_i32_i8 v196, v6, v207
	v_dot4c_i32_i8 v199, v8, v207
	;; [unrolled: 1-line block ×4, first 2 shown]
	v_lshlrev_b32_e32 v207, 2, v206
	v_dot4c_i32_i8 v196, v13, v208
	v_dot4c_i32_i8 v199, v15, v208
	;; [unrolled: 1-line block ×4, first 2 shown]
	s_lshr_b32 s1, s0, 2
	v_dot4c_i32_i8 v196, v14, v209
	v_dot4c_i32_i8 v199, v16, v209
	;; [unrolled: 1-line block ×4, first 2 shown]
	ds_read_b128 v[208:211], v207 offset:33280
	s_and_b32 s1, s1, 0x3ffffffe
	s_add_i32 s1, s1, 0xa200
	s_waitcnt lgkmcnt(0)
	v_dot4c_i32_i8 v198, v5, v208
	v_dot4c_i32_i8 v200, v7, v208
	v_dot4c_i32_i8 v202, v9, v208
	v_dot4c_i32_i8 v204, v11, v208
	v_mov_b32_e32 v208, 0
	v_dot4c_i32_i8 v198, v6, v209
	v_dot4c_i32_i8 v200, v8, v209
	v_dot4c_i32_i8 v202, v10, v209
	v_dot4c_i32_i8 v204, v12, v209
	v_mov_b32_e32 v209, 0
	;; [unrolled: 5-line block ×3, first 2 shown]
	v_dot4c_i32_i8 v198, v14, v211
	v_dot4c_i32_i8 v200, v16, v211
	ds_read2_b32 v[238:239], v159 offset0:8 offset1:9
	ds_read_b128 v[13:16], v160 offset:33312
	ds_read2_b32 v[240:241], v162 offset0:8 offset1:9
	ds_read2_b32 v[242:243], v164 offset0:8 offset1:9
	;; [unrolled: 1-line block ×5, first 2 shown]
	ds_read_b128 v[234:237], v207 offset:33312
	ds_read2_b32 v[5:6], v167 offset0:10 offset1:11
	v_dot4c_i32_i8 v202, v18, v211
	v_dot4c_i32_i8 v204, v20, v211
	v_mov_b32_e32 v211, 0
	v_mov_b32_e32 v20, 0
	;; [unrolled: 1-line block ×3, first 2 shown]
	s_waitcnt lgkmcnt(7)
	v_dot4c_i32_i8 v233, v238, v13
	s_waitcnt lgkmcnt(6)
	v_dot4c_i32_i8 v232, v240, v13
	;; [unrolled: 2-line block ×4, first 2 shown]
	v_dot4c_i32_i8 v233, v239, v14
	v_dot4c_i32_i8 v232, v241, v14
	;; [unrolled: 1-line block ×4, first 2 shown]
	ds_read2_b32 v[13:14], v164 offset0:10 offset1:11
	v_dot4c_i32_i8 v233, v9, v15
	v_dot4c_i32_i8 v232, v11, v15
	s_waitcnt lgkmcnt(1)
	v_dot4c_i32_i8 v230, v5, v15
	v_dot4c_i32_i8 v233, v10, v16
	;; [unrolled: 1-line block ×4, first 2 shown]
	s_waitcnt lgkmcnt(0)
	v_dot4c_i32_i8 v231, v13, v15
	v_dot4c_i32_i8 v231, v14, v16
	ds_read_b128 v[15:18], v170 offset:33312
	s_waitcnt lgkmcnt(0)
	v_dot4c_i32_i8 v229, v238, v15
	v_dot4c_i32_i8 v228, v240, v15
	v_dot4c_i32_i8 v227, v242, v15
	v_dot4c_i32_i8 v226, v7, v15
	v_dot4c_i32_i8 v229, v239, v16
	v_dot4c_i32_i8 v228, v241, v16
	v_dot4c_i32_i8 v227, v243, v16
	v_dot4c_i32_i8 v226, v8, v16
	v_dot4c_i32_i8 v229, v9, v17
	v_dot4c_i32_i8 v228, v11, v17
	v_dot4c_i32_i8 v227, v13, v17
	v_dot4c_i32_i8 v226, v5, v17
	v_dot4c_i32_i8 v229, v10, v18
	v_dot4c_i32_i8 v228, v12, v18
	v_dot4c_i32_i8 v227, v14, v18
	v_dot4c_i32_i8 v226, v6, v18
	ds_read_b128 v[15:18], v177 offset:33312
	s_waitcnt lgkmcnt(0)
	v_dot4c_i32_i8 v225, v238, v15
	v_dot4c_i32_i8 v224, v240, v15
	v_dot4c_i32_i8 v223, v242, v15
	v_dot4c_i32_i8 v222, v7, v15
	v_dot4c_i32_i8 v225, v239, v16
	v_dot4c_i32_i8 v224, v241, v16
	v_dot4c_i32_i8 v223, v243, v16
	v_dot4c_i32_i8 v222, v8, v16
	v_dot4c_i32_i8 v225, v9, v17
	v_dot4c_i32_i8 v224, v11, v17
	v_dot4c_i32_i8 v223, v13, v17
	v_dot4c_i32_i8 v222, v5, v17
	v_dot4c_i32_i8 v225, v10, v18
	v_dot4c_i32_i8 v224, v12, v18
	;; [unrolled: 18-line block ×5, first 2 shown]
	v_dot4c_i32_i8 v211, v14, v18
	v_dot4c_i32_i8 v210, v6, v18
	ds_read_b128 v[15:18], v205 offset:33312
	s_waitcnt lgkmcnt(0)
	v_dot4c_i32_i8 v209, v238, v15
	v_dot4c_i32_i8 v208, v240, v15
	v_dot4c_i32_i8 v20, v242, v15
	v_dot4c_i32_i8 v19, v7, v15
	v_mov_b32_e32 v15, 0
	v_dot4c_i32_i8 v209, v239, v16
	v_dot4c_i32_i8 v208, v241, v16
	v_dot4c_i32_i8 v20, v243, v16
	v_dot4c_i32_i8 v19, v8, v16
	v_mov_b32_e32 v16, 0
	;; [unrolled: 5-line block ×4, first 2 shown]
	v_dot4c_i32_i8 v15, v238, v234
	v_dot4c_i32_i8 v16, v240, v234
	v_dot4c_i32_i8 v17, v242, v234
	v_dot4c_i32_i8 v18, v7, v234
	v_dot4c_i32_i8 v15, v239, v235
	v_dot4c_i32_i8 v16, v241, v235
	v_dot4c_i32_i8 v17, v243, v235
	v_dot4c_i32_i8 v18, v8, v235
	v_dot4c_i32_i8 v15, v9, v236
	v_dot4c_i32_i8 v16, v11, v236
	v_dot4c_i32_i8 v17, v13, v236
	v_dot4c_i32_i8 v18, v5, v236
	v_dot4c_i32_i8 v15, v10, v237
	v_dot4c_i32_i8 v16, v12, v237
	v_dot4c_i32_i8 v17, v14, v237
	v_dot4c_i32_i8 v18, v6, v237
	ds_read2_b32 v[9:10], v159 offset0:4 offset1:5
	ds_read_b128 v[5:8], v160 offset:33296
	ds_read2_b32 v[11:12], v162 offset0:4 offset1:5
	ds_read2_b32 v[13:14], v164 offset0:4 offset1:5
	ds_read2_b32 v[238:239], v162 offset0:6 offset1:7
	ds_read2_b32 v[236:237], v159 offset0:6 offset1:7
	ds_read2_b32 v[234:235], v167 offset0:4 offset1:5
	ds_read2_b32 v[242:243], v167 offset0:6 offset1:7
	ds_read2_b32 v[240:241], v164 offset0:6 offset1:7
	s_waitcnt lgkmcnt(7)
	v_dot4c_i32_i8 v156, v9, v5
	s_waitcnt lgkmcnt(6)
	v_dot4c_i32_i8 v158, v11, v5
	;; [unrolled: 2-line block ×4, first 2 shown]
	v_dot4c_i32_i8 v156, v10, v6
	v_dot4c_i32_i8 v158, v12, v6
	v_dot4c_i32_i8 v161, v14, v6
	v_dot4c_i32_i8 v163, v235, v6
	v_dot4c_i32_i8 v156, v236, v7
	v_dot4c_i32_i8 v158, v238, v7
	s_waitcnt lgkmcnt(0)
	v_dot4c_i32_i8 v161, v240, v7
	v_dot4c_i32_i8 v163, v242, v7
	v_dot4c_i32_i8 v156, v237, v8
	v_dot4c_i32_i8 v158, v239, v8
	v_dot4c_i32_i8 v161, v241, v8
	v_dot4c_i32_i8 v163, v243, v8
	ds_read_b128 v[5:8], v170 offset:33296
	s_waitcnt lgkmcnt(0)
	v_dot4c_i32_i8 v165, v9, v5
	v_dot4c_i32_i8 v168, v11, v5
	v_dot4c_i32_i8 v169, v13, v5
	v_dot4c_i32_i8 v171, v234, v5
	v_dot4c_i32_i8 v165, v10, v6
	v_dot4c_i32_i8 v168, v12, v6
	v_dot4c_i32_i8 v169, v14, v6
	v_dot4c_i32_i8 v171, v235, v6
	v_dot4c_i32_i8 v165, v236, v7
	v_dot4c_i32_i8 v168, v238, v7
	v_dot4c_i32_i8 v169, v240, v7
	v_dot4c_i32_i8 v171, v242, v7
	v_dot4c_i32_i8 v165, v237, v8
	v_dot4c_i32_i8 v168, v239, v8
	v_dot4c_i32_i8 v169, v241, v8
	v_dot4c_i32_i8 v171, v243, v8
	ds_read_b128 v[5:8], v177 offset:33296
	s_waitcnt lgkmcnt(0)
	v_dot4c_i32_i8 v172, v9, v5
	v_dot4c_i32_i8 v174, v11, v5
	v_dot4c_i32_i8 v175, v13, v5
	v_dot4c_i32_i8 v176, v234, v5
	v_dot4c_i32_i8 v172, v10, v6
	v_dot4c_i32_i8 v174, v12, v6
	v_dot4c_i32_i8 v175, v14, v6
	v_dot4c_i32_i8 v176, v235, v6
	v_dot4c_i32_i8 v172, v236, v7
	v_dot4c_i32_i8 v174, v238, v7
	;; [unrolled: 18-line block ×7, first 2 shown]
	v_dot4c_i32_i8 v202, v240, v7
	v_dot4c_i32_i8 v204, v242, v7
	;; [unrolled: 1-line block ×6, first 2 shown]
	ds_read2_b32 v[9:10], v159 offset0:12 offset1:13
	ds_read_b128 v[5:8], v160 offset:33328
	ds_read2_b32 v[11:12], v162 offset0:12 offset1:13
	ds_read2_b32 v[13:14], v164 offset0:12 offset1:13
	;; [unrolled: 1-line block ×7, first 2 shown]
	s_waitcnt lgkmcnt(7)
	v_dot4c_i32_i8 v233, v9, v5
	s_waitcnt lgkmcnt(6)
	v_dot4c_i32_i8 v232, v11, v5
	;; [unrolled: 2-line block ×4, first 2 shown]
	v_dot4c_i32_i8 v233, v10, v6
	v_dot4c_i32_i8 v232, v12, v6
	v_dot4c_i32_i8 v231, v14, v6
	v_dot4c_i32_i8 v230, v235, v6
	v_dot4c_i32_i8 v233, v159, v7
	v_dot4c_i32_i8 v232, v236, v7
	s_waitcnt lgkmcnt(0)
	v_dot4c_i32_i8 v231, v238, v7
	v_dot4c_i32_i8 v230, v240, v7
	v_dot4c_i32_i8 v233, v160, v8
	v_dot4c_i32_i8 v232, v237, v8
	v_dot4c_i32_i8 v231, v239, v8
	v_dot4c_i32_i8 v230, v241, v8
	ds_read_b128 v[5:8], v170 offset:33328
	s_waitcnt lgkmcnt(0)
	v_dot4c_i32_i8 v229, v9, v5
	v_dot4c_i32_i8 v228, v11, v5
	v_dot4c_i32_i8 v227, v13, v5
	v_dot4c_i32_i8 v226, v234, v5
	v_dot4c_i32_i8 v229, v10, v6
	v_dot4c_i32_i8 v228, v12, v6
	v_dot4c_i32_i8 v227, v14, v6
	v_dot4c_i32_i8 v226, v235, v6
	v_dot4c_i32_i8 v229, v159, v7
	v_dot4c_i32_i8 v228, v236, v7
	v_dot4c_i32_i8 v227, v238, v7
	v_dot4c_i32_i8 v226, v240, v7
	v_dot4c_i32_i8 v229, v160, v8
	v_dot4c_i32_i8 v228, v237, v8
	v_dot4c_i32_i8 v227, v239, v8
	v_dot4c_i32_i8 v226, v241, v8
	ds_read_b128 v[5:8], v177 offset:33328
	s_waitcnt lgkmcnt(0)
	v_dot4c_i32_i8 v225, v9, v5
	v_dot4c_i32_i8 v224, v11, v5
	v_dot4c_i32_i8 v223, v13, v5
	v_dot4c_i32_i8 v222, v234, v5
	v_dot4c_i32_i8 v225, v10, v6
	v_dot4c_i32_i8 v224, v12, v6
	v_dot4c_i32_i8 v223, v14, v6
	v_dot4c_i32_i8 v222, v235, v6
	v_dot4c_i32_i8 v225, v159, v7
	v_dot4c_i32_i8 v224, v236, v7
	;; [unrolled: 18-line block ×6, first 2 shown]
	v_dot4c_i32_i8 v20, v238, v7
	v_dot4c_i32_i8 v19, v240, v7
	;; [unrolled: 1-line block ×6, first 2 shown]
	ds_read_b128 v[5:8], v207 offset:33328
	s_waitcnt lgkmcnt(0)
	v_dot4c_i32_i8 v15, v9, v5
	v_dot4c_i32_i8 v16, v11, v5
	v_dot4c_i32_i8 v17, v13, v5
	v_dot4c_i32_i8 v18, v234, v5
	v_lshrrev_b32_e32 v5, 1, v157
	v_dot4c_i32_i8 v15, v10, v6
	v_dot4c_i32_i8 v16, v12, v6
	v_dot4c_i32_i8 v17, v14, v6
	v_dot4c_i32_i8 v18, v235, v6
	v_dot4c_i32_i8 v15, v159, v7
	v_dot4c_i32_i8 v16, v236, v7
	v_dot4c_i32_i8 v17, v238, v7
	v_dot4c_i32_i8 v18, v240, v7
	v_dot4c_i32_i8 v15, v160, v8
	v_dot4c_i32_i8 v16, v237, v8
	v_dot4c_i32_i8 v17, v239, v8
	v_dot4c_i32_i8 v18, v241, v8
	v_add3_u32 v8, s1, v143, v144
	ds_read_u16 v6, v8
	s_waitcnt lgkmcnt(0)
	v_and_b32_sdwa v9, v139, v6 dst_sel:DWORD dst_unused:UNUSED_PAD src0_sel:DWORD src1_sel:BYTE_1
	v_and_b32_e32 v10, 0xff, v6
	v_mul_lo_u32 v6, v233, v9
	v_mul_lo_u32 v7, v156, v10
	v_cvt_f32_i32_e32 v11, v6
	v_cvt_f32_i32_e32 v12, v7
	ds_read_b64 v[6:7], v5 offset:43584
	s_waitcnt lgkmcnt(0)
	v_fma_mix_f32 v5, v6, v12, 0 op_sel_hi:[1,0,0]
	v_fma_mix_f32 v5, v7, v11, v5 op_sel_hi:[1,0,0]
	v_add3_u32 v11, s1, v145, v140
	ds_read_u16 v12, v11
	s_waitcnt lgkmcnt(0)
	v_and_b32_e32 v13, 0xff, v12
	v_and_b32_sdwa v12, v139, v12 dst_sel:DWORD dst_unused:UNUSED_PAD src0_sel:DWORD src1_sel:BYTE_1
	v_mul_lo_u32 v14, v158, v13
	v_mul_lo_u32 v156, v232, v12
	v_cvt_f32_i32_e32 v14, v14
	v_cvt_f32_i32_e32 v156, v156
	v_fma_mix_f32 v14, v6, v14, 0 op_sel_hi:[1,0,0]
	v_fma_mix_f32 v14, v7, v156, v14 op_sel_hi:[1,0,0]
	v_add3_u32 v156, s1, v146, v141
	ds_read_u16 v157, v156
	s_waitcnt lgkmcnt(0)
	v_and_b32_e32 v158, 0xff, v157
	v_and_b32_sdwa v157, v139, v157 dst_sel:DWORD dst_unused:UNUSED_PAD src0_sel:DWORD src1_sel:BYTE_1
	v_mul_lo_u32 v159, v161, v158
	v_mul_lo_u32 v160, v231, v157
	;; [unrolled: 1-line block ×3, first 2 shown]
	v_cvt_f32_i32_e32 v159, v159
	v_cvt_f32_i32_e32 v160, v160
	;; [unrolled: 1-line block ×3, first 2 shown]
	v_fma_mix_f32 v159, v6, v159, 0 op_sel_hi:[1,0,0]
	v_fma_mix_f32 v159, v7, v160, v159 op_sel_hi:[1,0,0]
	v_add3_u32 v160, s1, v147, v142
	s_add_i32 s1, s0, 8
	s_cmp_lt_u32 s0, 24
	s_mov_b32 s0, s1
	ds_read_u16 v161, v160
	ds_read_u16 v8, v8 offset:8
	ds_read_u16 v11, v11 offset:8
	;; [unrolled: 1-line block ×4, first 2 shown]
	s_waitcnt lgkmcnt(2)
	v_cvt_f32_ubyte0_e32 v167, v11
	v_and_b32_e32 v162, 0xff, v161
	v_and_b32_sdwa v161, v139, v161 dst_sel:DWORD dst_unused:UNUSED_PAD src0_sel:DWORD src1_sel:BYTE_1
	s_waitcnt lgkmcnt(1)
	v_cvt_f32_ubyte0_e32 v170, v156
	s_waitcnt lgkmcnt(0)
	v_cvt_f32_ubyte0_e32 v177, v160
	v_cvt_f32_ubyte1_e32 v11, v11
	v_mul_lo_u32 v163, v163, v162
	v_mul_lo_u32 v164, v230, v161
	v_cvt_f32_ubyte1_e32 v156, v156
	v_cvt_f32_ubyte1_e32 v160, v160
	v_fma_mix_f32 v189, v6, v167, 0 op_sel:[1,0,0] op_sel_hi:[1,0,0]
	v_fma_mix_f32 v195, v6, v170, 0 op_sel:[1,0,0] op_sel_hi:[1,0,0]
	v_mul_lo_u32 v19, v19, v161
	v_mul_lo_u32 v18, v18, v161
	v_cvt_f32_i32_e32 v163, v163
	v_cvt_f32_i32_e32 v164, v164
	v_fma_mix_f32 v189, v7, v11, v189 op_sel:[1,0,0] op_sel_hi:[1,0,0]
	v_fma_mix_f32 v195, v7, v156, v195 op_sel:[1,0,0] op_sel_hi:[1,0,0]
	v_fma_mix_f32 v163, v6, v163, 0 op_sel_hi:[1,0,0]
	v_cvt_f32_i32_e32 v19, v19
	v_fma_mix_f32 v163, v7, v164, v163 op_sel_hi:[1,0,0]
	v_cvt_f32_ubyte0_e32 v164, v8
	v_cvt_f32_ubyte1_e32 v8, v8
	v_fma_mix_f32 v183, v6, v164, 0 op_sel:[1,0,0] op_sel_hi:[1,0,0]
	v_fma_mix_f32 v6, v6, v177, 0 op_sel:[1,0,0] op_sel_hi:[1,0,0]
	;; [unrolled: 1-line block ×4, first 2 shown]
	v_mul_lo_u32 v7, v165, v10
	v_lshrrev_b32_e32 v6, 1, v166
	v_mul_lo_u32 v165, v229, v9
	v_cvt_f32_i32_e32 v166, v7
	ds_read_b64 v[6:7], v6 offset:43584
	v_cvt_f32_i32_e32 v165, v165
	s_waitcnt lgkmcnt(0)
	v_fma_mix_f32 v166, v166, v6, 0 op_sel_hi:[0,1,0]
	v_fma_mix_f32 v207, v167, v6, 0 op_sel:[0,1,0] op_sel_hi:[0,1,0]
	v_fma_mix_f32 v165, v165, v7, v166 op_sel_hi:[0,1,0]
	v_mul_lo_u32 v166, v168, v13
	v_mul_lo_u32 v168, v228, v12
	v_fma_mix_f32 v207, v11, v7, v207 op_sel:[0,1,0] op_sel_hi:[0,1,0]
	v_cvt_f32_i32_e32 v166, v166
	v_cvt_f32_i32_e32 v168, v168
	v_fma_mix_f32 v166, v166, v6, 0 op_sel_hi:[0,1,0]
	v_fma_mix_f32 v166, v168, v7, v166 op_sel_hi:[0,1,0]
	v_mul_lo_u32 v168, v169, v158
	v_mul_lo_u32 v169, v227, v157
	v_cvt_f32_i32_e32 v168, v168
	v_cvt_f32_i32_e32 v169, v169
	v_fma_mix_f32 v168, v168, v6, 0 op_sel_hi:[0,1,0]
	v_fma_mix_f32 v168, v169, v7, v168 op_sel_hi:[0,1,0]
	v_mul_lo_u32 v169, v171, v162
	v_mul_lo_u32 v171, v226, v161
	v_fma_mix_f32 v226, v170, v6, 0 op_sel:[0,1,0] op_sel_hi:[0,1,0]
	v_fma_mix_f32 v226, v156, v7, v226 op_sel:[0,1,0] op_sel_hi:[0,1,0]
	v_cvt_f32_i32_e32 v169, v169
	v_cvt_f32_i32_e32 v171, v171
	v_fma_mix_f32 v169, v169, v6, 0 op_sel_hi:[0,1,0]
	v_fma_mix_f32 v169, v171, v7, v169 op_sel_hi:[0,1,0]
	v_fma_mix_f32 v171, v164, v6, 0 op_sel:[0,1,0] op_sel_hi:[0,1,0]
	v_fma_mix_f32 v6, v177, v6, 0 op_sel:[0,1,0] op_sel_hi:[0,1,0]
	v_fma_mix_f32 v171, v8, v7, v171 op_sel:[0,1,0] op_sel_hi:[0,1,0]
	v_fma_mix_f32 v227, v160, v7, v6 op_sel:[0,1,0] op_sel_hi:[0,1,0]
	v_mul_lo_u32 v7, v172, v10
	v_lshrrev_b32_e32 v6, 1, v173
	v_mul_lo_u32 v172, v225, v9
	v_cvt_f32_i32_e32 v173, v7
	ds_read_b64 v[6:7], v6 offset:43584
	v_cvt_f32_i32_e32 v172, v172
	s_waitcnt lgkmcnt(0)
	v_fma_mix_f32 v173, v173, v6, 0 op_sel_hi:[0,1,0]
	v_fma_mix_f32 v172, v172, v7, v173 op_sel_hi:[0,1,0]
	v_mul_lo_u32 v173, v174, v13
	v_mul_lo_u32 v174, v224, v12
	v_cvt_f32_i32_e32 v173, v173
	v_cvt_f32_i32_e32 v174, v174
	v_fma_mix_f32 v173, v173, v6, 0 op_sel_hi:[0,1,0]
	v_fma_mix_f32 v173, v174, v7, v173 op_sel_hi:[0,1,0]
	v_mul_lo_u32 v174, v175, v158
	v_mul_lo_u32 v175, v223, v157
	v_fma_mix_f32 v223, v170, v6, 0 op_sel:[0,1,0] op_sel_hi:[0,1,0]
	v_fma_mix_f32 v223, v156, v7, v223 op_sel:[0,1,0] op_sel_hi:[0,1,0]
	v_cvt_f32_i32_e32 v174, v174
	v_cvt_f32_i32_e32 v175, v175
	v_fma_mix_f32 v174, v174, v6, 0 op_sel_hi:[0,1,0]
	v_fma_mix_f32 v174, v175, v7, v174 op_sel_hi:[0,1,0]
	v_mul_lo_u32 v175, v176, v162
	v_mul_lo_u32 v176, v222, v161
	v_fma_mix_f32 v222, v167, v6, 0 op_sel:[0,1,0] op_sel_hi:[0,1,0]
	v_fma_mix_f32 v222, v11, v7, v222 op_sel:[0,1,0] op_sel_hi:[0,1,0]
	v_cvt_f32_i32_e32 v175, v175
	v_cvt_f32_i32_e32 v176, v176
	v_fma_mix_f32 v175, v175, v6, 0 op_sel_hi:[0,1,0]
	v_fma_mix_f32 v175, v176, v7, v175 op_sel_hi:[0,1,0]
	v_fma_mix_f32 v176, v164, v6, 0 op_sel:[0,1,0] op_sel_hi:[0,1,0]
	v_fma_mix_f32 v6, v177, v6, 0 op_sel:[0,1,0] op_sel_hi:[0,1,0]
	v_fma_mix_f32 v176, v8, v7, v176 op_sel:[0,1,0] op_sel_hi:[0,1,0]
	v_fma_mix_f32 v224, v160, v7, v6 op_sel:[0,1,0] op_sel_hi:[0,1,0]
	v_mul_lo_u32 v7, v178, v10
	v_lshrrev_b32_e32 v6, 1, v179
	v_mul_lo_u32 v178, v221, v9
	v_cvt_f32_i32_e32 v179, v7
	ds_read_b64 v[6:7], v6 offset:43584
	v_cvt_f32_i32_e32 v178, v178
	s_waitcnt lgkmcnt(0)
	v_fma_mix_f32 v179, v179, v6, 0 op_sel_hi:[0,1,0]
	v_fma_mix_f32 v178, v178, v7, v179 op_sel_hi:[0,1,0]
	v_mul_lo_u32 v179, v180, v13
	v_mul_lo_u32 v180, v220, v12
	v_cvt_f32_i32_e32 v179, v179
	v_cvt_f32_i32_e32 v180, v180
	v_fma_mix_f32 v179, v179, v6, 0 op_sel_hi:[0,1,0]
	v_fma_mix_f32 v179, v180, v7, v179 op_sel_hi:[0,1,0]
	v_mul_lo_u32 v180, v181, v158
	v_mul_lo_u32 v181, v219, v157
	v_fma_mix_f32 v219, v170, v6, 0 op_sel:[0,1,0] op_sel_hi:[0,1,0]
	v_fma_mix_f32 v219, v156, v7, v219 op_sel:[0,1,0] op_sel_hi:[0,1,0]
	;; [unrolled: 35-line block ×4, first 2 shown]
	v_cvt_f32_i32_e32 v192, v192
	v_cvt_f32_i32_e32 v193, v193
	v_fma_mix_f32 v192, v192, v6, 0 op_sel_hi:[0,1,0]
	v_fma_mix_f32 v192, v193, v7, v192 op_sel_hi:[0,1,0]
	v_mul_lo_u32 v193, v194, v162
	v_mul_lo_u32 v194, v210, v161
	v_fma_mix_f32 v210, v167, v6, 0 op_sel:[0,1,0] op_sel_hi:[0,1,0]
	v_mul_f32_e32 v161, v224, v154
	v_fma_mix_f32 v210, v11, v7, v210 op_sel:[0,1,0] op_sel_hi:[0,1,0]
	v_cvt_f32_i32_e32 v193, v193
	v_cvt_f32_i32_e32 v194, v194
	v_fma_f32 v161, v175, v155, -v161
	v_fma_mix_f32 v193, v193, v6, 0 op_sel_hi:[0,1,0]
	v_add_f32_e32 v44, v44, v161
	v_fma_mix_f32 v193, v194, v7, v193 op_sel_hi:[0,1,0]
	v_fma_mix_f32 v194, v164, v6, 0 op_sel:[0,1,0] op_sel_hi:[0,1,0]
	v_fma_mix_f32 v6, v177, v6, 0 op_sel:[0,1,0] op_sel_hi:[0,1,0]
	;; [unrolled: 1-line block ×4, first 2 shown]
	v_mul_lo_u32 v7, v196, v10
	v_lshrrev_b32_e32 v6, 1, v197
	v_mul_lo_u32 v196, v209, v9
	v_mul_lo_u32 v10, v198, v10
	;; [unrolled: 1-line block ×4, first 2 shown]
	v_cvt_f32_i32_e32 v197, v7
	ds_read_b64 v[6:7], v6 offset:43584
	v_cvt_f32_i32_e32 v196, v196
	v_cvt_f32_i32_e32 v10, v10
	;; [unrolled: 1-line block ×3, first 2 shown]
	s_waitcnt lgkmcnt(0)
	v_fma_mix_f32 v197, v197, v6, 0 op_sel_hi:[0,1,0]
	v_fma_mix_f32 v196, v196, v7, v197 op_sel_hi:[0,1,0]
	v_mul_lo_u32 v197, v199, v13
	v_mul_lo_u32 v199, v208, v12
	;; [unrolled: 1-line block ×6, first 2 shown]
	v_mul_f32_e32 v157, v176, v149
	v_cvt_f32_i32_e32 v197, v197
	v_cvt_f32_i32_e32 v199, v199
	;; [unrolled: 1-line block ×3, first 2 shown]
	v_fma_f32 v157, v172, v148, -v157
	v_fma_mix_f32 v197, v197, v6, 0 op_sel_hi:[0,1,0]
	v_mul_f32_e32 v172, v211, v152
	v_add_f32_e32 v50, v50, v157
	v_fma_mix_f32 v197, v199, v7, v197 op_sel_hi:[0,1,0]
	v_mul_lo_u32 v199, v201, v158
	v_fma_mix_f32 v201, v167, v6, 0 op_sel:[0,1,0] op_sel_hi:[0,1,0]
	v_mul_f32_e32 v158, v222, v150
	v_fma_f32 v172, v192, v153, -v172
	v_fma_mix_f32 v201, v11, v7, v201 op_sel:[0,1,0] op_sel_hi:[0,1,0]
	v_fma_f32 v158, v173, v151, -v158
	v_cvt_f32_i32_e32 v199, v199
	v_mul_f32_e32 v173, v212, v154
	v_add_f32_e32 v30, v30, v172
	v_mul_f32_e32 v175, v201, v150
	v_add_f32_e32 v48, v48, v158
	v_fma_mix_f32 v199, v199, v6, 0 op_sel_hi:[0,1,0]
	v_fma_f32 v173, v193, v155, -v173
	v_fma_f32 v175, v197, v151, -v175
	v_fma_mix_f32 v20, v20, v7, v199 op_sel_hi:[0,1,0]
	v_mul_lo_u32 v199, v203, v162
	v_fma_mix_f32 v203, v170, v6, 0 op_sel:[0,1,0] op_sel_hi:[0,1,0]
	v_mul_f32_e32 v162, v182, v149
	v_add_f32_e32 v29, v29, v173
	v_add_f32_e32 v27, v27, v175
	v_fma_mix_f32 v203, v156, v7, v203 op_sel:[0,1,0] op_sel_hi:[0,1,0]
	v_fma_f32 v162, v178, v148, -v162
	v_cvt_f32_i32_e32 v199, v199
	v_mul_f32_e32 v176, v203, v152
	v_add_f32_e32 v41, v41, v162
	v_fma_mix_f32 v199, v199, v6, 0 op_sel_hi:[0,1,0]
	v_fma_f32 v20, v20, v153, -v176
	v_fma_mix_f32 v19, v19, v7, v199 op_sel_hi:[0,1,0]
	v_fma_mix_f32 v199, v164, v6, 0 op_sel:[0,1,0] op_sel_hi:[0,1,0]
	v_fma_mix_f32 v6, v177, v6, 0 op_sel:[0,1,0] op_sel_hi:[0,1,0]
	v_add_f32_e32 v26, v26, v20
	v_fma_mix_f32 v199, v8, v7, v199 op_sel:[0,1,0] op_sel_hi:[0,1,0]
	v_fma_mix_f32 v208, v160, v7, v6 op_sel:[0,1,0] op_sel_hi:[0,1,0]
	v_lshrrev_b32_e32 v6, 1, v206
	v_mul_f32_e32 v176, v208, v154
	ds_read_b64 v[6:7], v6 offset:43584
	v_fma_f32 v19, v19, v155, -v176
	v_add_f32_e32 v25, v25, v19
	s_waitcnt lgkmcnt(0)
	v_fma_mix_f32 v10, v10, v6, 0 op_sel_hi:[0,1,0]
	v_fma_mix_f32 v164, v164, v6, 0 op_sel:[0,1,0] op_sel_hi:[0,1,0]
	v_fma_mix_f32 v9, v9, v7, v10 op_sel_hi:[0,1,0]
	v_cvt_f32_i32_e32 v10, v13
	v_fma_mix_f32 v8, v8, v7, v164 op_sel:[0,1,0] op_sel_hi:[0,1,0]
	v_fma_mix_f32 v164, v167, v6, 0 op_sel:[0,1,0] op_sel_hi:[0,1,0]
	v_cvt_f32_i32_e32 v13, v16
	v_mul_f32_e32 v16, v207, v150
	v_fma_mix_f32 v10, v10, v6, 0 op_sel_hi:[0,1,0]
	v_mul_f32_e32 v8, v8, v149
	v_fma_mix_f32 v11, v11, v7, v164 op_sel:[0,1,0] op_sel_hi:[0,1,0]
	v_fma_mix_f32 v164, v170, v6, 0 op_sel:[0,1,0] op_sel_hi:[0,1,0]
	v_fma_f32 v16, v166, v151, -v16
	v_fma_mix_f32 v10, v12, v7, v10 op_sel_hi:[0,1,0]
	v_cvt_f32_i32_e32 v12, v15
	v_cvt_f32_i32_e32 v15, v18
	v_fma_mix_f32 v156, v156, v7, v164 op_sel:[0,1,0] op_sel_hi:[0,1,0]
	v_fma_mix_f32 v164, v177, v6, 0 op_sel:[0,1,0] op_sel_hi:[0,1,0]
	v_mul_f32_e32 v18, v227, v154
	v_fma_mix_f32 v12, v12, v6, 0 op_sel_hi:[0,1,0]
	v_fma_f32 v8, v9, v148, -v8
	v_mul_f32_e32 v9, v11, v150
	v_fma_mix_f32 v160, v160, v7, v164 op_sel:[0,1,0] op_sel_hi:[0,1,0]
	v_fma_f32 v18, v169, v155, -v18
	v_fma_mix_f32 v12, v13, v7, v12 op_sel_hi:[0,1,0]
	v_cvt_f32_i32_e32 v13, v17
	v_mul_f32_e32 v17, v226, v152
	v_mul_f32_e32 v164, v219, v152
	v_mul_f32_e32 v166, v188, v149
	v_mul_f32_e32 v167, v214, v150
	v_fma_mix_f32 v6, v13, v6, 0 op_sel_hi:[0,1,0]
	v_mul_f32_e32 v13, v195, v152
	v_fma_f32 v17, v168, v153, -v17
	v_mul_f32_e32 v168, v215, v152
	v_mul_f32_e32 v169, v216, v154
	v_fma_mix_f32 v6, v15, v7, v6 op_sel_hi:[0,1,0]
	v_mul_f32_e32 v7, v183, v149
	v_fma_f32 v13, v159, v153, -v13
	v_mul_f32_e32 v15, v171, v149
	v_mul_f32_e32 v159, v223, v152
	v_mul_f32_e32 v170, v194, v149
	v_fma_f32 v5, v5, v148, -v7
	v_mul_f32_e32 v7, v189, v150
	v_fma_f32 v15, v165, v148, -v15
	v_fma_f32 v159, v174, v153, -v159
	v_mul_f32_e32 v165, v220, v154
	v_mul_f32_e32 v171, v210, v150
	v_fma_f32 v7, v14, v151, -v7
	v_mul_f32_e32 v14, v205, v154
	v_mul_f32_e32 v174, v199, v149
	;; [unrolled: 3-line block ×3, first 2 shown]
	v_fma_f32 v14, v163, v155, -v14
	v_mul_f32_e32 v163, v218, v150
	v_fma_f32 v164, v180, v153, -v164
	v_fma_f32 v165, v181, v155, -v165
	;; [unrolled: 1-line block ×12, first 2 shown]
	v_add_f32_e32 v84, v84, v5
	v_add_f32_e32 v79, v79, v7
	;; [unrolled: 1-line block ×23, first 2 shown]
	s_cbranch_scc1 .LBB133_8
; %bb.9:                                ;   in Loop: Header=BB133_5 Depth=1
	s_add_i32 s11, s11, 1
	s_cmp_eq_u32 s11, s4
	s_barrier
	buffer_gl0_inv
	s_cbranch_scc0 .LBB133_5
; %bb.10:
	v_mov_b32_e32 v2, v35
.LBB133_11:
	s_mov_b32 s0, exec_lo
	v_cmpx_gt_u32_e64 s8, v2
	s_cbranch_execz .LBB133_62
; %bb.12:
	v_add_nc_u32_e32 v0, s6, v0
	v_mul_lo_u32 v5, v2, s10
	v_cmp_gt_u32_e32 vcc_lo, s10, v0
	s_and_saveexec_b32 s1, vcc_lo
	s_cbranch_execz .LBB133_14
; %bb.13:
	v_add_nc_u32_e32 v2, v0, v5
	v_mov_b32_e32 v3, 0
	v_lshlrev_b64 v[2:3], 2, v[2:3]
	s_waitcnt lgkmcnt(0)
	v_add_co_u32 v2, s0, s12, v2
	v_add_co_ci_u32_e64 v3, null, s13, v3, s0
	global_store_dword v[2:3], v84, off
.LBB133_14:
	s_or_b32 exec_lo, exec_lo, s1
	v_add_nc_u32_e32 v2, 32, v0
	v_cmp_gt_u32_e64 s0, s10, v2
	s_and_saveexec_b32 s2, s0
	s_cbranch_execz .LBB133_16
; %bb.15:
	v_add_nc_u32_e32 v3, v2, v5
	v_mov_b32_e32 v4, 0
	v_lshlrev_b64 v[3:4], 2, v[3:4]
	s_waitcnt lgkmcnt(0)
	v_add_co_u32 v3, s1, s12, v3
	v_add_co_ci_u32_e64 v4, null, s13, v4, s1
	global_store_dword v[3:4], v79, off
.LBB133_16:
	s_or_b32 exec_lo, exec_lo, s2
	v_add_nc_u32_e32 v3, 64, v0
	v_cmp_gt_u32_e64 s1, s10, v3
	s_and_saveexec_b32 s3, s1
	;; [unrolled: 14-line block ×3, first 2 shown]
	s_cbranch_execz .LBB133_20
; %bb.19:
	v_add_nc_u32_e32 v5, v4, v5
	v_mov_b32_e32 v6, 0
	v_lshlrev_b64 v[5:6], 2, v[5:6]
	s_waitcnt lgkmcnt(0)
	v_add_co_u32 v5, s3, s12, v5
	v_add_co_ci_u32_e64 v6, null, s13, v6, s3
	global_store_dword v[5:6], v63, off
.LBB133_20:
	s_or_b32 exec_lo, exec_lo, s4
	v_add3_u32 v5, v1, s7, 8
	v_cmp_gt_u32_e64 s3, s8, v5
	s_and_b32 exec_lo, exec_lo, s3
	s_cbranch_execz .LBB133_62
; %bb.21:
	v_mul_lo_u32 v5, v5, s10
	s_and_saveexec_b32 s4, vcc_lo
	s_cbranch_execnz .LBB133_63
; %bb.22:
	s_or_b32 exec_lo, exec_lo, s4
	s_and_saveexec_b32 s4, s0
	s_cbranch_execnz .LBB133_64
.LBB133_23:
	s_or_b32 exec_lo, exec_lo, s4
	s_and_saveexec_b32 s4, s1
	s_cbranch_execnz .LBB133_65
.LBB133_24:
	s_or_b32 exec_lo, exec_lo, s4
	s_and_saveexec_b32 s4, s2
	s_cbranch_execz .LBB133_26
.LBB133_25:
	v_add_nc_u32_e32 v5, v5, v4
	v_mov_b32_e32 v6, 0
	v_lshlrev_b64 v[5:6], 2, v[5:6]
	s_waitcnt lgkmcnt(0)
	v_add_co_u32 v5, s3, s12, v5
	v_add_co_ci_u32_e64 v6, null, s13, v6, s3
	global_store_dword v[5:6], v52, off
.LBB133_26:
	s_or_b32 exec_lo, exec_lo, s4
	v_add3_u32 v5, v1, s7, 16
	v_cmp_gt_u32_e64 s3, s8, v5
	s_and_b32 exec_lo, exec_lo, s3
	s_cbranch_execz .LBB133_62
; %bb.27:
	v_mul_lo_u32 v5, v5, s10
	s_and_saveexec_b32 s4, vcc_lo
	s_cbranch_execnz .LBB133_66
; %bb.28:
	s_or_b32 exec_lo, exec_lo, s4
	s_and_saveexec_b32 s4, s0
	s_cbranch_execnz .LBB133_67
.LBB133_29:
	s_or_b32 exec_lo, exec_lo, s4
	s_and_saveexec_b32 s4, s1
	s_cbranch_execnz .LBB133_68
.LBB133_30:
	s_or_b32 exec_lo, exec_lo, s4
	s_and_saveexec_b32 s4, s2
	s_cbranch_execz .LBB133_32
.LBB133_31:
	v_add_nc_u32_e32 v5, v5, v4
	v_mov_b32_e32 v6, 0
	v_lshlrev_b64 v[5:6], 2, v[5:6]
	s_waitcnt lgkmcnt(0)
	v_add_co_u32 v5, s3, s12, v5
	v_add_co_ci_u32_e64 v6, null, s13, v6, s3
	global_store_dword v[5:6], v44, off
.LBB133_32:
	s_or_b32 exec_lo, exec_lo, s4
	v_add3_u32 v5, v1, s7, 24
	v_cmp_gt_u32_e64 s3, s8, v5
	s_and_b32 exec_lo, exec_lo, s3
	s_cbranch_execz .LBB133_62
; %bb.33:
	v_mul_lo_u32 v5, v5, s10
	s_and_saveexec_b32 s4, vcc_lo
	s_cbranch_execnz .LBB133_69
; %bb.34:
	s_or_b32 exec_lo, exec_lo, s4
	s_and_saveexec_b32 s4, s0
	s_cbranch_execnz .LBB133_70
.LBB133_35:
	s_or_b32 exec_lo, exec_lo, s4
	s_and_saveexec_b32 s4, s1
	s_cbranch_execnz .LBB133_71
.LBB133_36:
	s_or_b32 exec_lo, exec_lo, s4
	s_and_saveexec_b32 s4, s2
	s_cbranch_execz .LBB133_38
.LBB133_37:
	v_add_nc_u32_e32 v5, v5, v4
	v_mov_b32_e32 v6, 0
	v_lshlrev_b64 v[5:6], 2, v[5:6]
	s_waitcnt lgkmcnt(0)
	v_add_co_u32 v5, s3, s12, v5
	v_add_co_ci_u32_e64 v6, null, s13, v6, s3
	global_store_dword v[5:6], v38, off
.LBB133_38:
	s_or_b32 exec_lo, exec_lo, s4
	v_add3_u32 v5, v1, s7, 32
	v_cmp_gt_u32_e64 s3, s8, v5
	s_and_b32 exec_lo, exec_lo, s3
	s_cbranch_execz .LBB133_62
; %bb.39:
	v_mul_lo_u32 v5, v5, s10
	s_and_saveexec_b32 s4, vcc_lo
	s_cbranch_execnz .LBB133_72
; %bb.40:
	s_or_b32 exec_lo, exec_lo, s4
	s_and_saveexec_b32 s4, s0
	s_cbranch_execnz .LBB133_73
.LBB133_41:
	s_or_b32 exec_lo, exec_lo, s4
	s_and_saveexec_b32 s4, s1
	s_cbranch_execnz .LBB133_74
.LBB133_42:
	s_or_b32 exec_lo, exec_lo, s4
	s_and_saveexec_b32 s4, s2
	s_cbranch_execz .LBB133_44
.LBB133_43:
	v_add_nc_u32_e32 v5, v5, v4
	v_mov_b32_e32 v6, 0
	v_lshlrev_b64 v[5:6], 2, v[5:6]
	s_waitcnt lgkmcnt(0)
	v_add_co_u32 v5, s3, s12, v5
	v_add_co_ci_u32_e64 v6, null, s13, v6, s3
	global_store_dword v[5:6], v33, off
.LBB133_44:
	s_or_b32 exec_lo, exec_lo, s4
	v_add3_u32 v5, v1, s7, 40
	v_cmp_gt_u32_e64 s3, s8, v5
	s_and_b32 exec_lo, exec_lo, s3
	s_cbranch_execz .LBB133_62
; %bb.45:
	v_mul_lo_u32 v5, v5, s10
	s_and_saveexec_b32 s4, vcc_lo
	s_cbranch_execnz .LBB133_75
; %bb.46:
	s_or_b32 exec_lo, exec_lo, s4
	s_and_saveexec_b32 s4, s0
	s_cbranch_execnz .LBB133_76
.LBB133_47:
	s_or_b32 exec_lo, exec_lo, s4
	s_and_saveexec_b32 s4, s1
	s_cbranch_execnz .LBB133_77
.LBB133_48:
	s_or_b32 exec_lo, exec_lo, s4
	s_and_saveexec_b32 s4, s2
	s_cbranch_execz .LBB133_50
.LBB133_49:
	v_add_nc_u32_e32 v5, v5, v4
	v_mov_b32_e32 v6, 0
	v_lshlrev_b64 v[5:6], 2, v[5:6]
	s_waitcnt lgkmcnt(0)
	v_add_co_u32 v5, s3, s12, v5
	v_add_co_ci_u32_e64 v6, null, s13, v6, s3
	global_store_dword v[5:6], v29, off
.LBB133_50:
	s_or_b32 exec_lo, exec_lo, s4
	v_add3_u32 v5, v1, s7, 48
	v_cmp_gt_u32_e64 s3, s8, v5
	s_and_b32 exec_lo, exec_lo, s3
	s_cbranch_execz .LBB133_62
; %bb.51:
	v_mul_lo_u32 v5, v5, s10
	s_and_saveexec_b32 s4, vcc_lo
	s_cbranch_execnz .LBB133_78
; %bb.52:
	s_or_b32 exec_lo, exec_lo, s4
	s_and_saveexec_b32 s4, s0
	s_cbranch_execnz .LBB133_79
.LBB133_53:
	s_or_b32 exec_lo, exec_lo, s4
	s_and_saveexec_b32 s4, s1
	s_cbranch_execnz .LBB133_80
.LBB133_54:
	s_or_b32 exec_lo, exec_lo, s4
	s_and_saveexec_b32 s4, s2
	s_cbranch_execz .LBB133_56
.LBB133_55:
	v_add_nc_u32_e32 v5, v5, v4
	v_mov_b32_e32 v6, 0
	v_lshlrev_b64 v[5:6], 2, v[5:6]
	s_waitcnt lgkmcnt(0)
	v_add_co_u32 v5, s3, s12, v5
	v_add_co_ci_u32_e64 v6, null, s13, v6, s3
	global_store_dword v[5:6], v25, off
.LBB133_56:
	s_or_b32 exec_lo, exec_lo, s4
	v_add3_u32 v1, v1, s7, 56
	v_cmp_gt_u32_e64 s3, s8, v1
	s_and_b32 exec_lo, exec_lo, s3
	s_cbranch_execz .LBB133_62
; %bb.57:
	v_mul_lo_u32 v1, v1, s10
	s_and_saveexec_b32 s3, vcc_lo
	s_cbranch_execnz .LBB133_81
; %bb.58:
	s_or_b32 exec_lo, exec_lo, s3
	s_and_saveexec_b32 s3, s0
	s_cbranch_execnz .LBB133_82
.LBB133_59:
	s_or_b32 exec_lo, exec_lo, s3
	s_and_saveexec_b32 s0, s1
	s_cbranch_execnz .LBB133_83
.LBB133_60:
	s_or_b32 exec_lo, exec_lo, s0
	s_and_b32 exec_lo, exec_lo, s2
	s_cbranch_execz .LBB133_62
.LBB133_61:
	v_add_nc_u32_e32 v0, v1, v4
	v_mov_b32_e32 v1, 0
	v_lshlrev_b64 v[0:1], 2, v[0:1]
	s_waitcnt lgkmcnt(0)
	v_add_co_u32 v0, vcc_lo, s12, v0
	v_add_co_ci_u32_e64 v1, null, s13, v1, vcc_lo
	global_store_dword v[0:1], v21, off
.LBB133_62:
	s_endpgm
.LBB133_63:
	v_add_nc_u32_e32 v6, v5, v0
	v_mov_b32_e32 v7, 0
	v_lshlrev_b64 v[6:7], 2, v[6:7]
	s_waitcnt lgkmcnt(0)
	v_add_co_u32 v6, s3, s12, v6
	v_add_co_ci_u32_e64 v7, null, s13, v7, s3
	global_store_dword v[6:7], v56, off
	s_or_b32 exec_lo, exec_lo, s4
	s_and_saveexec_b32 s4, s0
	s_cbranch_execz .LBB133_23
.LBB133_64:
	v_add_nc_u32_e32 v6, v5, v2
	v_mov_b32_e32 v7, 0
	v_lshlrev_b64 v[6:7], 2, v[6:7]
	s_waitcnt lgkmcnt(0)
	v_add_co_u32 v6, s3, s12, v6
	v_add_co_ci_u32_e64 v7, null, s13, v7, s3
	global_store_dword v[6:7], v54, off
	s_or_b32 exec_lo, exec_lo, s4
	s_and_saveexec_b32 s4, s1
	s_cbranch_execz .LBB133_24
.LBB133_65:
	v_add_nc_u32_e32 v6, v5, v3
	v_mov_b32_e32 v7, 0
	v_lshlrev_b64 v[6:7], 2, v[6:7]
	s_waitcnt lgkmcnt(0)
	v_add_co_u32 v6, s3, s12, v6
	v_add_co_ci_u32_e64 v7, null, s13, v7, s3
	global_store_dword v[6:7], v53, off
	s_or_b32 exec_lo, exec_lo, s4
	s_and_saveexec_b32 s4, s2
	s_cbranch_execnz .LBB133_25
	s_branch .LBB133_26
.LBB133_66:
	v_add_nc_u32_e32 v6, v5, v0
	v_mov_b32_e32 v7, 0
	v_lshlrev_b64 v[6:7], 2, v[6:7]
	s_waitcnt lgkmcnt(0)
	v_add_co_u32 v6, s3, s12, v6
	v_add_co_ci_u32_e64 v7, null, s13, v7, s3
	global_store_dword v[6:7], v50, off
	s_or_b32 exec_lo, exec_lo, s4
	s_and_saveexec_b32 s4, s0
	s_cbranch_execz .LBB133_29
.LBB133_67:
	v_add_nc_u32_e32 v6, v5, v2
	v_mov_b32_e32 v7, 0
	v_lshlrev_b64 v[6:7], 2, v[6:7]
	s_waitcnt lgkmcnt(0)
	v_add_co_u32 v6, s3, s12, v6
	v_add_co_ci_u32_e64 v7, null, s13, v7, s3
	global_store_dword v[6:7], v48, off
	s_or_b32 exec_lo, exec_lo, s4
	s_and_saveexec_b32 s4, s1
	s_cbranch_execz .LBB133_30
.LBB133_68:
	v_add_nc_u32_e32 v6, v5, v3
	v_mov_b32_e32 v7, 0
	v_lshlrev_b64 v[6:7], 2, v[6:7]
	s_waitcnt lgkmcnt(0)
	v_add_co_u32 v6, s3, s12, v6
	v_add_co_ci_u32_e64 v7, null, s13, v7, s3
	global_store_dword v[6:7], v46, off
	s_or_b32 exec_lo, exec_lo, s4
	s_and_saveexec_b32 s4, s2
	s_cbranch_execnz .LBB133_31
	s_branch .LBB133_32
.LBB133_69:
	v_add_nc_u32_e32 v6, v5, v0
	v_mov_b32_e32 v7, 0
	v_lshlrev_b64 v[6:7], 2, v[6:7]
	s_waitcnt lgkmcnt(0)
	v_add_co_u32 v6, s3, s12, v6
	v_add_co_ci_u32_e64 v7, null, s13, v7, s3
	global_store_dword v[6:7], v41, off
	s_or_b32 exec_lo, exec_lo, s4
	s_and_saveexec_b32 s4, s0
	s_cbranch_execz .LBB133_35
.LBB133_70:
	v_add_nc_u32_e32 v6, v5, v2
	v_mov_b32_e32 v7, 0
	v_lshlrev_b64 v[6:7], 2, v[6:7]
	s_waitcnt lgkmcnt(0)
	v_add_co_u32 v6, s3, s12, v6
	v_add_co_ci_u32_e64 v7, null, s13, v7, s3
	global_store_dword v[6:7], v40, off
	s_or_b32 exec_lo, exec_lo, s4
	s_and_saveexec_b32 s4, s1
	s_cbranch_execz .LBB133_36
.LBB133_71:
	v_add_nc_u32_e32 v6, v5, v3
	v_mov_b32_e32 v7, 0
	v_lshlrev_b64 v[6:7], 2, v[6:7]
	s_waitcnt lgkmcnt(0)
	v_add_co_u32 v6, s3, s12, v6
	v_add_co_ci_u32_e64 v7, null, s13, v7, s3
	global_store_dword v[6:7], v39, off
	s_or_b32 exec_lo, exec_lo, s4
	s_and_saveexec_b32 s4, s2
	s_cbranch_execnz .LBB133_37
	s_branch .LBB133_38
.LBB133_72:
	v_add_nc_u32_e32 v6, v5, v0
	v_mov_b32_e32 v7, 0
	v_lshlrev_b64 v[6:7], 2, v[6:7]
	s_waitcnt lgkmcnt(0)
	v_add_co_u32 v6, s3, s12, v6
	v_add_co_ci_u32_e64 v7, null, s13, v7, s3
	global_store_dword v[6:7], v37, off
	s_or_b32 exec_lo, exec_lo, s4
	s_and_saveexec_b32 s4, s0
	s_cbranch_execz .LBB133_41
.LBB133_73:
	v_add_nc_u32_e32 v6, v5, v2
	v_mov_b32_e32 v7, 0
	v_lshlrev_b64 v[6:7], 2, v[6:7]
	s_waitcnt lgkmcnt(0)
	v_add_co_u32 v6, s3, s12, v6
	v_add_co_ci_u32_e64 v7, null, s13, v7, s3
	global_store_dword v[6:7], v36, off
	s_or_b32 exec_lo, exec_lo, s4
	s_and_saveexec_b32 s4, s1
	s_cbranch_execz .LBB133_42
.LBB133_74:
	v_add_nc_u32_e32 v6, v5, v3
	v_mov_b32_e32 v7, 0
	v_lshlrev_b64 v[6:7], 2, v[6:7]
	s_waitcnt lgkmcnt(0)
	v_add_co_u32 v6, s3, s12, v6
	v_add_co_ci_u32_e64 v7, null, s13, v7, s3
	global_store_dword v[6:7], v34, off
	s_or_b32 exec_lo, exec_lo, s4
	s_and_saveexec_b32 s4, s2
	s_cbranch_execnz .LBB133_43
	s_branch .LBB133_44
.LBB133_75:
	v_add_nc_u32_e32 v6, v5, v0
	v_mov_b32_e32 v7, 0
	v_lshlrev_b64 v[6:7], 2, v[6:7]
	s_waitcnt lgkmcnt(0)
	v_add_co_u32 v6, s3, s12, v6
	v_add_co_ci_u32_e64 v7, null, s13, v7, s3
	global_store_dword v[6:7], v32, off
	s_or_b32 exec_lo, exec_lo, s4
	s_and_saveexec_b32 s4, s0
	s_cbranch_execz .LBB133_47
.LBB133_76:
	v_add_nc_u32_e32 v6, v5, v2
	v_mov_b32_e32 v7, 0
	v_lshlrev_b64 v[6:7], 2, v[6:7]
	s_waitcnt lgkmcnt(0)
	v_add_co_u32 v6, s3, s12, v6
	v_add_co_ci_u32_e64 v7, null, s13, v7, s3
	global_store_dword v[6:7], v31, off
	s_or_b32 exec_lo, exec_lo, s4
	s_and_saveexec_b32 s4, s1
	s_cbranch_execz .LBB133_48
.LBB133_77:
	v_add_nc_u32_e32 v6, v5, v3
	v_mov_b32_e32 v7, 0
	v_lshlrev_b64 v[6:7], 2, v[6:7]
	s_waitcnt lgkmcnt(0)
	v_add_co_u32 v6, s3, s12, v6
	v_add_co_ci_u32_e64 v7, null, s13, v7, s3
	global_store_dword v[6:7], v30, off
	s_or_b32 exec_lo, exec_lo, s4
	s_and_saveexec_b32 s4, s2
	s_cbranch_execnz .LBB133_49
	s_branch .LBB133_50
.LBB133_78:
	v_add_nc_u32_e32 v6, v5, v0
	v_mov_b32_e32 v7, 0
	v_lshlrev_b64 v[6:7], 2, v[6:7]
	s_waitcnt lgkmcnt(0)
	v_add_co_u32 v6, s3, s12, v6
	v_add_co_ci_u32_e64 v7, null, s13, v7, s3
	global_store_dword v[6:7], v28, off
	s_or_b32 exec_lo, exec_lo, s4
	s_and_saveexec_b32 s4, s0
	s_cbranch_execz .LBB133_53
.LBB133_79:
	v_add_nc_u32_e32 v6, v5, v2
	v_mov_b32_e32 v7, 0
	v_lshlrev_b64 v[6:7], 2, v[6:7]
	s_waitcnt lgkmcnt(0)
	v_add_co_u32 v6, s3, s12, v6
	v_add_co_ci_u32_e64 v7, null, s13, v7, s3
	global_store_dword v[6:7], v27, off
	s_or_b32 exec_lo, exec_lo, s4
	s_and_saveexec_b32 s4, s1
	s_cbranch_execz .LBB133_54
.LBB133_80:
	v_add_nc_u32_e32 v6, v5, v3
	v_mov_b32_e32 v7, 0
	v_lshlrev_b64 v[6:7], 2, v[6:7]
	s_waitcnt lgkmcnt(0)
	v_add_co_u32 v6, s3, s12, v6
	v_add_co_ci_u32_e64 v7, null, s13, v7, s3
	global_store_dword v[6:7], v26, off
	s_or_b32 exec_lo, exec_lo, s4
	s_and_saveexec_b32 s4, s2
	s_cbranch_execnz .LBB133_55
	s_branch .LBB133_56
.LBB133_81:
	v_add_nc_u32_e32 v5, v1, v0
	v_mov_b32_e32 v6, 0
	v_lshlrev_b64 v[5:6], 2, v[5:6]
	s_waitcnt lgkmcnt(0)
	v_add_co_u32 v5, vcc_lo, s12, v5
	v_add_co_ci_u32_e64 v6, null, s13, v6, vcc_lo
	global_store_dword v[5:6], v24, off
	s_or_b32 exec_lo, exec_lo, s3
	s_and_saveexec_b32 s3, s0
	s_cbranch_execz .LBB133_59
.LBB133_82:
	v_add_nc_u32_e32 v5, v1, v2
	v_mov_b32_e32 v6, 0
	v_lshlrev_b64 v[5:6], 2, v[5:6]
	s_waitcnt lgkmcnt(0)
	v_add_co_u32 v5, vcc_lo, s12, v5
	v_add_co_ci_u32_e64 v6, null, s13, v6, vcc_lo
	global_store_dword v[5:6], v23, off
	s_or_b32 exec_lo, exec_lo, s3
	s_and_saveexec_b32 s0, s1
	s_cbranch_execz .LBB133_60
.LBB133_83:
	v_add_nc_u32_e32 v2, v1, v3
	v_mov_b32_e32 v3, 0
	v_lshlrev_b64 v[2:3], 2, v[2:3]
	s_waitcnt lgkmcnt(0)
	v_add_co_u32 v2, vcc_lo, s12, v2
	v_add_co_ci_u32_e64 v3, null, s13, v3, vcc_lo
	global_store_dword v[2:3], v22, off
	s_or_b32 exec_lo, exec_lo, s0
	s_and_b32 exec_lo, exec_lo, s2
	s_cbranch_execnz .LBB133_61
	s_branch .LBB133_62
	.section	.rodata,"a",@progbits
	.p2align	6, 0x0
	.amdhsa_kernel _ZL12mul_mat_q5_KIfLb0EEvPKvS1_PT_iiiii
		.amdhsa_group_segment_fixed_size 45136
		.amdhsa_private_segment_fixed_size 0
		.amdhsa_kernarg_size 44
		.amdhsa_user_sgpr_count 6
		.amdhsa_user_sgpr_private_segment_buffer 1
		.amdhsa_user_sgpr_dispatch_ptr 0
		.amdhsa_user_sgpr_queue_ptr 0
		.amdhsa_user_sgpr_kernarg_segment_ptr 1
		.amdhsa_user_sgpr_dispatch_id 0
		.amdhsa_user_sgpr_flat_scratch_init 0
		.amdhsa_user_sgpr_private_segment_size 0
		.amdhsa_wavefront_size32 1
		.amdhsa_uses_dynamic_stack 0
		.amdhsa_system_sgpr_private_segment_wavefront_offset 0
		.amdhsa_system_sgpr_workgroup_id_x 1
		.amdhsa_system_sgpr_workgroup_id_y 1
		.amdhsa_system_sgpr_workgroup_id_z 0
		.amdhsa_system_sgpr_workgroup_info 0
		.amdhsa_system_vgpr_workitem_id 1
		.amdhsa_next_free_vgpr 244
		.amdhsa_next_free_sgpr 17
		.amdhsa_reserve_vcc 1
		.amdhsa_reserve_flat_scratch 0
		.amdhsa_float_round_mode_32 0
		.amdhsa_float_round_mode_16_64 0
		.amdhsa_float_denorm_mode_32 3
		.amdhsa_float_denorm_mode_16_64 3
		.amdhsa_dx10_clamp 1
		.amdhsa_ieee_mode 1
		.amdhsa_fp16_overflow 0
		.amdhsa_workgroup_processor_mode 1
		.amdhsa_memory_ordered 1
		.amdhsa_forward_progress 1
		.amdhsa_shared_vgpr_count 0
		.amdhsa_exception_fp_ieee_invalid_op 0
		.amdhsa_exception_fp_denorm_src 0
		.amdhsa_exception_fp_ieee_div_zero 0
		.amdhsa_exception_fp_ieee_overflow 0
		.amdhsa_exception_fp_ieee_underflow 0
		.amdhsa_exception_fp_ieee_inexact 0
		.amdhsa_exception_int_div_zero 0
	.end_amdhsa_kernel
	.section	.text._ZL12mul_mat_q5_KIfLb0EEvPKvS1_PT_iiiii,"axG",@progbits,_ZL12mul_mat_q5_KIfLb0EEvPKvS1_PT_iiiii,comdat
.Lfunc_end133:
	.size	_ZL12mul_mat_q5_KIfLb0EEvPKvS1_PT_iiiii, .Lfunc_end133-_ZL12mul_mat_q5_KIfLb0EEvPKvS1_PT_iiiii
                                        ; -- End function
	.set _ZL12mul_mat_q5_KIfLb0EEvPKvS1_PT_iiiii.num_vgpr, 244
	.set _ZL12mul_mat_q5_KIfLb0EEvPKvS1_PT_iiiii.num_agpr, 0
	.set _ZL12mul_mat_q5_KIfLb0EEvPKvS1_PT_iiiii.numbered_sgpr, 17
	.set _ZL12mul_mat_q5_KIfLb0EEvPKvS1_PT_iiiii.num_named_barrier, 0
	.set _ZL12mul_mat_q5_KIfLb0EEvPKvS1_PT_iiiii.private_seg_size, 0
	.set _ZL12mul_mat_q5_KIfLb0EEvPKvS1_PT_iiiii.uses_vcc, 1
	.set _ZL12mul_mat_q5_KIfLb0EEvPKvS1_PT_iiiii.uses_flat_scratch, 0
	.set _ZL12mul_mat_q5_KIfLb0EEvPKvS1_PT_iiiii.has_dyn_sized_stack, 0
	.set _ZL12mul_mat_q5_KIfLb0EEvPKvS1_PT_iiiii.has_recursion, 0
	.set _ZL12mul_mat_q5_KIfLb0EEvPKvS1_PT_iiiii.has_indirect_call, 0
	.section	.AMDGPU.csdata,"",@progbits
; Kernel info:
; codeLenInByte = 18788
; TotalNumSgprs: 19
; NumVgprs: 244
; ScratchSize: 0
; MemoryBound: 0
; FloatMode: 240
; IeeeMode: 1
; LDSByteSize: 45136 bytes/workgroup (compile time only)
; SGPRBlocks: 0
; VGPRBlocks: 30
; NumSGPRsForWavesPerEU: 19
; NumVGPRsForWavesPerEU: 244
; Occupancy: 4
; WaveLimiterHint : 0
; COMPUTE_PGM_RSRC2:SCRATCH_EN: 0
; COMPUTE_PGM_RSRC2:USER_SGPR: 6
; COMPUTE_PGM_RSRC2:TRAP_HANDLER: 0
; COMPUTE_PGM_RSRC2:TGID_X_EN: 1
; COMPUTE_PGM_RSRC2:TGID_Y_EN: 1
; COMPUTE_PGM_RSRC2:TGID_Z_EN: 0
; COMPUTE_PGM_RSRC2:TIDIG_COMP_CNT: 1
	.section	.text._ZL12mul_mat_q5_KIfLb1EEvPKvS1_PT_iiiii,"axG",@progbits,_ZL12mul_mat_q5_KIfLb1EEvPKvS1_PT_iiiii,comdat
	.globl	_ZL12mul_mat_q5_KIfLb1EEvPKvS1_PT_iiiii ; -- Begin function _ZL12mul_mat_q5_KIfLb1EEvPKvS1_PT_iiiii
	.p2align	8
	.type	_ZL12mul_mat_q5_KIfLb1EEvPKvS1_PT_iiiii,@function
_ZL12mul_mat_q5_KIfLb1EEvPKvS1_PT_iiiii: ; @_ZL12mul_mat_q5_KIfLb1EEvPKvS1_PT_iiiii
; %bb.0:
	s_clause 0x1
	s_load_dwordx4 s[8:11], s[4:5], 0x18
	s_load_dword s14, s[4:5], 0x28
	s_lshl_b32 s7, s7, 6
	v_add_nc_u32_e32 v47, s7, v1
	s_waitcnt lgkmcnt(0)
	s_cmpk_gt_i32 s8, 0xff
	s_cbranch_scc1 .LBB134_2
; %bb.1:
	v_add_nc_u32_e32 v2, s7, v1
	s_mov_b32 s0, 0
	s_branch .LBB134_3
.LBB134_2:
	s_mov_b32 s0, -1
                                        ; implicit-def: $vgpr2
.LBB134_3:
	s_load_dwordx2 s[12:13], s[4:5], 0x10
	v_mov_b32_e32 v37, 0
	v_mov_b32_e32 v41, 0
	;; [unrolled: 1-line block ×32, first 2 shown]
	s_andn2_b32 vcc_lo, exec_lo, s0
	s_lshl_b32 s6, s6, 7
	s_cbranch_vccnz .LBB134_11
; %bb.4:
	s_load_dwordx4 s[0:3], s[4:5], 0x0
	s_ashr_i32 s4, s8, 31
	s_ashr_i32 s5, s11, 31
	s_lshr_b32 s4, s4, 24
	s_lshr_b32 s5, s5, 27
	s_add_i32 s4, s8, s4
	v_lshlrev_b32_e32 v2, 1, v0
	s_ashr_i32 s4, s4, 8
	v_and_b32_e32 v3, 7, v0
	s_add_i32 s5, s11, s5
	s_mul_i32 s8, s4, s6
	v_lshlrev_b32_e32 v75, 5, v1
	s_ashr_i32 s11, s5, 5
	s_mul_i32 s5, s8, 0xb0
	s_mul_hi_i32 s8, s8, 0xb0
	v_and_or_b32 v2, v2, 48, v3
	v_add_nc_u32_e32 v38, 8, v1
	v_add_nc_u32_e32 v39, 16, v1
	;; [unrolled: 1-line block ×4, first 2 shown]
	s_waitcnt lgkmcnt(0)
	s_add_u32 s5, s0, s5
	s_addc_u32 s8, s1, s8
	s_not_b32 s0, s6
	v_add_nc_u32_e32 v41, 32, v1
	s_add_i32 s0, s9, s0
	v_lshlrev_b32_e32 v18, 2, v2
	v_min_i32_e32 v3, s0, v1
	v_add_nc_u32_e32 v42, 40, v1
	v_min_i32_e32 v4, s0, v38
	v_add_nc_u32_e32 v43, 48, v1
	;; [unrolled: 2-line block ×3, first 2 shown]
	v_and_b32_e32 v14, 0x7f, v14
	v_min_i32_e32 v6, s0, v40
	v_add_nc_u32_e32 v11, 64, v1
	v_min_i32_e32 v7, s0, v41
	v_add_nc_u32_e32 v12, 0x48, v1
	v_mul_lo_u32 v63, v3, s4
	v_mad_u64_u32 v[2:3], null, 0x104, v3, v[18:19]
	v_min_i32_e32 v8, s0, v42
	v_add_nc_u32_e32 v13, 0x50, v1
	v_mul_lo_u32 v64, v4, s4
	v_mad_u64_u32 v[3:4], null, 0x104, v4, v[18:19]
	v_min_i32_e32 v9, s0, v43
	v_mul_lo_u32 v66, v5, s4
	v_mad_u64_u32 v[4:5], null, 0x104, v5, v[18:19]
	v_min_i32_e32 v10, s0, v44
	v_min_i32_e32 v20, s0, v14
	v_mul_lo_u32 v67, v6, s4
	v_mad_u64_u32 v[5:6], null, 0x104, v6, v[18:19]
	v_min_i32_e32 v11, s0, v11
	v_mul_lo_u32 v68, v7, s4
	v_mad_u64_u32 v[6:7], null, 0x104, v7, v[18:19]
	;; [unrolled: 3-line block ×3, first 2 shown]
	v_min_i32_e32 v13, s0, v13
	v_add_nc_u32_e32 v15, 0x58, v1
	v_mul_lo_u32 v71, v9, s4
	v_mad_u64_u32 v[8:9], null, 0x104, v9, v[18:19]
	v_mul_lo_u32 v72, v10, s4
	v_mad_u64_u32 v[9:10], null, 0x104, v10, v[18:19]
	v_ashrrev_i32_e32 v21, 31, v20
	v_mul_lo_u32 v76, v11, s4
	v_mad_u64_u32 v[10:11], null, 0x104, v11, v[18:19]
	v_mul_lo_u32 v77, v12, s4
	v_mad_u64_u32 v[11:12], null, 0x104, v12, v[18:19]
	v_mul_lo_u32 v79, v13, s4
	v_min_i32_e32 v15, s0, v15
	v_add_nc_u32_e32 v16, 0x60, v1
	v_mad_u64_u32 v[12:13], null, 0x104, v13, v[18:19]
	v_add_nc_u32_e32 v19, 0x68, v1
	v_lshrrev_b32_e32 v17, 2, v0
	v_add_nc_u32_e32 v22, 0x70, v1
	v_lshrrev_b32_e32 v21, 27, v21
	v_min_i32_e32 v16, s0, v16
	v_mad_u64_u32 v[13:14], null, 0x104, v15, v[18:19]
	v_min_i32_e32 v19, s0, v19
	v_min_i32_e32 v22, s0, v22
	v_add_nc_u32_e32 v21, v20, v21
	v_lshl_add_u32 v45, v1, 3, v17
	v_mul_lo_u32 v80, v15, s4
	v_mad_u64_u32 v[14:15], null, 0x104, v16, v[18:19]
	v_mul_lo_u32 v81, v16, s4
	v_mad_u64_u32 v[15:16], null, 0x104, v19, v[18:19]
	v_and_b32_e32 v58, 6, v17
	v_mul_lo_u32 v83, v22, s4
	v_ashrrev_i32_e32 v21, 5, v21
	v_mad_u64_u32 v[16:17], null, 0x104, v22, v[18:19]
	v_and_b32_e32 v22, 0x7f, v45
	v_add_nc_u32_e32 v23, 0x78, v1
	v_mul_lo_u32 v82, v19, s4
	v_and_b32_e32 v19, 3, v0
	v_lshlrev_b32_e32 v21, 2, v21
	v_lshlrev_b32_e32 v24, 2, v20
	v_min_i32_e32 v46, s0, v22
	v_min_i32_e32 v23, s0, v23
	v_add_nc_u32_e32 v25, 0xfe, v19
	v_xor_b32_e32 v30, 64, v22
	v_add3_u32 v88, v21, v24, 0xae40
	v_ashrrev_i32_e32 v36, 31, v46
	v_add_nc_u32_e32 v24, 8, v47
	v_add_nc_u32_e32 v26, 16, v47
	;; [unrolled: 1-line block ×7, first 2 shown]
	s_add_i32 s1, s10, -1
	v_mad_u64_u32 v[17:18], null, 0x104, v23, v[18:19]
	v_mul_lo_u32 v86, v23, s4
	v_mul_lo_u32 v87, v20, s4
	v_and_b32_e32 v18, 0xff, v25
	v_cvt_f64_i32_e32 v[20:21], s1
	v_cvt_f64_u32_e32 v[22:23], v47
	v_cvt_f64_u32_e32 v[24:25], v24
	;; [unrolled: 1-line block ×4, first 2 shown]
	v_min_i32_e32 v48, s0, v30
	v_cvt_f64_u32_e32 v[30:31], v31
	v_cvt_f64_u32_e32 v[32:33], v32
	;; [unrolled: 1-line block ×3, first 2 shown]
	v_lshrrev_b32_e32 v49, 29, v36
	v_cvt_f64_u32_e32 v[36:37], v37
	v_ashrrev_i32_e32 v50, 31, v48
	v_cmp_gt_u32_e32 vcc_lo, 2, v19
	v_lshlrev_b32_e32 v53, 2, v19
	v_lshrrev_b32_e32 v54, 5, v0
	v_add_nc_u32_e32 v49, v46, v49
	v_lshrrev_b32_e32 v50, 29, v50
	v_cndmask_b32_e32 v18, v18, v19, vcc_lo
	v_cmp_ne_u32_e32 vcc_lo, 0, v19
	v_lshlrev_b32_e32 v55, 2, v0
	v_ashrrev_i32_e32 v49, 3, v49
	v_add_nc_u32_e32 v50, v48, v50
	v_lshlrev_b32_e32 v95, 1, v18
	v_min_f64 v[22:23], v[22:23], v[20:21]
	v_min_f64 v[24:25], v[24:25], v[20:21]
	;; [unrolled: 1-line block ×4, first 2 shown]
	v_ashrrev_i32_e32 v50, 3, v50
	v_min_f64 v[30:31], v[30:31], v[20:21]
	v_min_f64 v[32:33], v[32:33], v[20:21]
	;; [unrolled: 1-line block ×3, first 2 shown]
	v_add_co_ci_u32_e64 v51, null, 0, v18, vcc_lo
	v_min_f64 v[20:21], v[36:37], v[20:21]
	v_lshlrev_b32_e32 v18, 2, v50
	v_cmp_lt_u32_e32 vcc_lo, 1, v19
	v_and_b32_e32 v52, 4, v55
	v_lshlrev_b32_e32 v49, 2, v49
	v_and_b32_e32 v60, 28, v55
	s_movk_i32 s0, 0x2080
	v_lshlrev_b32_e32 v37, 4, v46
	v_cndmask_b32_e32 v94, 0, v52, vcc_lo
	v_cndmask_b32_e64 v52, 0, 1, vcc_lo
	v_add3_u32 v36, v49, v53, 0xa200
	v_mad_u32_u24 v124, 0x104, v0, s0
	v_cvt_i32_f64_e32 v22, v[22:23]
	v_cvt_i32_f64_e32 v23, v[24:25]
	;; [unrolled: 1-line block ×4, first 2 shown]
	v_and_b32_e32 v24, 63, v45
	v_cvt_i32_f64_e32 v28, v[30:31]
	v_cvt_i32_f64_e32 v30, v[32:33]
	v_add3_u32 v26, v18, v53, 0xa200
	v_and_b32_e32 v18, 31, v0
	v_or_b32_e32 v29, s7, v24
	v_cvt_i32_f64_e32 v20, v[20:21]
	v_cvt_i32_f64_e32 v32, v[34:35]
	v_lshl_or_b32 v24, v24, 4, v53
	v_lshl_or_b32 v33, v18, 2, 0x8200
	v_min_i32_e32 v18, s1, v29
	v_add_nc_u32_e32 v29, 64, v0
	v_lshlrev_b32_e32 v31, 4, v48
	v_add_nc_u32_e32 v99, 0xaa40, v24
	v_lshlrev_b32_e32 v21, 7, v1
	v_lshlrev_b32_e32 v24, 7, v40
	v_lshrrev_b32_e32 v110, 3, v29
	v_lshlrev_b32_e32 v29, 2, v29
	v_mul_lo_u32 v101, s11, v22
	v_mul_lo_u32 v102, s11, v23
	v_lshlrev_b32_e32 v22, 7, v38
	v_mul_lo_u32 v103, s11, v25
	v_lshlrev_b32_e32 v23, 7, v39
	v_mul_lo_u32 v104, s11, v27
	v_mul_lo_u32 v106, s11, v30
	v_lshlrev_b32_e32 v30, 2, v54
	v_mul_lo_u32 v105, s11, v28
	v_lshlrev_b32_e32 v25, 7, v41
	v_mad_u64_u32 v[18:19], null, v18, s11, v[19:20]
	v_mul_lo_u32 v108, s11, v20
	v_add_nc_u32_e32 v20, 0x60, v0
	v_add_nc_u32_e32 v19, 32, v0
	v_add3_u32 v112, v55, v30, 0xae40
	v_and_b32_e32 v30, 60, v110
	v_lshlrev_b32_e32 v27, 7, v42
	v_lshrrev_b32_e32 v111, 3, v20
	v_lshrrev_b32_e32 v109, 3, v19
	v_lshlrev_b32_e32 v35, 2, v19
	v_mul_lo_u32 v107, s11, v32
	v_lshlrev_b32_e32 v28, 7, v43
	v_and_b32_e32 v19, 60, v111
	v_lshlrev_b32_e32 v32, 7, v44
	v_and_b32_e32 v34, 60, v109
	v_add3_u32 v114, v55, v30, 0xae40
	v_lshlrev_b32_e32 v30, 2, v20
	s_movk_i32 s0, 0x4100
	v_mul_lo_u32 v97, v46, s4
	v_mul_lo_u32 v98, v48, s4
	v_add3_u32 v115, v55, v19, 0xae40
	s_movk_i32 s1, 0x6180
	v_mad_u32_u24 v125, 0x104, v0, s0
	v_add_co_u32 v19, s0, s2, v60
	v_and_b32_e32 v59, 0x7c, v55
	v_or_b32_e32 v61, 1, v58
	v_lshrrev_b32_e32 v100, 3, v0
	v_add3_u32 v113, v55, v34, 0xae40
	v_lshlrev_b32_e32 v116, 5, v38
	v_lshlrev_b32_e32 v117, 5, v39
	;; [unrolled: 1-line block ×7, first 2 shown]
	v_mul_u32_u24_e32 v123, 0x104, v0
	v_mad_u32_u24 v126, 0x104, v0, s1
	v_add_co_ci_u32_e64 v20, null, s3, 0, s0
	v_lshlrev_b32_e32 v127, 2, v51
	v_lshlrev_b32_e32 v128, 2, v52
	v_add_nc_u32_e32 v129, v36, v37
	v_add_nc_u32_e32 v130, v26, v31
	;; [unrolled: 1-line block ×10, first 2 shown]
	v_mov_b32_e32 v139, 0xffff
	v_lshlrev_b32_e32 v140, 2, v35
	v_lshlrev_b32_e32 v141, 2, v29
	;; [unrolled: 1-line block ×3, first 2 shown]
	v_mov_b32_e32 v96, 0
	v_mov_b32_e32 v90, 0
	;; [unrolled: 1-line block ×32, first 2 shown]
	s_mov_b32 s9, 0
.LBB134_5:                              ; =>This Loop Header: Depth=1
                                        ;     Child Loop BB134_6 Depth 2
                                        ;     Child Loop BB134_8 Depth 2
	s_mul_i32 s0, s9, 0xb0
	s_mul_hi_u32 s1, s9, 0xb0
	s_add_u32 s0, s5, s0
	s_addc_u32 s1, s8, s1
	s_mov_b32 s11, -1
	v_mad_u64_u32 v[21:22], null, 0xb0, v54, s[0:1]
	v_mad_i64_i32 v[23:24], null, 0xb0, v63, v[21:22]
	v_mad_i64_i32 v[25:26], null, 0xb0, v64, v[21:22]
	;; [unrolled: 1-line block ×4, first 2 shown]
	v_add_co_u32 v27, vcc_lo, v23, v59
	v_add_co_ci_u32_e64 v28, null, 0, v24, vcc_lo
	v_add_co_u32 v23, vcc_lo, v23, v60
	v_add_co_ci_u32_e64 v24, null, 0, v24, vcc_lo
	;; [unrolled: 2-line block ×6, first 2 shown]
	v_add_co_u32 v143, vcc_lo, v33, v59
	v_mad_i64_i32 v[145:146], null, 0xb0, v68, v[21:22]
	v_add_co_ci_u32_e64 v144, null, 0, v34, vcc_lo
	v_add_co_u32 v33, vcc_lo, v33, v60
	v_add_co_ci_u32_e64 v34, null, 0, v34, vcc_lo
	s_clause 0x7
	global_load_dword v151, v[27:28], off offset:48
	global_load_dword v152, v[23:24], off offset:16
	;; [unrolled: 1-line block ×8, first 2 shown]
	v_mad_i64_i32 v[25:26], null, 0xb0, v69, v[21:22]
	v_add_co_u32 v23, vcc_lo, v145, v59
	v_mad_i64_i32 v[29:30], null, 0xb0, v71, v[21:22]
	v_add_co_ci_u32_e64 v24, null, 0, v146, vcc_lo
	v_add_co_u32 v27, vcc_lo, v145, v60
	v_add_co_ci_u32_e64 v28, null, 0, v146, vcc_lo
	v_add_co_u32 v31, vcc_lo, v25, v59
	v_mad_i64_i32 v[35:36], null, 0xb0, v72, v[21:22]
	v_add_co_ci_u32_e64 v32, null, 0, v26, vcc_lo
	v_add_co_u32 v25, vcc_lo, v25, v60
	v_add_co_ci_u32_e64 v26, null, 0, v26, vcc_lo
	;; [unrolled: 5-line block ×3, first 2 shown]
	v_add_co_u32 v145, vcc_lo, v35, v59
	v_add_co_ci_u32_e64 v146, null, 0, v36, vcc_lo
	v_add_co_u32 v35, vcc_lo, v35, v60
	v_add_co_ci_u32_e64 v36, null, 0, v36, vcc_lo
	v_add_co_u32 v147, vcc_lo, v143, v59
	v_mad_i64_i32 v[149:150], null, 0xb0, v77, v[21:22]
	v_add_co_ci_u32_e64 v148, null, 0, v144, vcc_lo
	v_add_co_u32 v143, vcc_lo, v143, v60
	v_add_co_ci_u32_e64 v144, null, 0, v144, vcc_lo
	s_clause 0x9
	global_load_dword v159, v[23:24], off offset:48
	global_load_dword v160, v[27:28], off offset:16
	;; [unrolled: 1-line block ×10, first 2 shown]
	v_mad_i64_i32 v[23:24], null, 0xb0, v79, v[21:22]
	v_add_co_u32 v25, vcc_lo, v149, v59
	v_add_co_ci_u32_e64 v26, null, 0, v150, vcc_lo
	v_add_co_u32 v27, vcc_lo, v149, v60
	v_add_co_ci_u32_e64 v28, null, 0, v150, vcc_lo
	;; [unrolled: 2-line block ×4, first 2 shown]
	s_clause 0x3
	global_load_dword v149, v[25:26], off offset:48
	global_load_dword v150, v[27:28], off offset:16
	;; [unrolled: 1-line block ×4, first 2 shown]
	v_mad_i64_i32 v[23:24], null, 0xb0, v80, v[21:22]
	v_mad_i64_i32 v[27:28], null, 0xb0, v81, v[21:22]
	;; [unrolled: 1-line block ×4, first 2 shown]
	v_add_co_u32 v25, vcc_lo, v23, v59
	v_add_co_ci_u32_e64 v26, null, 0, v24, vcc_lo
	v_add_co_u32 v23, vcc_lo, v23, v60
	v_add_co_ci_u32_e64 v24, null, 0, v24, vcc_lo
	s_clause 0x1
	global_load_dword v168, v[25:26], off offset:48
	global_load_dword v169, v[23:24], off offset:16
	v_mad_i64_i32 v[23:24], null, 0xb0, v82, v[21:22]
	v_add_co_u32 v25, vcc_lo, v27, v59
	v_add_co_ci_u32_e64 v26, null, 0, v28, vcc_lo
	v_add_co_u32 v27, vcc_lo, v27, v60
	v_add_co_ci_u32_e64 v28, null, 0, v28, vcc_lo
	v_add_co_u32 v29, vcc_lo, v23, v59
	v_mad_i64_i32 v[21:22], null, 0xb0, v86, v[21:22]
	v_add_co_ci_u32_e64 v30, null, 0, v24, vcc_lo
	v_add_co_u32 v23, vcc_lo, v23, v60
	v_add_co_ci_u32_e64 v24, null, 0, v24, vcc_lo
	v_add_co_u32 v33, vcc_lo, v31, v59
	;; [unrolled: 2-line block ×5, first 2 shown]
	v_add_co_ci_u32_e64 v22, null, 0, v22, vcc_lo
	s_clause 0x7
	global_load_dword v170, v[25:26], off offset:48
	global_load_dword v171, v[27:28], off offset:16
	;; [unrolled: 1-line block ×8, first 2 shown]
	v_mad_i64_i32 v[23:24], null, 0xb0, v98, s[0:1]
	v_add_co_u32 v25, vcc_lo, v143, v127
	v_mad_i64_i32 v[21:22], null, 0xb0, v87, s[0:1]
	s_lshl_b32 s0, s9, 3
	v_add_co_ci_u32_e64 v26, null, 0, v144, vcc_lo
	v_add_co_u32 v27, vcc_lo, v143, v128
	v_add_nc_u32_e32 v31, s0, v100
	v_add_co_ci_u32_e64 v28, null, 0, v144, vcc_lo
	v_add_co_u32 v29, vcc_lo, v23, v127
	v_add_co_ci_u32_e64 v30, null, 0, v24, vcc_lo
	v_add_co_u32 v23, vcc_lo, v23, v128
	v_add_co_ci_u32_e64 v24, null, 0, v24, vcc_lo
	v_add_nc_u32_e32 v32, v31, v101
	s_clause 0x4
	global_load_dword v178, v[21:22], off
	global_load_dword v179, v[25:26], off offset:4
	global_load_dword v180, v[27:28], off offset:4
	;; [unrolled: 1-line block ×4, first 2 shown]
	v_add_nc_u32_e32 v23, v31, v102
	v_add_nc_u32_e32 v25, v31, v103
	;; [unrolled: 1-line block ×4, first 2 shown]
	v_mad_i64_i32 v[21:22], null, v32, 36, v[19:20]
	v_add_nc_u32_e32 v32, v31, v106
	v_mad_i64_i32 v[23:24], null, v23, 36, v[19:20]
	v_add_nc_u32_e32 v33, v31, v107
	;; [unrolled: 2-line block ×3, first 2 shown]
	v_add_nc_u32_e32 v148, s0, v18
	v_mad_i64_i32 v[27:28], null, v27, 36, v[19:20]
	v_mad_i64_i32 v[29:30], null, v29, 36, v[19:20]
	;; [unrolled: 1-line block ×5, first 2 shown]
	v_mad_u64_u32 v[143:144], null, v148, 36, s[2:3]
	s_clause 0x8
	global_load_dword v21, v[21:22], off offset:4
	global_load_dword v22, v[23:24], off offset:4
	;; [unrolled: 1-line block ×8, first 2 shown]
	global_load_dword v29, v[143:144], off
	s_mov_b32 s1, 0
	s_waitcnt vmcnt(45)
	v_lshrrev_b32_e32 v31, 4, v151
	s_waitcnt vmcnt(44)
	v_ashrrev_i32_e32 v32, v58, v152
	v_ashrrev_i32_e32 v33, v61, v152
	s_waitcnt vmcnt(43)
	v_lshrrev_b32_e32 v35, 4, v153
	s_waitcnt vmcnt(42)
	v_ashrrev_i32_e32 v36, v58, v154
	v_ashrrev_i32_e32 v143, v61, v154
	v_and_b32_e32 v30, 0xf0f0f0f, v151
	v_and_b32_e32 v34, 0xf0f0f0f, v153
	s_waitcnt vmcnt(41)
	v_lshrrev_b32_e32 v151, 4, v155
	s_waitcnt vmcnt(40)
	v_ashrrev_i32_e32 v152, v58, v156
	v_ashrrev_i32_e32 v153, v61, v156
	v_and_b32_e32 v144, 0xf0f0f0f, v155
	s_waitcnt vmcnt(39)
	v_and_b32_e32 v154, 0xf0f0f0f, v157
	v_lshrrev_b32_e32 v155, 4, v157
	s_waitcnt vmcnt(38)
	v_ashrrev_i32_e32 v156, v58, v158
	v_ashrrev_i32_e32 v157, v61, v158
	v_and_b32_e32 v31, 0xf0f0f0f, v31
	v_lshlrev_b32_e32 v32, 4, v32
	v_lshlrev_b32_e32 v33, 4, v33
	v_and_b32_e32 v35, 0xf0f0f0f, v35
	v_lshlrev_b32_e32 v36, 4, v36
	v_lshlrev_b32_e32 v143, 4, v143
	;; [unrolled: 3-line block ×4, first 2 shown]
	v_and_or_b32 v30, 0x10101010, v32, v30
	v_and_or_b32 v31, 0x10101010, v33, v31
	;; [unrolled: 1-line block ×8, first 2 shown]
	s_waitcnt vmcnt(37)
	v_and_b32_e32 v158, 0xf0f0f0f, v159
	v_lshrrev_b32_e32 v159, 4, v159
	s_waitcnt vmcnt(36)
	v_ashrrev_i32_e32 v183, v58, v160
	v_ashrrev_i32_e32 v160, v61, v160
	s_waitcnt vmcnt(35)
	v_and_b32_e32 v184, 0xf0f0f0f, v161
	v_lshrrev_b32_e32 v161, 4, v161
	s_waitcnt vmcnt(34)
	v_ashrrev_i32_e32 v185, v58, v162
	v_ashrrev_i32_e32 v162, v61, v162
	;; [unrolled: 6-line block ×5, first 2 shown]
	v_and_b32_e32 v159, 0xf0f0f0f, v159
	v_lshlrev_b32_e32 v183, 4, v183
	v_lshlrev_b32_e32 v160, 4, v160
	v_and_b32_e32 v161, 0xf0f0f0f, v161
	v_lshlrev_b32_e32 v185, 4, v185
	s_waitcnt vmcnt(27)
	v_and_b32_e32 v192, 0xf0f0f0f, v149
	v_lshrrev_b32_e32 v149, 4, v149
	s_waitcnt vmcnt(26)
	v_ashrrev_i32_e32 v193, v58, v150
	v_ashrrev_i32_e32 v150, v61, v150
	s_waitcnt vmcnt(24)
	v_ashrrev_i32_e32 v195, v58, v167
	v_lshlrev_b32_e32 v162, 4, v162
	v_and_b32_e32 v163, 0xf0f0f0f, v163
	v_lshlrev_b32_e32 v187, 4, v187
	v_lshlrev_b32_e32 v164, 4, v164
	v_and_b32_e32 v145, 0xf0f0f0f, v145
	v_lshlrev_b32_e32 v189, 4, v189
	;; [unrolled: 3-line block ×3, first 2 shown]
	v_lshlrev_b32_e32 v165, 4, v165
	v_lshrrev_b32_e32 v194, 4, v166
	v_ashrrev_i32_e32 v167, v61, v167
	v_and_or_b32 v144, 0x10101010, v183, v158
	v_and_or_b32 v151, 0x10101010, v160, v159
	v_and_b32_e32 v149, 0xf0f0f0f, v149
	v_lshlrev_b32_e32 v193, 4, v193
	v_and_or_b32 v152, 0x10101010, v185, v184
	v_and_or_b32 v153, 0x10101010, v162, v161
	;; [unrolled: 1-line block ×8, first 2 shown]
	ds_write2_b32 v2, v30, v31 offset1:8
	ds_write2_b32 v3, v32, v33 offset1:8
	;; [unrolled: 1-line block ×9, first 2 shown]
	v_lshlrev_b32_e32 v30, 4, v150
	v_and_b32_e32 v31, 0xf0f0f0f, v166
	v_lshlrev_b32_e32 v32, 4, v195
	v_and_b32_e32 v33, 0xf0f0f0f, v194
	v_lshlrev_b32_e32 v34, 4, v167
	v_and_or_b32 v35, 0x10101010, v193, v192
	v_and_or_b32 v30, 0x10101010, v30, v149
	;; [unrolled: 1-line block ×3, first 2 shown]
	s_waitcnt vmcnt(22)
	v_ashrrev_i32_e32 v32, v58, v169
	v_lshrrev_b32_e32 v36, 4, v168
	v_ashrrev_i32_e32 v143, v61, v169
	v_and_or_b32 v33, 0x10101010, v34, v33
	v_and_b32_e32 v34, 0xf0f0f0f, v168
	v_lshlrev_b32_e32 v32, 4, v32
	ds_write2_b32 v11, v35, v30 offset1:8
	ds_write2_b32 v12, v31, v33 offset1:8
	v_and_b32_e32 v30, 0xf0f0f0f, v36
	v_lshlrev_b32_e32 v31, 4, v143
	v_and_or_b32 v32, 0x10101010, v32, v34
	s_waitcnt vmcnt(21)
	v_lshrrev_b32_e32 v34, 4, v170
	s_waitcnt vmcnt(20)
	v_ashrrev_i32_e32 v33, v58, v171
	v_ashrrev_i32_e32 v35, v61, v171
	v_and_or_b32 v30, 0x10101010, v31, v30
	v_and_b32_e32 v31, 0xf0f0f0f, v170
	v_and_b32_e32 v34, 0xf0f0f0f, v34
	v_lshlrev_b32_e32 v33, 4, v33
	v_lshlrev_b32_e32 v35, 4, v35
	ds_write2_b32 v13, v32, v30 offset1:8
	s_waitcnt vmcnt(18)
	v_ashrrev_i32_e32 v32, v58, v173
	s_waitcnt vmcnt(17)
	v_lshrrev_b32_e32 v36, 4, v174
	s_waitcnt vmcnt(16)
	v_ashrrev_i32_e32 v143, v58, v175
	v_ashrrev_i32_e32 v144, v61, v175
	v_lshrrev_b32_e32 v30, 4, v172
	v_and_or_b32 v31, 0x10101010, v33, v31
	v_and_or_b32 v33, 0x10101010, v35, v34
	v_and_b32_e32 v34, 0xf0f0f0f, v172
	v_ashrrev_i32_e32 v35, v61, v173
	v_lshlrev_b32_e32 v32, 4, v32
	v_and_b32_e32 v145, 0xf0f0f0f, v174
	v_and_b32_e32 v36, 0xf0f0f0f, v36
	v_lshlrev_b32_e32 v143, 4, v143
	v_lshlrev_b32_e32 v144, 4, v144
	v_and_b32_e32 v30, 0xf0f0f0f, v30
	v_lshlrev_b32_e32 v35, 4, v35
	ds_write2_b32 v14, v31, v33 offset1:8
	v_and_or_b32 v31, 0x10101010, v32, v34
	v_and_or_b32 v32, 0x10101010, v143, v145
	;; [unrolled: 1-line block ×3, first 2 shown]
	s_waitcnt vmcnt(15)
	v_lshrrev_b32_e32 v34, 4, v176
	s_waitcnt vmcnt(14)
	v_ashrrev_i32_e32 v36, v58, v177
	v_ashrrev_i32_e32 v143, v61, v177
	s_waitcnt vmcnt(12)
	v_ashrrev_i32_e32 v144, v94, v179
	s_waitcnt vmcnt(10)
	v_ashrrev_i32_e32 v145, v94, v181
	v_and_or_b32 v30, 0x10101010, v35, v30
	v_and_b32_e32 v35, 0xf0f0f0f, v176
	v_and_b32_e32 v34, 0xf0f0f0f, v34
	v_lshlrev_b32_e32 v36, 4, v36
	v_lshlrev_b32_e32 v143, 4, v143
	v_and_b32_e32 v144, 0xf0f0f0f, v144
	v_ashrrev_i32_e32 v146, v95, v180
	v_and_b32_e32 v145, 0xf0f0f0f, v145
	s_waitcnt vmcnt(9)
	v_ashrrev_i32_e32 v147, v95, v182
	v_and_or_b32 v35, 0x10101010, v36, v35
	v_and_or_b32 v34, 0x10101010, v143, v34
	ds_write2_b32 v15, v31, v30 offset1:8
	v_and_or_b32 v30, 0x30303030, v146, v144
	v_and_or_b32 v31, 0x30303030, v147, v145
	ds_write2_b32 v16, v32, v33 offset1:8
	ds_write2_b32 v17, v35, v34 offset1:8
	ds_write_b32 v88, v178
	ds_write_b32 v129, v30
	;; [unrolled: 1-line block ×3, first 2 shown]
	s_waitcnt vmcnt(8)
	ds_write_b32 v131, v21
	s_waitcnt vmcnt(7)
	ds_write_b32 v132, v22
	;; [unrolled: 2-line block ×9, first 2 shown]
	s_waitcnt lgkmcnt(0)
	s_barrier
	buffer_gl0_inv
	ds_read_b32 v21, v112
	ds_read_b32 v22, v113 offset:128
	ds_read_b32 v23, v114 offset:256
	;; [unrolled: 1-line block ×3, first 2 shown]
	s_waitcnt lgkmcnt(3)
	v_cvt_f32_f16_e32 v149, v21
	v_cvt_f32_f16_sdwa v150, v21 dst_sel:DWORD dst_unused:UNUSED_PAD src0_sel:WORD_1
	s_waitcnt lgkmcnt(2)
	v_cvt_f32_f16_sdwa v151, v22 dst_sel:DWORD dst_unused:UNUSED_PAD src0_sel:WORD_1
	v_cvt_f32_f16_e32 v152, v22
	s_waitcnt lgkmcnt(1)
	v_cvt_f32_f16_sdwa v153, v23 dst_sel:DWORD dst_unused:UNUSED_PAD src0_sel:WORD_1
	v_cvt_f32_f16_e32 v154, v23
	;; [unrolled: 3-line block ×3, first 2 shown]
.LBB134_6:                              ;   Parent Loop BB134_5 Depth=1
                                        ; =>  This Inner Loop Header: Depth=2
	s_lshl_b32 s15, s1, 1
	s_lshl_b32 s16, s1, 3
	v_or_b32_e32 v143, s15, v75
	v_add_nc_u32_e32 v144, s16, v123
	v_add_nc_u32_e32 v158, s16, v124
	;; [unrolled: 1-line block ×4, first 2 shown]
	v_lshlrev_b32_e32 v147, 2, v143
	v_mov_b32_e32 v145, 0
	v_mov_b32_e32 v146, 0
	;; [unrolled: 1-line block ×3, first 2 shown]
	ds_read2_b32 v[21:22], v144 offset1:1
	ds_read_b128 v[165:168], v147 offset:33280
	ds_read2_b32 v[23:24], v158 offset1:1
	ds_read2_b32 v[25:26], v160 offset1:1
	ds_read2_b32 v[31:32], v158 offset0:2 offset1:3
	ds_read2_b32 v[29:30], v144 offset0:2 offset1:3
	ds_read2_b32 v[27:28], v164 offset1:1
	ds_read2_b32 v[35:36], v164 offset0:2 offset1:3
	ds_read2_b32 v[33:34], v160 offset0:2 offset1:3
	v_mov_b32_e32 v159, 0
	v_or_b32_e32 v162, s15, v116
	v_mov_b32_e32 v161, 0
	v_mov_b32_e32 v163, 0
	;; [unrolled: 1-line block ×7, first 2 shown]
	v_or_b32_e32 v198, s15, v122
	v_mov_b32_e32 v197, 0
	v_mov_b32_e32 v238, 0
	s_waitcnt lgkmcnt(7)
	v_dot4c_i32_i8 v145, v21, v165
	s_waitcnt lgkmcnt(6)
	v_dot4c_i32_i8 v146, v23, v165
	;; [unrolled: 2-line block ×3, first 2 shown]
	v_mov_b32_e32 v239, 0
	v_mov_b32_e32 v217, 0
	s_waitcnt lgkmcnt(2)
	v_dot4c_i32_i8 v159, v27, v165
	v_dot4c_i32_i8 v145, v22, v166
	;; [unrolled: 1-line block ×4, first 2 shown]
	v_mov_b32_e32 v165, 0
	v_dot4c_i32_i8 v159, v28, v166
	v_dot4c_i32_i8 v145, v29, v167
	;; [unrolled: 1-line block ×3, first 2 shown]
	s_waitcnt lgkmcnt(0)
	v_dot4c_i32_i8 v157, v33, v167
	v_lshlrev_b32_e32 v166, 2, v162
	v_dot4c_i32_i8 v159, v35, v167
	v_dot4c_i32_i8 v145, v30, v168
	;; [unrolled: 1-line block ×4, first 2 shown]
	v_mov_b32_e32 v167, 0
	v_dot4c_i32_i8 v159, v36, v168
	ds_read_b128 v[168:171], v166 offset:33280
	v_mov_b32_e32 v216, 0
	v_mov_b32_e32 v215, 0
	;; [unrolled: 1-line block ×12, first 2 shown]
	s_lshr_b32 s1, s1, 2
	s_and_b32 vcc_lo, exec_lo, s11
	s_add_i32 s1, s1, 0xa200
	s_mov_b32 s11, 0
	s_waitcnt lgkmcnt(0)
	v_dot4c_i32_i8 v161, v21, v168
	v_dot4c_i32_i8 v163, v23, v168
	v_dot4c_i32_i8 v165, v25, v168
	v_dot4c_i32_i8 v167, v27, v168
	v_mov_b32_e32 v168, 0
	v_dot4c_i32_i8 v161, v22, v169
	v_dot4c_i32_i8 v163, v24, v169
	v_dot4c_i32_i8 v165, v26, v169
	v_dot4c_i32_i8 v167, v28, v169
	v_or_b32_e32 v169, s15, v117
	v_dot4c_i32_i8 v161, v29, v170
	v_dot4c_i32_i8 v163, v31, v170
	v_dot4c_i32_i8 v165, v33, v170
	v_dot4c_i32_i8 v167, v35, v170
	v_lshlrev_b32_e32 v173, 2, v169
	v_dot4c_i32_i8 v161, v30, v171
	v_dot4c_i32_i8 v163, v32, v171
	v_dot4c_i32_i8 v165, v34, v171
	v_dot4c_i32_i8 v167, v36, v171
	ds_read_b128 v[174:177], v173 offset:33280
	v_mov_b32_e32 v170, 0
	v_mov_b32_e32 v171, 0
	s_waitcnt lgkmcnt(0)
	v_dot4c_i32_i8 v168, v21, v174
	v_dot4c_i32_i8 v170, v23, v174
	v_dot4c_i32_i8 v171, v25, v174
	v_dot4c_i32_i8 v172, v27, v174
	v_mov_b32_e32 v174, 0
	v_dot4c_i32_i8 v168, v22, v175
	v_dot4c_i32_i8 v170, v24, v175
	v_dot4c_i32_i8 v171, v26, v175
	v_dot4c_i32_i8 v172, v28, v175
	v_or_b32_e32 v175, s15, v118
	v_dot4c_i32_i8 v168, v29, v176
	v_dot4c_i32_i8 v170, v31, v176
	v_dot4c_i32_i8 v171, v33, v176
	v_dot4c_i32_i8 v172, v35, v176
	v_lshlrev_b32_e32 v179, 2, v175
	v_dot4c_i32_i8 v168, v30, v177
	v_dot4c_i32_i8 v170, v32, v177
	v_dot4c_i32_i8 v171, v34, v177
	v_dot4c_i32_i8 v172, v36, v177
	ds_read_b128 v[180:183], v179 offset:33280
	v_mov_b32_e32 v176, 0
	v_mov_b32_e32 v177, 0
	;; [unrolled: 23-line block ×5, first 2 shown]
	s_waitcnt lgkmcnt(0)
	v_dot4c_i32_i8 v192, v21, v200
	v_dot4c_i32_i8 v194, v23, v200
	;; [unrolled: 1-line block ×4, first 2 shown]
	v_lshlrev_b32_e32 v200, 2, v198
	v_dot4c_i32_i8 v192, v22, v201
	v_dot4c_i32_i8 v194, v24, v201
	;; [unrolled: 1-line block ×12, first 2 shown]
	ds_read_b128 v[201:204], v200 offset:33280
	s_waitcnt lgkmcnt(0)
	v_dot4c_i32_i8 v197, v21, v201
	v_mov_b32_e32 v21, 0
	v_dot4c_i32_i8 v197, v22, v202
	v_mov_b32_e32 v22, 0
	;; [unrolled: 2-line block ×3, first 2 shown]
	v_dot4c_i32_i8 v197, v29, v203
	v_dot4c_i32_i8 v22, v25, v201
	;; [unrolled: 1-line block ×4, first 2 shown]
	v_mov_b32_e32 v201, 0
	v_dot4c_i32_i8 v197, v30, v204
	v_dot4c_i32_i8 v22, v26, v202
	ds_read2_b32 v[222:223], v144 offset0:8 offset1:9
	ds_read_b128 v[24:27], v147 offset:33312
	ds_read2_b32 v[224:225], v158 offset0:8 offset1:9
	ds_read2_b32 v[226:227], v160 offset0:8 offset1:9
	;; [unrolled: 1-line block ×7, first 2 shown]
	ds_read_b128 v[218:221], v199 offset:33312
	v_dot4c_i32_i8 v23, v28, v202
	v_dot4c_i32_i8 v21, v31, v203
	v_dot4c_i32_i8 v22, v33, v203
	v_mov_b32_e32 v202, 0
	v_mov_b32_e32 v31, 0
	v_dot4c_i32_i8 v23, v35, v203
	v_dot4c_i32_i8 v21, v32, v204
	;; [unrolled: 1-line block ×3, first 2 shown]
	v_mov_b32_e32 v203, 0
	v_mov_b32_e32 v35, 0
	v_dot4c_i32_i8 v23, v36, v204
	s_waitcnt lgkmcnt(8)
	v_dot4c_i32_i8 v238, v222, v24
	s_waitcnt lgkmcnt(7)
	;; [unrolled: 2-line block ×3, first 2 shown]
	v_dot4c_i32_i8 v217, v226, v24
	v_mov_b32_e32 v204, 0
	v_mov_b32_e32 v36, 0
	s_waitcnt lgkmcnt(3)
	v_dot4c_i32_i8 v216, v228, v24
	v_dot4c_i32_i8 v238, v223, v25
	;; [unrolled: 1-line block ×4, first 2 shown]
	v_mov_b32_e32 v34, 0
	v_dot4c_i32_i8 v216, v229, v25
	v_dot4c_i32_i8 v238, v230, v26
	;; [unrolled: 1-line block ×3, first 2 shown]
	s_waitcnt lgkmcnt(1)
	v_dot4c_i32_i8 v217, v234, v26
	v_mov_b32_e32 v32, 0
	v_dot4c_i32_i8 v216, v236, v26
	v_dot4c_i32_i8 v238, v231, v27
	;; [unrolled: 1-line block ×4, first 2 shown]
	v_mov_b32_e32 v30, 0
	v_dot4c_i32_i8 v216, v237, v27
	ds_read_b128 v[24:27], v166 offset:33312
	v_mov_b32_e32 v29, 0
	v_mov_b32_e32 v28, 0
	s_waitcnt lgkmcnt(1)
	v_dot4c_i32_i8 v30, v222, v218
	v_mov_b32_e32 v33, 0
	v_dot4c_i32_i8 v29, v224, v218
	v_dot4c_i32_i8 v28, v226, v218
	;; [unrolled: 1-line block ×9, first 2 shown]
	s_waitcnt lgkmcnt(0)
	v_dot4c_i32_i8 v215, v222, v24
	v_dot4c_i32_i8 v214, v224, v24
	;; [unrolled: 1-line block ×18, first 2 shown]
	ds_read_b128 v[24:27], v173 offset:33312
	s_waitcnt lgkmcnt(0)
	v_dot4c_i32_i8 v211, v222, v24
	v_dot4c_i32_i8 v210, v224, v24
	v_dot4c_i32_i8 v209, v226, v24
	v_dot4c_i32_i8 v208, v228, v24
	v_dot4c_i32_i8 v211, v223, v25
	v_dot4c_i32_i8 v210, v225, v25
	v_dot4c_i32_i8 v209, v227, v25
	v_dot4c_i32_i8 v208, v229, v25
	v_dot4c_i32_i8 v211, v230, v26
	v_dot4c_i32_i8 v210, v232, v26
	v_dot4c_i32_i8 v209, v234, v26
	v_dot4c_i32_i8 v208, v236, v26
	v_dot4c_i32_i8 v211, v231, v27
	v_dot4c_i32_i8 v210, v233, v27
	v_dot4c_i32_i8 v209, v235, v27
	v_dot4c_i32_i8 v208, v237, v27
	ds_read_b128 v[24:27], v179 offset:33312
	s_waitcnt lgkmcnt(0)
	v_dot4c_i32_i8 v207, v222, v24
	v_dot4c_i32_i8 v206, v224, v24
	v_dot4c_i32_i8 v205, v226, v24
	v_dot4c_i32_i8 v204, v228, v24
	v_dot4c_i32_i8 v207, v223, v25
	v_dot4c_i32_i8 v206, v225, v25
	v_dot4c_i32_i8 v205, v227, v25
	v_dot4c_i32_i8 v204, v229, v25
	v_dot4c_i32_i8 v207, v230, v26
	v_dot4c_i32_i8 v206, v232, v26
	v_dot4c_i32_i8 v205, v234, v26
	v_dot4c_i32_i8 v204, v236, v26
	v_dot4c_i32_i8 v207, v231, v27
	v_dot4c_i32_i8 v206, v233, v27
	v_dot4c_i32_i8 v205, v235, v27
	v_dot4c_i32_i8 v204, v237, v27
	;; [unrolled: 18-line block ×3, first 2 shown]
	ds_read_b128 v[24:27], v191 offset:33312
	s_waitcnt lgkmcnt(0)
	v_dot4c_i32_i8 v35, v222, v24
	v_dot4c_i32_i8 v34, v224, v24
	v_dot4c_i32_i8 v32, v226, v24
	v_dot4c_i32_i8 v31, v228, v24
	v_mov_b32_e32 v24, 0
	v_dot4c_i32_i8 v35, v223, v25
	v_dot4c_i32_i8 v34, v225, v25
	v_dot4c_i32_i8 v32, v227, v25
	v_dot4c_i32_i8 v31, v229, v25
	v_mov_b32_e32 v25, 0
	;; [unrolled: 5-line block ×4, first 2 shown]
	v_dot4c_i32_i8 v27, v228, v218
	v_dot4c_i32_i8 v27, v229, v219
	v_dot4c_i32_i8 v27, v236, v220
	v_dot4c_i32_i8 v27, v237, v221
	ds_read_b128 v[218:221], v200 offset:33312
	s_waitcnt lgkmcnt(0)
	v_dot4c_i32_i8 v24, v222, v218
	v_dot4c_i32_i8 v25, v224, v218
	;; [unrolled: 1-line block ×16, first 2 shown]
	ds_read2_b32 v[222:223], v144 offset0:4 offset1:5
	ds_read_b128 v[218:221], v147 offset:33296
	ds_read2_b32 v[224:225], v158 offset0:4 offset1:5
	ds_read2_b32 v[226:227], v160 offset0:4 offset1:5
	ds_read2_b32 v[232:233], v158 offset0:6 offset1:7
	ds_read2_b32 v[230:231], v144 offset0:6 offset1:7
	ds_read2_b32 v[228:229], v164 offset0:4 offset1:5
	ds_read2_b32 v[236:237], v164 offset0:6 offset1:7
	ds_read2_b32 v[234:235], v160 offset0:6 offset1:7
	s_waitcnt lgkmcnt(7)
	v_dot4c_i32_i8 v145, v222, v218
	s_waitcnt lgkmcnt(6)
	v_dot4c_i32_i8 v146, v224, v218
	;; [unrolled: 2-line block ×4, first 2 shown]
	v_dot4c_i32_i8 v145, v223, v219
	v_dot4c_i32_i8 v146, v225, v219
	v_dot4c_i32_i8 v157, v227, v219
	v_dot4c_i32_i8 v159, v229, v219
	v_dot4c_i32_i8 v145, v230, v220
	v_dot4c_i32_i8 v146, v232, v220
	s_waitcnt lgkmcnt(0)
	v_dot4c_i32_i8 v157, v234, v220
	v_dot4c_i32_i8 v159, v236, v220
	v_dot4c_i32_i8 v145, v231, v221
	v_dot4c_i32_i8 v146, v233, v221
	v_dot4c_i32_i8 v157, v235, v221
	v_dot4c_i32_i8 v159, v237, v221
	ds_read_b128 v[218:221], v166 offset:33296
	s_waitcnt lgkmcnt(0)
	v_dot4c_i32_i8 v161, v222, v218
	v_dot4c_i32_i8 v163, v224, v218
	v_dot4c_i32_i8 v165, v226, v218
	v_dot4c_i32_i8 v167, v228, v218
	v_dot4c_i32_i8 v161, v223, v219
	v_dot4c_i32_i8 v163, v225, v219
	v_dot4c_i32_i8 v165, v227, v219
	v_dot4c_i32_i8 v167, v229, v219
	v_dot4c_i32_i8 v161, v230, v220
	v_dot4c_i32_i8 v163, v232, v220
	v_dot4c_i32_i8 v165, v234, v220
	v_dot4c_i32_i8 v167, v236, v220
	v_dot4c_i32_i8 v161, v231, v221
	v_dot4c_i32_i8 v163, v233, v221
	v_dot4c_i32_i8 v165, v235, v221
	v_dot4c_i32_i8 v167, v237, v221
	ds_read_b128 v[218:221], v173 offset:33296
	s_waitcnt lgkmcnt(0)
	v_dot4c_i32_i8 v168, v222, v218
	v_dot4c_i32_i8 v170, v224, v218
	v_dot4c_i32_i8 v171, v226, v218
	v_dot4c_i32_i8 v172, v228, v218
	v_dot4c_i32_i8 v168, v223, v219
	v_dot4c_i32_i8 v170, v225, v219
	v_dot4c_i32_i8 v171, v227, v219
	v_dot4c_i32_i8 v172, v229, v219
	v_dot4c_i32_i8 v168, v230, v220
	v_dot4c_i32_i8 v170, v232, v220
	;; [unrolled: 18-line block ×7, first 2 shown]
	v_dot4c_i32_i8 v22, v234, v220
	v_dot4c_i32_i8 v23, v236, v220
	;; [unrolled: 1-line block ×6, first 2 shown]
	ds_read2_b32 v[222:223], v144 offset0:12 offset1:13
	ds_read_b128 v[218:221], v147 offset:33328
	ds_read2_b32 v[224:225], v158 offset0:12 offset1:13
	ds_read2_b32 v[226:227], v160 offset0:12 offset1:13
	;; [unrolled: 1-line block ×7, first 2 shown]
	v_lshrrev_b32_e32 v147, 1, v143
	v_lshlrev_b32_e32 v143, 2, v100
	v_lshlrev_b32_e32 v144, 2, v55
	v_add3_u32 v158, s1, v143, v144
	s_waitcnt lgkmcnt(7)
	v_dot4c_i32_i8 v238, v222, v218
	s_waitcnt lgkmcnt(6)
	v_dot4c_i32_i8 v239, v224, v218
	;; [unrolled: 2-line block ×3, first 2 shown]
	ds_read_u16 v160, v158
	s_waitcnt lgkmcnt(3)
	v_dot4c_i32_i8 v216, v228, v218
	v_dot4c_i32_i8 v238, v223, v219
	;; [unrolled: 1-line block ×7, first 2 shown]
	s_waitcnt lgkmcnt(2)
	v_dot4c_i32_i8 v217, v234, v220
	s_waitcnt lgkmcnt(1)
	v_dot4c_i32_i8 v216, v236, v220
	v_dot4c_i32_i8 v238, v231, v221
	v_dot4c_i32_i8 v239, v233, v221
	v_dot4c_i32_i8 v217, v235, v221
	v_dot4c_i32_i8 v216, v237, v221
	ds_read_b128 v[218:221], v166 offset:33328
	s_waitcnt lgkmcnt(0)
	v_dot4c_i32_i8 v215, v222, v218
	v_dot4c_i32_i8 v214, v224, v218
	v_dot4c_i32_i8 v213, v226, v218
	v_dot4c_i32_i8 v212, v228, v218
	v_dot4c_i32_i8 v215, v223, v219
	v_dot4c_i32_i8 v214, v225, v219
	v_dot4c_i32_i8 v213, v227, v219
	v_dot4c_i32_i8 v212, v229, v219
	v_dot4c_i32_i8 v215, v230, v220
	v_dot4c_i32_i8 v214, v232, v220
	v_dot4c_i32_i8 v213, v234, v220
	v_dot4c_i32_i8 v212, v236, v220
	v_dot4c_i32_i8 v215, v231, v221
	v_dot4c_i32_i8 v214, v233, v221
	v_dot4c_i32_i8 v213, v235, v221
	v_dot4c_i32_i8 v212, v237, v221
	ds_read_b128 v[218:221], v173 offset:33328
	s_waitcnt lgkmcnt(0)
	v_dot4c_i32_i8 v211, v222, v218
	v_dot4c_i32_i8 v210, v224, v218
	v_dot4c_i32_i8 v209, v226, v218
	v_dot4c_i32_i8 v208, v228, v218
	v_dot4c_i32_i8 v211, v223, v219
	v_dot4c_i32_i8 v210, v225, v219
	v_dot4c_i32_i8 v209, v227, v219
	v_dot4c_i32_i8 v208, v229, v219
	v_dot4c_i32_i8 v211, v230, v220
	v_dot4c_i32_i8 v210, v232, v220
	v_dot4c_i32_i8 v209, v234, v220
	;; [unrolled: 18-line block ×6, first 2 shown]
	v_dot4c_i32_i8 v27, v236, v220
	v_dot4c_i32_i8 v30, v231, v221
	;; [unrolled: 1-line block ×5, first 2 shown]
	ds_read_b128 v[218:221], v200 offset:33328
	ds_read_b64 v[199:200], v147 offset:43584
	v_and_b32_sdwa v164, v139, v160 dst_sel:DWORD dst_unused:UNUSED_PAD src0_sel:DWORD src1_sel:BYTE_1
	v_and_b32_e32 v160, 0xff, v160
	v_mul_lo_u32 v166, v238, v164
	v_mul_lo_u32 v145, v145, v160
	;; [unrolled: 1-line block ×4, first 2 shown]
	v_cvt_f32_i32_e32 v166, v166
	v_cvt_f32_i32_e32 v145, v145
	s_waitcnt lgkmcnt(1)
	v_dot4c_i32_i8 v24, v222, v218
	s_waitcnt lgkmcnt(0)
	v_fma_mix_f32 v145, v199, v145, 0 op_sel_hi:[1,0,0]
	v_dot4c_i32_i8 v25, v224, v218
	v_dot4c_i32_i8 v26, v226, v218
	;; [unrolled: 1-line block ×4, first 2 shown]
	v_fma_mix_f32 v166, v200, v166, v145 op_sel_hi:[1,0,0]
	v_lshlrev_b32_e32 v145, 2, v109
	v_dot4c_i32_i8 v25, v225, v219
	v_dot4c_i32_i8 v26, v227, v219
	v_dot4c_i32_i8 v33, v229, v219
	v_dot4c_i32_i8 v24, v230, v220
	v_add3_u32 v173, s1, v145, v140
	v_dot4c_i32_i8 v25, v232, v220
	v_dot4c_i32_i8 v26, v234, v220
	v_dot4c_i32_i8 v33, v236, v220
	v_dot4c_i32_i8 v24, v231, v221
	ds_read_u16 v147, v173
	v_dot4c_i32_i8 v25, v233, v221
	v_dot4c_i32_i8 v26, v235, v221
	;; [unrolled: 1-line block ×3, first 2 shown]
	v_mul_lo_u32 v24, v24, v164
	v_cvt_f32_i32_e32 v24, v24
	s_waitcnt lgkmcnt(0)
	v_and_b32_e32 v179, 0xff, v147
	v_and_b32_sdwa v185, v139, v147 dst_sel:DWORD dst_unused:UNUSED_PAD src0_sel:DWORD src1_sel:BYTE_1
	v_mul_lo_u32 v146, v146, v179
	v_mul_lo_u32 v147, v239, v185
	;; [unrolled: 1-line block ×6, first 2 shown]
	v_cvt_f32_i32_e32 v146, v146
	v_cvt_f32_i32_e32 v147, v147
	;; [unrolled: 1-line block ×5, first 2 shown]
	v_fma_mix_f32 v146, v199, v146, 0 op_sel_hi:[1,0,0]
	v_cvt_f32_i32_e32 v25, v25
	v_fma_mix_f32 v191, v200, v147, v146 op_sel_hi:[1,0,0]
	v_lshlrev_b32_e32 v146, 2, v110
	v_add3_u32 v218, s1, v146, v141
	ds_read_u16 v147, v218
	s_waitcnt lgkmcnt(0)
	v_and_b32_e32 v219, 0xff, v147
	v_and_b32_sdwa v220, v139, v147 dst_sel:DWORD dst_unused:UNUSED_PAD src0_sel:DWORD src1_sel:BYTE_1
	v_mul_lo_u32 v147, v157, v219
	v_mul_lo_u32 v157, v217, v220
	;; [unrolled: 1-line block ×6, first 2 shown]
	v_cvt_f32_i32_e32 v147, v147
	v_cvt_f32_i32_e32 v157, v157
	;; [unrolled: 1-line block ×5, first 2 shown]
	v_fma_mix_f32 v147, v199, v147, 0 op_sel_hi:[1,0,0]
	v_fma_mix_f32 v217, v200, v157, v147 op_sel_hi:[1,0,0]
	v_lshlrev_b32_e32 v147, 2, v111
	v_add3_u32 v157, s1, v147, v142
	s_mov_b32 s1, 8
	ds_read_u16 v221, v157
	s_waitcnt lgkmcnt(0)
	v_and_b32_e32 v222, 0xff, v221
	v_and_b32_sdwa v221, v139, v221 dst_sel:DWORD dst_unused:UNUSED_PAD src0_sel:DWORD src1_sel:BYTE_1
	v_mul_lo_u32 v159, v159, v222
	v_mul_lo_u32 v216, v216, v221
	;; [unrolled: 1-line block ×7, first 2 shown]
	v_cvt_f32_i32_e32 v159, v159
	v_cvt_f32_i32_e32 v216, v216
	;; [unrolled: 1-line block ×5, first 2 shown]
	v_fma_mix_f32 v159, v199, v159, 0 op_sel_hi:[1,0,0]
	v_cvt_f32_i32_e32 v23, v23
	v_fma_mix_f32 v159, v200, v216, v159 op_sel_hi:[1,0,0]
	ds_read_u8 v216, v158 offset:8
	ds_read_u8 v158, v158 offset:9
	ds_read_u16 v173, v173 offset:8
	ds_read_u16 v218, v218 offset:8
	;; [unrolled: 1-line block ×3, first 2 shown]
	s_waitcnt lgkmcnt(4)
	v_cvt_f32_ubyte0_e32 v216, v216
	s_waitcnt lgkmcnt(3)
	v_cvt_f32_ubyte0_e32 v223, v158
	;; [unrolled: 2-line block ×3, first 2 shown]
	v_cvt_f32_ubyte1_e32 v173, v173
	s_waitcnt lgkmcnt(0)
	v_cvt_f32_ubyte0_e32 v226, v157
	v_cvt_f32_ubyte1_e32 v227, v157
	v_fma_mix_f32 v157, v199, v216, 0 op_sel:[1,0,0] op_sel_hi:[1,0,0]
	v_cvt_f32_ubyte0_e32 v225, v218
	v_cvt_f32_ubyte1_e32 v218, v218
	v_mul_lo_u32 v158, v161, v160
	v_mul_lo_u32 v161, v215, v164
	v_fma_mix_f32 v228, v200, v223, v157 op_sel:[1,0,0] op_sel_hi:[1,0,0]
	v_fma_mix_f32 v157, v199, v224, 0 op_sel:[1,0,0] op_sel_hi:[1,0,0]
	;; [unrolled: 1-line block ×4, first 2 shown]
	v_cvt_f32_i32_e32 v161, v161
	v_fma_mix_f32 v230, v200, v218, v157 op_sel:[1,0,0] op_sel_hi:[1,0,0]
	v_fma_mix_f32 v157, v199, v226, 0 op_sel:[1,0,0] op_sel_hi:[1,0,0]
	;; [unrolled: 1-line block ×3, first 2 shown]
	v_lshrrev_b32_e32 v157, 1, v162
	v_cvt_f32_i32_e32 v162, v158
	ds_read_b64 v[157:158], v157 offset:43584
	s_waitcnt lgkmcnt(0)
	v_fma_mix_f32 v162, v162, v157, 0 op_sel_hi:[0,1,0]
	v_fma_mix_f32 v200, v224, v157, 0 op_sel:[0,1,0] op_sel_hi:[0,1,0]
	v_fma_mix_f32 v161, v161, v158, v162 op_sel_hi:[0,1,0]
	v_mul_lo_u32 v162, v163, v179
	v_mul_lo_u32 v163, v214, v185
	v_fma_mix_f32 v200, v173, v158, v200 op_sel:[0,1,0] op_sel_hi:[0,1,0]
	v_cvt_f32_i32_e32 v162, v162
	v_cvt_f32_i32_e32 v163, v163
	v_fma_mix_f32 v162, v162, v157, 0 op_sel_hi:[0,1,0]
	v_fma_mix_f32 v162, v163, v158, v162 op_sel_hi:[0,1,0]
	v_mul_lo_u32 v163, v165, v219
	v_mul_lo_u32 v165, v213, v220
	v_cvt_f32_i32_e32 v163, v163
	v_cvt_f32_i32_e32 v165, v165
	v_fma_mix_f32 v163, v163, v157, 0 op_sel_hi:[0,1,0]
	v_fma_mix_f32 v163, v165, v158, v163 op_sel_hi:[0,1,0]
	v_mul_lo_u32 v165, v167, v222
	v_mul_lo_u32 v167, v212, v221
	v_fma_mix_f32 v212, v225, v157, 0 op_sel:[0,1,0] op_sel_hi:[0,1,0]
	v_fma_mix_f32 v212, v218, v158, v212 op_sel:[0,1,0] op_sel_hi:[0,1,0]
	v_cvt_f32_i32_e32 v165, v165
	v_cvt_f32_i32_e32 v167, v167
	v_fma_mix_f32 v165, v165, v157, 0 op_sel_hi:[0,1,0]
	v_fma_mix_f32 v165, v167, v158, v165 op_sel_hi:[0,1,0]
	v_fma_mix_f32 v167, v216, v157, 0 op_sel:[0,1,0] op_sel_hi:[0,1,0]
	v_fma_mix_f32 v157, v226, v157, 0 op_sel:[0,1,0] op_sel_hi:[0,1,0]
	;; [unrolled: 1-line block ×4, first 2 shown]
	v_mul_lo_u32 v158, v168, v160
	v_lshrrev_b32_e32 v157, 1, v169
	v_mul_lo_u32 v168, v211, v164
	v_cvt_f32_i32_e32 v169, v158
	ds_read_b64 v[157:158], v157 offset:43584
	v_cvt_f32_i32_e32 v168, v168
	s_waitcnt lgkmcnt(0)
	v_fma_mix_f32 v169, v169, v157, 0 op_sel_hi:[0,1,0]
	v_fma_mix_f32 v168, v168, v158, v169 op_sel_hi:[0,1,0]
	v_mul_lo_u32 v169, v170, v179
	v_mul_lo_u32 v170, v210, v185
	v_cvt_f32_i32_e32 v169, v169
	v_cvt_f32_i32_e32 v170, v170
	v_fma_mix_f32 v169, v169, v157, 0 op_sel_hi:[0,1,0]
	v_fma_mix_f32 v169, v170, v158, v169 op_sel_hi:[0,1,0]
	v_mul_lo_u32 v170, v171, v219
	v_mul_lo_u32 v171, v209, v220
	v_fma_mix_f32 v209, v225, v157, 0 op_sel:[0,1,0] op_sel_hi:[0,1,0]
	v_fma_mix_f32 v209, v218, v158, v209 op_sel:[0,1,0] op_sel_hi:[0,1,0]
	v_cvt_f32_i32_e32 v170, v170
	v_cvt_f32_i32_e32 v171, v171
	v_fma_mix_f32 v170, v170, v157, 0 op_sel_hi:[0,1,0]
	v_fma_mix_f32 v170, v171, v158, v170 op_sel_hi:[0,1,0]
	v_mul_lo_u32 v171, v172, v222
	v_mul_lo_u32 v172, v208, v221
	v_fma_mix_f32 v208, v224, v157, 0 op_sel:[0,1,0] op_sel_hi:[0,1,0]
	v_fma_mix_f32 v208, v173, v158, v208 op_sel:[0,1,0] op_sel_hi:[0,1,0]
	v_cvt_f32_i32_e32 v171, v171
	v_cvt_f32_i32_e32 v172, v172
	v_fma_mix_f32 v171, v171, v157, 0 op_sel_hi:[0,1,0]
	v_fma_mix_f32 v171, v172, v158, v171 op_sel_hi:[0,1,0]
	v_fma_mix_f32 v172, v216, v157, 0 op_sel:[0,1,0] op_sel_hi:[0,1,0]
	v_fma_mix_f32 v157, v226, v157, 0 op_sel:[0,1,0] op_sel_hi:[0,1,0]
	;; [unrolled: 1-line block ×4, first 2 shown]
	v_mul_lo_u32 v158, v174, v160
	v_lshrrev_b32_e32 v157, 1, v175
	v_mul_lo_u32 v174, v207, v164
	v_cvt_f32_i32_e32 v175, v158
	ds_read_b64 v[157:158], v157 offset:43584
	v_cvt_f32_i32_e32 v174, v174
	s_waitcnt lgkmcnt(0)
	v_fma_mix_f32 v175, v175, v157, 0 op_sel_hi:[0,1,0]
	v_fma_mix_f32 v174, v174, v158, v175 op_sel_hi:[0,1,0]
	v_mul_lo_u32 v175, v176, v179
	v_mul_lo_u32 v176, v206, v185
	v_cvt_f32_i32_e32 v175, v175
	v_cvt_f32_i32_e32 v176, v176
	v_fma_mix_f32 v175, v175, v157, 0 op_sel_hi:[0,1,0]
	v_fma_mix_f32 v175, v176, v158, v175 op_sel_hi:[0,1,0]
	v_mul_lo_u32 v176, v177, v219
	v_mul_lo_u32 v177, v205, v220
	v_fma_mix_f32 v205, v225, v157, 0 op_sel:[0,1,0] op_sel_hi:[0,1,0]
	v_fma_mix_f32 v205, v218, v158, v205 op_sel:[0,1,0] op_sel_hi:[0,1,0]
	v_cvt_f32_i32_e32 v176, v176
	v_cvt_f32_i32_e32 v177, v177
	v_fma_mix_f32 v176, v176, v157, 0 op_sel_hi:[0,1,0]
	v_fma_mix_f32 v176, v177, v158, v176 op_sel_hi:[0,1,0]
	v_mul_lo_u32 v177, v178, v222
	v_mul_lo_u32 v178, v204, v221
	v_fma_mix_f32 v204, v224, v157, 0 op_sel:[0,1,0] op_sel_hi:[0,1,0]
	v_fma_mix_f32 v204, v173, v158, v204 op_sel:[0,1,0] op_sel_hi:[0,1,0]
	v_cvt_f32_i32_e32 v177, v177
	v_cvt_f32_i32_e32 v178, v178
	v_fma_mix_f32 v177, v177, v157, 0 op_sel_hi:[0,1,0]
	v_fma_mix_f32 v177, v178, v158, v177 op_sel_hi:[0,1,0]
	v_fma_mix_f32 v178, v216, v157, 0 op_sel:[0,1,0] op_sel_hi:[0,1,0]
	v_fma_mix_f32 v157, v226, v157, 0 op_sel:[0,1,0] op_sel_hi:[0,1,0]
	;; [unrolled: 1-line block ×4, first 2 shown]
	v_mul_lo_u32 v158, v180, v160
	v_lshrrev_b32_e32 v157, 1, v181
	v_mul_lo_u32 v180, v203, v164
	v_mul_f32_e32 v164, v209, v153
	v_cvt_f32_i32_e32 v181, v158
	ds_read_b64 v[157:158], v157 offset:43584
	v_cvt_f32_i32_e32 v180, v180
	v_fma_f32 v164, v170, v154, -v164
	v_add_f32_e32 v73, v73, v164
	s_waitcnt lgkmcnt(0)
	v_fma_mix_f32 v181, v181, v157, 0 op_sel_hi:[0,1,0]
	v_fma_mix_f32 v180, v180, v158, v181 op_sel_hi:[0,1,0]
	v_mul_lo_u32 v181, v182, v179
	v_mul_lo_u32 v182, v202, v185
	v_cvt_f32_i32_e32 v181, v181
	v_cvt_f32_i32_e32 v182, v182
	v_fma_mix_f32 v181, v181, v157, 0 op_sel_hi:[0,1,0]
	v_fma_mix_f32 v181, v182, v158, v181 op_sel_hi:[0,1,0]
	v_mul_lo_u32 v182, v183, v219
	v_mul_lo_u32 v183, v201, v220
	v_cvt_f32_i32_e32 v182, v182
	v_cvt_f32_i32_e32 v183, v183
	v_fma_mix_f32 v182, v182, v157, 0 op_sel_hi:[0,1,0]
	v_fma_mix_f32 v182, v183, v158, v182 op_sel_hi:[0,1,0]
	v_mul_lo_u32 v183, v184, v222
	v_cvt_f32_i32_e32 v183, v183
	v_fma_mix_f32 v183, v183, v157, 0 op_sel_hi:[0,1,0]
	v_fma_mix_f32 v183, v36, v158, v183 op_sel_hi:[0,1,0]
	v_fma_mix_f32 v36, v216, v157, 0 op_sel:[0,1,0] op_sel_hi:[0,1,0]
	v_fma_mix_f32 v184, v223, v158, v36 op_sel:[0,1,0] op_sel_hi:[0,1,0]
	;; [unrolled: 1-line block ×3, first 2 shown]
	v_mul_f32_e32 v170, v184, v150
	v_fma_mix_f32 v201, v173, v158, v36 op_sel:[0,1,0] op_sel_hi:[0,1,0]
	v_fma_mix_f32 v36, v225, v157, 0 op_sel:[0,1,0] op_sel_hi:[0,1,0]
	v_fma_f32 v170, v180, v149, -v170
	v_fma_mix_f32 v202, v218, v158, v36 op_sel:[0,1,0] op_sel_hi:[0,1,0]
	v_fma_mix_f32 v36, v226, v157, 0 op_sel:[0,1,0] op_sel_hi:[0,1,0]
	v_add_f32_e32 v53, v53, v170
	v_fma_mix_f32 v157, v227, v158, v36 op_sel:[0,1,0] op_sel_hi:[0,1,0]
	v_lshrrev_b32_e32 v36, 1, v187
	v_mul_lo_u32 v158, v186, v160
	v_cvt_f32_i32_e32 v186, v35
	v_mul_f32_e32 v157, v157, v155
	ds_read_b64 v[35:36], v36 offset:43584
	v_cvt_f32_i32_e32 v158, v158
	v_fma_f32 v157, v183, v156, -v157
	v_add_f32_e32 v50, v50, v157
	s_waitcnt lgkmcnt(0)
	v_fma_mix_f32 v158, v158, v35, 0 op_sel_hi:[0,1,0]
	v_fma_mix_f32 v158, v186, v36, v158 op_sel_hi:[0,1,0]
	v_mul_lo_u32 v186, v188, v179
	v_cvt_f32_i32_e32 v186, v186
	v_fma_mix_f32 v186, v186, v35, 0 op_sel_hi:[0,1,0]
	v_fma_mix_f32 v34, v34, v36, v186 op_sel_hi:[0,1,0]
	v_mul_lo_u32 v186, v189, v219
	v_cvt_f32_i32_e32 v186, v186
	;; [unrolled: 4-line block ×3, first 2 shown]
	v_cvt_f32_i32_e32 v186, v186
	v_fma_mix_f32 v186, v186, v35, 0 op_sel_hi:[0,1,0]
	v_fma_mix_f32 v186, v31, v36, v186 op_sel_hi:[0,1,0]
	v_fma_mix_f32 v31, v216, v35, 0 op_sel:[0,1,0] op_sel_hi:[0,1,0]
	v_fma_mix_f32 v187, v223, v36, v31 op_sel:[0,1,0] op_sel_hi:[0,1,0]
	;; [unrolled: 1-line block ×8, first 2 shown]
	v_lshrrev_b32_e32 v31, 1, v193
	v_mul_lo_u32 v36, v192, v160
	v_mul_lo_u32 v160, v197, v160
	v_mul_f32_e32 v35, v35, v155
	ds_read_b64 v[30:31], v31 offset:43584
	v_cvt_f32_i32_e32 v36, v36
	v_cvt_f32_i32_e32 v160, v160
	v_fma_f32 v35, v186, v156, -v35
	v_add_f32_e32 v45, v45, v35
	s_waitcnt lgkmcnt(0)
	v_fma_mix_f32 v36, v36, v30, 0 op_sel_hi:[0,1,0]
	v_fma_mix_f32 v36, v190, v31, v36 op_sel_hi:[0,1,0]
	v_mul_lo_u32 v190, v194, v179
	v_cvt_f32_i32_e32 v190, v190
	v_fma_mix_f32 v190, v190, v30, 0 op_sel_hi:[0,1,0]
	v_fma_mix_f32 v29, v29, v31, v190 op_sel_hi:[0,1,0]
	v_mul_lo_u32 v190, v195, v219
	v_cvt_f32_i32_e32 v190, v190
	;; [unrolled: 4-line block ×3, first 2 shown]
	v_fma_mix_f32 v28, v28, v30, 0 op_sel_hi:[0,1,0]
	v_fma_mix_f32 v192, v27, v31, v28 op_sel_hi:[0,1,0]
	v_fma_mix_f32 v27, v216, v30, 0 op_sel:[0,1,0] op_sel_hi:[0,1,0]
	v_fma_mix_f32 v193, v223, v31, v27 op_sel:[0,1,0] op_sel_hi:[0,1,0]
	;; [unrolled: 1-line block ×8, first 2 shown]
	v_lshrrev_b32_e32 v27, 1, v198
	v_mul_f32_e32 v30, v30, v155
	ds_read_b64 v[27:28], v27 offset:43584
	v_fma_f32 v30, v192, v156, -v30
	v_add_f32_e32 v41, v41, v30
	s_waitcnt lgkmcnt(0)
	v_fma_mix_f32 v21, v21, v27, 0 op_sel_hi:[0,1,0]
	v_fma_mix_f32 v22, v22, v27, 0 op_sel_hi:[0,1,0]
	;; [unrolled: 1-line block ×3, first 2 shown]
	v_fma_mix_f32 v31, v216, v27, 0 op_sel:[0,1,0] op_sel_hi:[0,1,0]
	v_fma_mix_f32 v196, v224, v27, 0 op_sel:[0,1,0] op_sel_hi:[0,1,0]
	v_fma_mix_f32 v21, v25, v28, v21 op_sel_hi:[0,1,0]
	v_cvt_f32_i32_e32 v25, v26
	v_fma_mix_f32 v198, v226, v27, 0 op_sel:[0,1,0] op_sel_hi:[0,1,0]
	v_fma_mix_f32 v31, v223, v28, v31 op_sel:[0,1,0] op_sel_hi:[0,1,0]
	;; [unrolled: 1-line block ×4, first 2 shown]
	v_fma_mix_f32 v22, v25, v28, v22 op_sel_hi:[0,1,0]
	v_cvt_f32_i32_e32 v25, v33
	v_fma_mix_f32 v160, v160, v27, 0 op_sel_hi:[0,1,0]
	v_fma_mix_f32 v198, v227, v28, v198 op_sel:[0,1,0] op_sel_hi:[0,1,0]
	v_fma_mix_f32 v196, v218, v28, v196 op_sel:[0,1,0] op_sel_hi:[0,1,0]
	v_mul_f32_e32 v33, v167, v150
	v_fma_mix_f32 v23, v25, v28, v23 op_sel_hi:[0,1,0]
	v_mul_f32_e32 v25, v228, v150
	v_fma_mix_f32 v24, v24, v28, v160 op_sel_hi:[0,1,0]
	v_mul_f32_e32 v28, v199, v155
	v_mul_f32_e32 v31, v31, v150
	v_fma_f32 v33, v161, v149, -v33
	v_fma_f32 v25, v166, v149, -v25
	v_mul_f32_e32 v166, v178, v150
	v_fma_f32 v28, v159, v156, -v28
	v_mul_f32_e32 v159, v200, v151
	v_mul_f32_e32 v160, v212, v153
	;; [unrolled: 1-line block ×3, first 2 shown]
	v_fma_f32 v166, v174, v149, -v166
	v_mul_f32_e32 v174, v187, v150
	v_fma_f32 v24, v24, v149, -v31
	v_mul_f32_e32 v31, v173, v151
	v_fma_f32 v159, v162, v152, -v159
	v_fma_f32 v160, v163, v154, -v160
	;; [unrolled: 1-line block ×3, first 2 shown]
	v_mul_f32_e32 v174, v188, v151
	v_fma_f32 v161, v165, v156, -v161
	v_mul_f32_e32 v162, v172, v150
	v_mul_f32_e32 v163, v208, v151
	;; [unrolled: 1-line block ×3, first 2 shown]
	v_fma_f32 v34, v34, v152, -v174
	v_mul_f32_e32 v174, v189, v153
	v_fma_f32 v21, v21, v152, -v31
	v_mul_f32_e32 v31, v196, v153
	v_mul_f32_e32 v26, v229, v151
	;; [unrolled: 1-line block ×3, first 2 shown]
	v_fma_f32 v32, v32, v154, -v174
	v_mul_f32_e32 v174, v193, v150
	v_fma_f32 v162, v168, v149, -v162
	v_fma_f32 v163, v169, v152, -v163
	;; [unrolled: 1-line block ×3, first 2 shown]
	v_mul_f32_e32 v167, v204, v151
	v_fma_f32 v36, v36, v149, -v174
	v_mul_f32_e32 v174, v194, v151
	v_mul_f32_e32 v168, v205, v153
	v_mul_f32_e32 v169, v206, v155
	v_mul_f32_e32 v171, v201, v151
	v_mul_f32_e32 v172, v202, v153
	v_fma_f32 v29, v29, v152, -v174
	v_mul_f32_e32 v174, v195, v153
	v_fma_f32 v22, v22, v154, -v31
	v_mul_f32_e32 v31, v198, v155
	v_fma_f32 v26, v191, v152, -v26
	v_fma_f32 v27, v217, v154, -v27
	;; [unrolled: 1-line block ×9, first 2 shown]
	v_add_f32_e32 v96, v96, v25
	v_add_f32_e32 v93, v93, v26
	;; [unrolled: 1-line block ×27, first 2 shown]
	s_cbranch_vccnz .LBB134_6
; %bb.7:                                ;   in Loop: Header=BB134_5 Depth=1
	v_add_nc_u32_e32 v33, s0, v109
	v_add_nc_u32_e32 v31, 4, v148
	s_barrier
	buffer_gl0_inv
	v_add_nc_u32_e32 v21, v33, v101
	v_add_nc_u32_e32 v23, v33, v102
	;; [unrolled: 1-line block ×5, first 2 shown]
	v_mad_u64_u32 v[31:32], null, v31, 36, s[2:3]
	v_mad_i64_i32 v[21:22], null, v21, 36, v[19:20]
	v_add_nc_u32_e32 v34, v33, v106
	v_mad_i64_i32 v[23:24], null, v23, 36, v[19:20]
	v_add_nc_u32_e32 v35, v33, v107
	;; [unrolled: 2-line block ×3, first 2 shown]
	v_mad_i64_i32 v[27:28], null, v27, 36, v[19:20]
	v_mad_i64_i32 v[29:30], null, v29, 36, v[19:20]
	;; [unrolled: 1-line block ×5, first 2 shown]
	s_clause 0x8
	global_load_dword v31, v[31:32], off
	global_load_dword v21, v[21:22], off offset:4
	global_load_dword v22, v[23:24], off offset:4
	;; [unrolled: 1-line block ×8, first 2 shown]
	s_mov_b32 s0, 16
	s_waitcnt vmcnt(8)
	ds_write_b32 v99, v31
	s_waitcnt vmcnt(7)
	ds_write_b32 v131, v21
	;; [unrolled: 2-line block ×9, first 2 shown]
	s_waitcnt lgkmcnt(0)
	s_barrier
	buffer_gl0_inv
	ds_read_b32 v21, v112
	ds_read_b32 v22, v113 offset:128
	ds_read_b32 v23, v114 offset:256
	;; [unrolled: 1-line block ×3, first 2 shown]
	s_waitcnt lgkmcnt(3)
	v_cvt_f32_f16_e32 v148, v21
	v_cvt_f32_f16_sdwa v149, v21 dst_sel:DWORD dst_unused:UNUSED_PAD src0_sel:WORD_1
	s_waitcnt lgkmcnt(2)
	v_cvt_f32_f16_sdwa v150, v22 dst_sel:DWORD dst_unused:UNUSED_PAD src0_sel:WORD_1
	v_cvt_f32_f16_e32 v151, v22
	s_waitcnt lgkmcnt(1)
	v_cvt_f32_f16_sdwa v152, v23 dst_sel:DWORD dst_unused:UNUSED_PAD src0_sel:WORD_1
	v_cvt_f32_f16_e32 v153, v23
	;; [unrolled: 3-line block ×3, first 2 shown]
.LBB134_8:                              ;   Parent Loop BB134_5 Depth=1
                                        ; =>  This Inner Loop Header: Depth=2
	s_lshl_b32 s1, s0, 1
	s_lshl_b32 s11, s0, 3
	s_and_b32 s1, s1, 16
	v_add_nc_u32_e32 v159, s11, v123
	v_or_b32_e32 v157, s1, v75
	v_add_nc_u32_e32 v162, s11, v124
	v_add_nc_u32_e32 v164, s11, v125
	;; [unrolled: 1-line block ×3, first 2 shown]
	v_mov_b32_e32 v156, 0
	v_lshlrev_b32_e32 v160, 2, v157
	v_mov_b32_e32 v158, 0
	v_mov_b32_e32 v161, 0
	;; [unrolled: 1-line block ×3, first 2 shown]
	ds_read2_b32 v[21:22], v159 offset1:1
	ds_read_b128 v[168:171], v160 offset:33280
	ds_read2_b32 v[23:24], v162 offset1:1
	ds_read2_b32 v[25:26], v164 offset1:1
	ds_read2_b32 v[31:32], v162 offset0:2 offset1:3
	ds_read2_b32 v[29:30], v159 offset0:2 offset1:3
	ds_read2_b32 v[27:28], v167 offset1:1
	ds_read2_b32 v[35:36], v167 offset0:2 offset1:3
	ds_read2_b32 v[33:34], v164 offset0:2 offset1:3
	v_or_b32_e32 v166, s1, v116
	v_mov_b32_e32 v165, 0
	v_mov_b32_e32 v176, 0
	;; [unrolled: 1-line block ×11, first 2 shown]
	s_waitcnt lgkmcnt(7)
	v_dot4c_i32_i8 v156, v21, v168
	s_waitcnt lgkmcnt(6)
	v_dot4c_i32_i8 v158, v23, v168
	;; [unrolled: 2-line block ×3, first 2 shown]
	v_mov_b32_e32 v232, 0
	v_mov_b32_e32 v231, 0
	s_waitcnt lgkmcnt(2)
	v_dot4c_i32_i8 v163, v27, v168
	v_dot4c_i32_i8 v156, v22, v169
	;; [unrolled: 1-line block ×4, first 2 shown]
	v_mov_b32_e32 v168, 0
	v_dot4c_i32_i8 v163, v28, v169
	v_dot4c_i32_i8 v156, v29, v170
	;; [unrolled: 1-line block ×3, first 2 shown]
	s_waitcnt lgkmcnt(0)
	v_dot4c_i32_i8 v161, v33, v170
	v_mov_b32_e32 v169, 0
	v_dot4c_i32_i8 v163, v35, v170
	v_lshlrev_b32_e32 v170, 2, v166
	v_dot4c_i32_i8 v156, v30, v171
	v_dot4c_i32_i8 v158, v32, v171
	;; [unrolled: 1-line block ×4, first 2 shown]
	ds_read_b128 v[172:175], v170 offset:33280
	v_mov_b32_e32 v171, 0
	v_mov_b32_e32 v230, 0
	;; [unrolled: 1-line block ×19, first 2 shown]
	s_waitcnt lgkmcnt(0)
	v_dot4c_i32_i8 v165, v21, v172
	v_dot4c_i32_i8 v168, v23, v172
	;; [unrolled: 1-line block ×4, first 2 shown]
	v_mov_b32_e32 v172, 0
	v_dot4c_i32_i8 v165, v22, v173
	v_dot4c_i32_i8 v168, v24, v173
	;; [unrolled: 1-line block ×4, first 2 shown]
	v_or_b32_e32 v173, s1, v117
	v_dot4c_i32_i8 v165, v29, v174
	v_dot4c_i32_i8 v168, v31, v174
	;; [unrolled: 1-line block ×4, first 2 shown]
	v_lshlrev_b32_e32 v177, 2, v173
	v_dot4c_i32_i8 v165, v30, v175
	v_dot4c_i32_i8 v168, v32, v175
	;; [unrolled: 1-line block ×4, first 2 shown]
	ds_read_b128 v[178:181], v177 offset:33280
	v_mov_b32_e32 v174, 0
	v_mov_b32_e32 v175, 0
	;; [unrolled: 1-line block ×3, first 2 shown]
	s_waitcnt lgkmcnt(0)
	v_dot4c_i32_i8 v172, v21, v178
	v_dot4c_i32_i8 v174, v23, v178
	v_dot4c_i32_i8 v175, v25, v178
	v_dot4c_i32_i8 v176, v27, v178
	v_mov_b32_e32 v178, 0
	v_dot4c_i32_i8 v172, v22, v179
	v_dot4c_i32_i8 v174, v24, v179
	v_dot4c_i32_i8 v175, v26, v179
	v_dot4c_i32_i8 v176, v28, v179
	v_or_b32_e32 v179, s1, v118
	v_dot4c_i32_i8 v172, v29, v180
	v_dot4c_i32_i8 v174, v31, v180
	v_dot4c_i32_i8 v175, v33, v180
	v_dot4c_i32_i8 v176, v35, v180
	v_lshlrev_b32_e32 v183, 2, v179
	v_dot4c_i32_i8 v172, v30, v181
	v_dot4c_i32_i8 v174, v32, v181
	v_dot4c_i32_i8 v175, v34, v181
	v_dot4c_i32_i8 v176, v36, v181
	ds_read_b128 v[184:187], v183 offset:33280
	v_mov_b32_e32 v180, 0
	v_mov_b32_e32 v181, 0
	s_waitcnt lgkmcnt(0)
	v_dot4c_i32_i8 v178, v21, v184
	v_dot4c_i32_i8 v180, v23, v184
	v_dot4c_i32_i8 v181, v25, v184
	v_dot4c_i32_i8 v182, v27, v184
	v_mov_b32_e32 v184, 0
	v_dot4c_i32_i8 v178, v22, v185
	v_dot4c_i32_i8 v180, v24, v185
	v_dot4c_i32_i8 v181, v26, v185
	v_dot4c_i32_i8 v182, v28, v185
	v_or_b32_e32 v185, s1, v119
	v_dot4c_i32_i8 v178, v29, v186
	v_dot4c_i32_i8 v180, v31, v186
	v_dot4c_i32_i8 v181, v33, v186
	v_dot4c_i32_i8 v182, v35, v186
	v_lshlrev_b32_e32 v189, 2, v185
	v_dot4c_i32_i8 v178, v30, v187
	v_dot4c_i32_i8 v180, v32, v187
	v_dot4c_i32_i8 v181, v34, v187
	v_dot4c_i32_i8 v182, v36, v187
	ds_read_b128 v[190:193], v189 offset:33280
	v_mov_b32_e32 v186, 0
	v_mov_b32_e32 v187, 0
	;; [unrolled: 23-line block ×4, first 2 shown]
	s_waitcnt lgkmcnt(0)
	v_dot4c_i32_i8 v196, v21, v206
	v_dot4c_i32_i8 v199, v23, v206
	v_dot4c_i32_i8 v201, v25, v206
	v_dot4c_i32_i8 v203, v27, v206
	v_or_b32_e32 v206, s1, v122
	v_dot4c_i32_i8 v196, v22, v207
	v_dot4c_i32_i8 v199, v24, v207
	;; [unrolled: 1-line block ×4, first 2 shown]
	v_lshlrev_b32_e32 v207, 2, v206
	v_dot4c_i32_i8 v196, v29, v208
	v_dot4c_i32_i8 v199, v31, v208
	;; [unrolled: 1-line block ×4, first 2 shown]
	s_lshr_b32 s1, s0, 2
	v_dot4c_i32_i8 v196, v30, v209
	v_dot4c_i32_i8 v199, v32, v209
	;; [unrolled: 1-line block ×4, first 2 shown]
	ds_read_b128 v[208:211], v207 offset:33280
	s_and_b32 s1, s1, 0x3ffffffe
	s_add_i32 s1, s1, 0xa200
	s_waitcnt lgkmcnt(0)
	v_dot4c_i32_i8 v198, v21, v208
	v_dot4c_i32_i8 v200, v23, v208
	v_dot4c_i32_i8 v202, v25, v208
	v_dot4c_i32_i8 v204, v27, v208
	v_mov_b32_e32 v208, 0
	v_dot4c_i32_i8 v198, v22, v209
	v_dot4c_i32_i8 v200, v24, v209
	v_dot4c_i32_i8 v202, v26, v209
	v_dot4c_i32_i8 v204, v28, v209
	v_mov_b32_e32 v209, 0
	;; [unrolled: 5-line block ×3, first 2 shown]
	v_dot4c_i32_i8 v198, v30, v211
	v_dot4c_i32_i8 v200, v32, v211
	ds_read2_b32 v[238:239], v159 offset0:8 offset1:9
	ds_read_b128 v[29:32], v160 offset:33312
	ds_read2_b32 v[240:241], v162 offset0:8 offset1:9
	ds_read2_b32 v[242:243], v164 offset0:8 offset1:9
	;; [unrolled: 1-line block ×5, first 2 shown]
	ds_read_b128 v[234:237], v207 offset:33312
	ds_read2_b32 v[21:22], v167 offset0:10 offset1:11
	v_dot4c_i32_i8 v202, v34, v211
	v_dot4c_i32_i8 v204, v36, v211
	v_mov_b32_e32 v211, 0
	v_mov_b32_e32 v36, 0
	;; [unrolled: 1-line block ×3, first 2 shown]
	s_waitcnt lgkmcnt(7)
	v_dot4c_i32_i8 v233, v238, v29
	s_waitcnt lgkmcnt(6)
	v_dot4c_i32_i8 v232, v240, v29
	s_waitcnt lgkmcnt(5)
	v_dot4c_i32_i8 v231, v242, v29
	s_waitcnt lgkmcnt(2)
	v_dot4c_i32_i8 v230, v23, v29
	v_dot4c_i32_i8 v233, v239, v30
	v_dot4c_i32_i8 v232, v241, v30
	;; [unrolled: 1-line block ×4, first 2 shown]
	ds_read2_b32 v[29:30], v164 offset0:10 offset1:11
	v_dot4c_i32_i8 v233, v25, v31
	v_dot4c_i32_i8 v232, v27, v31
	s_waitcnt lgkmcnt(1)
	v_dot4c_i32_i8 v230, v21, v31
	v_dot4c_i32_i8 v233, v26, v32
	;; [unrolled: 1-line block ×4, first 2 shown]
	s_waitcnt lgkmcnt(0)
	v_dot4c_i32_i8 v231, v29, v31
	v_dot4c_i32_i8 v231, v30, v32
	ds_read_b128 v[31:34], v170 offset:33312
	s_waitcnt lgkmcnt(0)
	v_dot4c_i32_i8 v229, v238, v31
	v_dot4c_i32_i8 v228, v240, v31
	v_dot4c_i32_i8 v227, v242, v31
	v_dot4c_i32_i8 v226, v23, v31
	v_dot4c_i32_i8 v229, v239, v32
	v_dot4c_i32_i8 v228, v241, v32
	v_dot4c_i32_i8 v227, v243, v32
	v_dot4c_i32_i8 v226, v24, v32
	v_dot4c_i32_i8 v229, v25, v33
	v_dot4c_i32_i8 v228, v27, v33
	v_dot4c_i32_i8 v227, v29, v33
	v_dot4c_i32_i8 v226, v21, v33
	v_dot4c_i32_i8 v229, v26, v34
	v_dot4c_i32_i8 v228, v28, v34
	v_dot4c_i32_i8 v227, v30, v34
	v_dot4c_i32_i8 v226, v22, v34
	ds_read_b128 v[31:34], v177 offset:33312
	s_waitcnt lgkmcnt(0)
	v_dot4c_i32_i8 v225, v238, v31
	v_dot4c_i32_i8 v224, v240, v31
	v_dot4c_i32_i8 v223, v242, v31
	v_dot4c_i32_i8 v222, v23, v31
	v_dot4c_i32_i8 v225, v239, v32
	v_dot4c_i32_i8 v224, v241, v32
	v_dot4c_i32_i8 v223, v243, v32
	v_dot4c_i32_i8 v222, v24, v32
	v_dot4c_i32_i8 v225, v25, v33
	v_dot4c_i32_i8 v224, v27, v33
	v_dot4c_i32_i8 v223, v29, v33
	v_dot4c_i32_i8 v222, v21, v33
	v_dot4c_i32_i8 v225, v26, v34
	v_dot4c_i32_i8 v224, v28, v34
	;; [unrolled: 18-line block ×5, first 2 shown]
	v_dot4c_i32_i8 v211, v30, v34
	v_dot4c_i32_i8 v210, v22, v34
	ds_read_b128 v[31:34], v205 offset:33312
	s_waitcnt lgkmcnt(0)
	v_dot4c_i32_i8 v209, v238, v31
	v_dot4c_i32_i8 v208, v240, v31
	v_dot4c_i32_i8 v36, v242, v31
	v_dot4c_i32_i8 v35, v23, v31
	v_mov_b32_e32 v31, 0
	v_dot4c_i32_i8 v209, v239, v32
	v_dot4c_i32_i8 v208, v241, v32
	v_dot4c_i32_i8 v36, v243, v32
	v_dot4c_i32_i8 v35, v24, v32
	v_mov_b32_e32 v32, 0
	;; [unrolled: 5-line block ×4, first 2 shown]
	v_dot4c_i32_i8 v31, v238, v234
	v_dot4c_i32_i8 v32, v240, v234
	;; [unrolled: 1-line block ×16, first 2 shown]
	ds_read2_b32 v[25:26], v159 offset0:4 offset1:5
	ds_read_b128 v[21:24], v160 offset:33296
	ds_read2_b32 v[27:28], v162 offset0:4 offset1:5
	ds_read2_b32 v[29:30], v164 offset0:4 offset1:5
	;; [unrolled: 1-line block ×7, first 2 shown]
	s_waitcnt lgkmcnt(7)
	v_dot4c_i32_i8 v156, v25, v21
	s_waitcnt lgkmcnt(6)
	v_dot4c_i32_i8 v158, v27, v21
	;; [unrolled: 2-line block ×4, first 2 shown]
	v_dot4c_i32_i8 v156, v26, v22
	v_dot4c_i32_i8 v158, v28, v22
	;; [unrolled: 1-line block ×6, first 2 shown]
	s_waitcnt lgkmcnt(0)
	v_dot4c_i32_i8 v161, v240, v23
	v_dot4c_i32_i8 v163, v242, v23
	v_dot4c_i32_i8 v156, v237, v24
	v_dot4c_i32_i8 v158, v239, v24
	v_dot4c_i32_i8 v161, v241, v24
	v_dot4c_i32_i8 v163, v243, v24
	ds_read_b128 v[21:24], v170 offset:33296
	s_waitcnt lgkmcnt(0)
	v_dot4c_i32_i8 v165, v25, v21
	v_dot4c_i32_i8 v168, v27, v21
	v_dot4c_i32_i8 v169, v29, v21
	v_dot4c_i32_i8 v171, v234, v21
	v_dot4c_i32_i8 v165, v26, v22
	v_dot4c_i32_i8 v168, v28, v22
	v_dot4c_i32_i8 v169, v30, v22
	v_dot4c_i32_i8 v171, v235, v22
	v_dot4c_i32_i8 v165, v236, v23
	v_dot4c_i32_i8 v168, v238, v23
	v_dot4c_i32_i8 v169, v240, v23
	v_dot4c_i32_i8 v171, v242, v23
	v_dot4c_i32_i8 v165, v237, v24
	v_dot4c_i32_i8 v168, v239, v24
	v_dot4c_i32_i8 v169, v241, v24
	v_dot4c_i32_i8 v171, v243, v24
	ds_read_b128 v[21:24], v177 offset:33296
	s_waitcnt lgkmcnt(0)
	v_dot4c_i32_i8 v172, v25, v21
	v_dot4c_i32_i8 v174, v27, v21
	v_dot4c_i32_i8 v175, v29, v21
	v_dot4c_i32_i8 v176, v234, v21
	v_dot4c_i32_i8 v172, v26, v22
	v_dot4c_i32_i8 v174, v28, v22
	v_dot4c_i32_i8 v175, v30, v22
	v_dot4c_i32_i8 v176, v235, v22
	v_dot4c_i32_i8 v172, v236, v23
	v_dot4c_i32_i8 v174, v238, v23
	;; [unrolled: 18-line block ×7, first 2 shown]
	v_dot4c_i32_i8 v202, v240, v23
	v_dot4c_i32_i8 v204, v242, v23
	;; [unrolled: 1-line block ×6, first 2 shown]
	ds_read2_b32 v[25:26], v159 offset0:12 offset1:13
	ds_read_b128 v[21:24], v160 offset:33328
	ds_read2_b32 v[27:28], v162 offset0:12 offset1:13
	ds_read2_b32 v[29:30], v164 offset0:12 offset1:13
	;; [unrolled: 1-line block ×7, first 2 shown]
	s_waitcnt lgkmcnt(7)
	v_dot4c_i32_i8 v233, v25, v21
	s_waitcnt lgkmcnt(6)
	v_dot4c_i32_i8 v232, v27, v21
	;; [unrolled: 2-line block ×4, first 2 shown]
	v_dot4c_i32_i8 v233, v26, v22
	v_dot4c_i32_i8 v232, v28, v22
	;; [unrolled: 1-line block ×6, first 2 shown]
	s_waitcnt lgkmcnt(0)
	v_dot4c_i32_i8 v231, v238, v23
	v_dot4c_i32_i8 v230, v240, v23
	v_dot4c_i32_i8 v233, v160, v24
	v_dot4c_i32_i8 v232, v237, v24
	v_dot4c_i32_i8 v231, v239, v24
	v_dot4c_i32_i8 v230, v241, v24
	ds_read_b128 v[21:24], v170 offset:33328
	s_waitcnt lgkmcnt(0)
	v_dot4c_i32_i8 v229, v25, v21
	v_dot4c_i32_i8 v228, v27, v21
	v_dot4c_i32_i8 v227, v29, v21
	v_dot4c_i32_i8 v226, v234, v21
	v_dot4c_i32_i8 v229, v26, v22
	v_dot4c_i32_i8 v228, v28, v22
	v_dot4c_i32_i8 v227, v30, v22
	v_dot4c_i32_i8 v226, v235, v22
	v_dot4c_i32_i8 v229, v159, v23
	v_dot4c_i32_i8 v228, v236, v23
	v_dot4c_i32_i8 v227, v238, v23
	v_dot4c_i32_i8 v226, v240, v23
	v_dot4c_i32_i8 v229, v160, v24
	v_dot4c_i32_i8 v228, v237, v24
	v_dot4c_i32_i8 v227, v239, v24
	v_dot4c_i32_i8 v226, v241, v24
	ds_read_b128 v[21:24], v177 offset:33328
	s_waitcnt lgkmcnt(0)
	v_dot4c_i32_i8 v225, v25, v21
	v_dot4c_i32_i8 v224, v27, v21
	v_dot4c_i32_i8 v223, v29, v21
	v_dot4c_i32_i8 v222, v234, v21
	v_dot4c_i32_i8 v225, v26, v22
	v_dot4c_i32_i8 v224, v28, v22
	v_dot4c_i32_i8 v223, v30, v22
	v_dot4c_i32_i8 v222, v235, v22
	v_dot4c_i32_i8 v225, v159, v23
	v_dot4c_i32_i8 v224, v236, v23
	;; [unrolled: 18-line block ×6, first 2 shown]
	v_dot4c_i32_i8 v36, v238, v23
	v_dot4c_i32_i8 v35, v240, v23
	;; [unrolled: 1-line block ×6, first 2 shown]
	ds_read_b128 v[21:24], v207 offset:33328
	s_waitcnt lgkmcnt(0)
	v_dot4c_i32_i8 v31, v25, v21
	v_dot4c_i32_i8 v32, v27, v21
	;; [unrolled: 1-line block ×4, first 2 shown]
	v_lshrrev_b32_e32 v21, 1, v157
	v_dot4c_i32_i8 v31, v26, v22
	v_dot4c_i32_i8 v32, v28, v22
	;; [unrolled: 1-line block ×12, first 2 shown]
	v_add3_u32 v24, s1, v143, v144
	ds_read_u16 v22, v24
	s_waitcnt lgkmcnt(0)
	v_and_b32_sdwa v25, v139, v22 dst_sel:DWORD dst_unused:UNUSED_PAD src0_sel:DWORD src1_sel:BYTE_1
	v_and_b32_e32 v26, 0xff, v22
	v_mul_lo_u32 v22, v233, v25
	v_mul_lo_u32 v23, v156, v26
	v_cvt_f32_i32_e32 v27, v22
	v_cvt_f32_i32_e32 v28, v23
	ds_read_b64 v[22:23], v21 offset:43584
	s_waitcnt lgkmcnt(0)
	v_fma_mix_f32 v21, v22, v28, 0 op_sel_hi:[1,0,0]
	v_fma_mix_f32 v21, v23, v27, v21 op_sel_hi:[1,0,0]
	v_add3_u32 v27, s1, v145, v140
	ds_read_u16 v28, v27
	s_waitcnt lgkmcnt(0)
	v_and_b32_e32 v29, 0xff, v28
	v_and_b32_sdwa v28, v139, v28 dst_sel:DWORD dst_unused:UNUSED_PAD src0_sel:DWORD src1_sel:BYTE_1
	v_mul_lo_u32 v30, v158, v29
	v_mul_lo_u32 v156, v232, v28
	v_cvt_f32_i32_e32 v30, v30
	v_cvt_f32_i32_e32 v156, v156
	v_fma_mix_f32 v30, v22, v30, 0 op_sel_hi:[1,0,0]
	v_fma_mix_f32 v30, v23, v156, v30 op_sel_hi:[1,0,0]
	v_add3_u32 v156, s1, v146, v141
	ds_read_u16 v157, v156
	s_waitcnt lgkmcnt(0)
	v_and_b32_e32 v158, 0xff, v157
	v_and_b32_sdwa v157, v139, v157 dst_sel:DWORD dst_unused:UNUSED_PAD src0_sel:DWORD src1_sel:BYTE_1
	v_mul_lo_u32 v159, v161, v158
	v_mul_lo_u32 v160, v231, v157
	;; [unrolled: 1-line block ×3, first 2 shown]
	v_cvt_f32_i32_e32 v159, v159
	v_cvt_f32_i32_e32 v160, v160
	;; [unrolled: 1-line block ×3, first 2 shown]
	v_fma_mix_f32 v159, v22, v159, 0 op_sel_hi:[1,0,0]
	v_fma_mix_f32 v159, v23, v160, v159 op_sel_hi:[1,0,0]
	v_add3_u32 v160, s1, v147, v142
	s_add_i32 s1, s0, 8
	s_cmp_lt_u32 s0, 24
	s_mov_b32 s0, s1
	ds_read_u16 v161, v160
	ds_read_u16 v24, v24 offset:8
	ds_read_u16 v27, v27 offset:8
	;; [unrolled: 1-line block ×4, first 2 shown]
	s_waitcnt lgkmcnt(2)
	v_cvt_f32_ubyte0_e32 v167, v27
	v_and_b32_e32 v162, 0xff, v161
	v_and_b32_sdwa v161, v139, v161 dst_sel:DWORD dst_unused:UNUSED_PAD src0_sel:DWORD src1_sel:BYTE_1
	s_waitcnt lgkmcnt(1)
	v_cvt_f32_ubyte0_e32 v170, v156
	s_waitcnt lgkmcnt(0)
	v_cvt_f32_ubyte0_e32 v177, v160
	v_cvt_f32_ubyte1_e32 v27, v27
	v_mul_lo_u32 v163, v163, v162
	v_mul_lo_u32 v164, v230, v161
	v_cvt_f32_ubyte1_e32 v156, v156
	v_cvt_f32_ubyte1_e32 v160, v160
	v_fma_mix_f32 v189, v22, v167, 0 op_sel:[1,0,0] op_sel_hi:[1,0,0]
	v_fma_mix_f32 v195, v22, v170, 0 op_sel:[1,0,0] op_sel_hi:[1,0,0]
	v_mul_lo_u32 v35, v35, v161
	v_mul_lo_u32 v34, v34, v161
	v_cvt_f32_i32_e32 v163, v163
	v_cvt_f32_i32_e32 v164, v164
	v_fma_mix_f32 v189, v23, v27, v189 op_sel:[1,0,0] op_sel_hi:[1,0,0]
	v_fma_mix_f32 v195, v23, v156, v195 op_sel:[1,0,0] op_sel_hi:[1,0,0]
	v_fma_mix_f32 v163, v22, v163, 0 op_sel_hi:[1,0,0]
	v_cvt_f32_i32_e32 v35, v35
	v_fma_mix_f32 v163, v23, v164, v163 op_sel_hi:[1,0,0]
	v_cvt_f32_ubyte0_e32 v164, v24
	v_cvt_f32_ubyte1_e32 v24, v24
	v_fma_mix_f32 v183, v22, v164, 0 op_sel:[1,0,0] op_sel_hi:[1,0,0]
	v_fma_mix_f32 v22, v22, v177, 0 op_sel:[1,0,0] op_sel_hi:[1,0,0]
	v_fma_mix_f32 v183, v23, v24, v183 op_sel:[1,0,0] op_sel_hi:[1,0,0]
	v_fma_mix_f32 v205, v23, v160, v22 op_sel:[1,0,0] op_sel_hi:[1,0,0]
	v_mul_lo_u32 v23, v165, v26
	v_lshrrev_b32_e32 v22, 1, v166
	v_mul_lo_u32 v165, v229, v25
	v_cvt_f32_i32_e32 v166, v23
	ds_read_b64 v[22:23], v22 offset:43584
	v_cvt_f32_i32_e32 v165, v165
	s_waitcnt lgkmcnt(0)
	v_fma_mix_f32 v166, v166, v22, 0 op_sel_hi:[0,1,0]
	v_fma_mix_f32 v207, v167, v22, 0 op_sel:[0,1,0] op_sel_hi:[0,1,0]
	v_fma_mix_f32 v165, v165, v23, v166 op_sel_hi:[0,1,0]
	v_mul_lo_u32 v166, v168, v29
	v_mul_lo_u32 v168, v228, v28
	v_fma_mix_f32 v207, v27, v23, v207 op_sel:[0,1,0] op_sel_hi:[0,1,0]
	v_cvt_f32_i32_e32 v166, v166
	v_cvt_f32_i32_e32 v168, v168
	v_fma_mix_f32 v166, v166, v22, 0 op_sel_hi:[0,1,0]
	v_fma_mix_f32 v166, v168, v23, v166 op_sel_hi:[0,1,0]
	v_mul_lo_u32 v168, v169, v158
	v_mul_lo_u32 v169, v227, v157
	v_cvt_f32_i32_e32 v168, v168
	v_cvt_f32_i32_e32 v169, v169
	v_fma_mix_f32 v168, v168, v22, 0 op_sel_hi:[0,1,0]
	v_fma_mix_f32 v168, v169, v23, v168 op_sel_hi:[0,1,0]
	v_mul_lo_u32 v169, v171, v162
	v_mul_lo_u32 v171, v226, v161
	v_fma_mix_f32 v226, v170, v22, 0 op_sel:[0,1,0] op_sel_hi:[0,1,0]
	v_fma_mix_f32 v226, v156, v23, v226 op_sel:[0,1,0] op_sel_hi:[0,1,0]
	v_cvt_f32_i32_e32 v169, v169
	v_cvt_f32_i32_e32 v171, v171
	v_fma_mix_f32 v169, v169, v22, 0 op_sel_hi:[0,1,0]
	v_fma_mix_f32 v169, v171, v23, v169 op_sel_hi:[0,1,0]
	v_fma_mix_f32 v171, v164, v22, 0 op_sel:[0,1,0] op_sel_hi:[0,1,0]
	v_fma_mix_f32 v22, v177, v22, 0 op_sel:[0,1,0] op_sel_hi:[0,1,0]
	v_fma_mix_f32 v171, v24, v23, v171 op_sel:[0,1,0] op_sel_hi:[0,1,0]
	v_fma_mix_f32 v227, v160, v23, v22 op_sel:[0,1,0] op_sel_hi:[0,1,0]
	v_mul_lo_u32 v23, v172, v26
	v_lshrrev_b32_e32 v22, 1, v173
	v_mul_lo_u32 v172, v225, v25
	v_cvt_f32_i32_e32 v173, v23
	ds_read_b64 v[22:23], v22 offset:43584
	v_cvt_f32_i32_e32 v172, v172
	s_waitcnt lgkmcnt(0)
	v_fma_mix_f32 v173, v173, v22, 0 op_sel_hi:[0,1,0]
	v_fma_mix_f32 v172, v172, v23, v173 op_sel_hi:[0,1,0]
	v_mul_lo_u32 v173, v174, v29
	v_mul_lo_u32 v174, v224, v28
	v_cvt_f32_i32_e32 v173, v173
	v_cvt_f32_i32_e32 v174, v174
	v_fma_mix_f32 v173, v173, v22, 0 op_sel_hi:[0,1,0]
	v_fma_mix_f32 v173, v174, v23, v173 op_sel_hi:[0,1,0]
	v_mul_lo_u32 v174, v175, v158
	v_mul_lo_u32 v175, v223, v157
	v_fma_mix_f32 v223, v170, v22, 0 op_sel:[0,1,0] op_sel_hi:[0,1,0]
	v_fma_mix_f32 v223, v156, v23, v223 op_sel:[0,1,0] op_sel_hi:[0,1,0]
	v_cvt_f32_i32_e32 v174, v174
	v_cvt_f32_i32_e32 v175, v175
	v_fma_mix_f32 v174, v174, v22, 0 op_sel_hi:[0,1,0]
	v_fma_mix_f32 v174, v175, v23, v174 op_sel_hi:[0,1,0]
	v_mul_lo_u32 v175, v176, v162
	v_mul_lo_u32 v176, v222, v161
	v_fma_mix_f32 v222, v167, v22, 0 op_sel:[0,1,0] op_sel_hi:[0,1,0]
	v_fma_mix_f32 v222, v27, v23, v222 op_sel:[0,1,0] op_sel_hi:[0,1,0]
	v_cvt_f32_i32_e32 v175, v175
	v_cvt_f32_i32_e32 v176, v176
	v_fma_mix_f32 v175, v175, v22, 0 op_sel_hi:[0,1,0]
	v_fma_mix_f32 v175, v176, v23, v175 op_sel_hi:[0,1,0]
	v_fma_mix_f32 v176, v164, v22, 0 op_sel:[0,1,0] op_sel_hi:[0,1,0]
	v_fma_mix_f32 v22, v177, v22, 0 op_sel:[0,1,0] op_sel_hi:[0,1,0]
	v_fma_mix_f32 v176, v24, v23, v176 op_sel:[0,1,0] op_sel_hi:[0,1,0]
	v_fma_mix_f32 v224, v160, v23, v22 op_sel:[0,1,0] op_sel_hi:[0,1,0]
	v_mul_lo_u32 v23, v178, v26
	v_lshrrev_b32_e32 v22, 1, v179
	v_mul_lo_u32 v178, v221, v25
	v_cvt_f32_i32_e32 v179, v23
	ds_read_b64 v[22:23], v22 offset:43584
	v_cvt_f32_i32_e32 v178, v178
	s_waitcnt lgkmcnt(0)
	v_fma_mix_f32 v179, v179, v22, 0 op_sel_hi:[0,1,0]
	v_fma_mix_f32 v178, v178, v23, v179 op_sel_hi:[0,1,0]
	v_mul_lo_u32 v179, v180, v29
	v_mul_lo_u32 v180, v220, v28
	v_cvt_f32_i32_e32 v179, v179
	v_cvt_f32_i32_e32 v180, v180
	v_fma_mix_f32 v179, v179, v22, 0 op_sel_hi:[0,1,0]
	v_fma_mix_f32 v179, v180, v23, v179 op_sel_hi:[0,1,0]
	v_mul_lo_u32 v180, v181, v158
	v_mul_lo_u32 v181, v219, v157
	v_fma_mix_f32 v219, v170, v22, 0 op_sel:[0,1,0] op_sel_hi:[0,1,0]
	v_fma_mix_f32 v219, v156, v23, v219 op_sel:[0,1,0] op_sel_hi:[0,1,0]
	;; [unrolled: 35-line block ×4, first 2 shown]
	v_cvt_f32_i32_e32 v192, v192
	v_cvt_f32_i32_e32 v193, v193
	v_fma_mix_f32 v192, v192, v22, 0 op_sel_hi:[0,1,0]
	v_fma_mix_f32 v192, v193, v23, v192 op_sel_hi:[0,1,0]
	v_mul_lo_u32 v193, v194, v162
	v_mul_lo_u32 v194, v210, v161
	v_fma_mix_f32 v210, v167, v22, 0 op_sel:[0,1,0] op_sel_hi:[0,1,0]
	v_mul_f32_e32 v161, v224, v154
	v_fma_mix_f32 v210, v27, v23, v210 op_sel:[0,1,0] op_sel_hi:[0,1,0]
	v_cvt_f32_i32_e32 v193, v193
	v_cvt_f32_i32_e32 v194, v194
	v_fma_f32 v161, v175, v155, -v161
	v_fma_mix_f32 v193, v193, v22, 0 op_sel_hi:[0,1,0]
	v_add_f32_e32 v70, v70, v161
	v_fma_mix_f32 v193, v194, v23, v193 op_sel_hi:[0,1,0]
	v_fma_mix_f32 v194, v164, v22, 0 op_sel:[0,1,0] op_sel_hi:[0,1,0]
	v_fma_mix_f32 v22, v177, v22, 0 op_sel:[0,1,0] op_sel_hi:[0,1,0]
	;; [unrolled: 1-line block ×4, first 2 shown]
	v_mul_lo_u32 v23, v196, v26
	v_lshrrev_b32_e32 v22, 1, v197
	v_mul_lo_u32 v196, v209, v25
	v_mul_lo_u32 v26, v198, v26
	;; [unrolled: 1-line block ×4, first 2 shown]
	v_cvt_f32_i32_e32 v197, v23
	ds_read_b64 v[22:23], v22 offset:43584
	v_cvt_f32_i32_e32 v196, v196
	v_cvt_f32_i32_e32 v26, v26
	;; [unrolled: 1-line block ×3, first 2 shown]
	s_waitcnt lgkmcnt(0)
	v_fma_mix_f32 v197, v197, v22, 0 op_sel_hi:[0,1,0]
	v_fma_mix_f32 v196, v196, v23, v197 op_sel_hi:[0,1,0]
	v_mul_lo_u32 v197, v199, v29
	v_mul_lo_u32 v199, v208, v28
	;; [unrolled: 1-line block ×6, first 2 shown]
	v_mul_f32_e32 v157, v176, v149
	v_cvt_f32_i32_e32 v197, v197
	v_cvt_f32_i32_e32 v199, v199
	;; [unrolled: 1-line block ×3, first 2 shown]
	v_fma_f32 v157, v172, v148, -v157
	v_fma_mix_f32 v197, v197, v22, 0 op_sel_hi:[0,1,0]
	v_mul_f32_e32 v172, v211, v152
	v_add_f32_e32 v78, v78, v157
	v_fma_mix_f32 v197, v199, v23, v197 op_sel_hi:[0,1,0]
	v_mul_lo_u32 v199, v201, v158
	v_fma_mix_f32 v201, v167, v22, 0 op_sel:[0,1,0] op_sel_hi:[0,1,0]
	v_mul_f32_e32 v158, v222, v150
	v_fma_f32 v172, v192, v153, -v172
	v_fma_mix_f32 v201, v27, v23, v201 op_sel:[0,1,0] op_sel_hi:[0,1,0]
	v_fma_f32 v158, v173, v151, -v158
	v_cvt_f32_i32_e32 v199, v199
	v_mul_f32_e32 v173, v212, v154
	v_add_f32_e32 v46, v46, v172
	v_mul_f32_e32 v175, v201, v150
	v_add_f32_e32 v74, v74, v158
	v_fma_mix_f32 v199, v199, v22, 0 op_sel_hi:[0,1,0]
	v_fma_f32 v173, v193, v155, -v173
	v_fma_f32 v175, v197, v151, -v175
	v_fma_mix_f32 v36, v36, v23, v199 op_sel_hi:[0,1,0]
	v_mul_lo_u32 v199, v203, v162
	v_fma_mix_f32 v203, v170, v22, 0 op_sel:[0,1,0] op_sel_hi:[0,1,0]
	v_mul_f32_e32 v162, v182, v149
	v_add_f32_e32 v45, v45, v173
	v_add_f32_e32 v43, v43, v175
	v_fma_mix_f32 v203, v156, v23, v203 op_sel:[0,1,0] op_sel_hi:[0,1,0]
	v_fma_f32 v162, v178, v148, -v162
	v_cvt_f32_i32_e32 v199, v199
	v_mul_f32_e32 v176, v203, v152
	v_add_f32_e32 v65, v65, v162
	v_fma_mix_f32 v199, v199, v22, 0 op_sel_hi:[0,1,0]
	v_fma_f32 v36, v36, v153, -v176
	v_fma_mix_f32 v35, v35, v23, v199 op_sel_hi:[0,1,0]
	v_fma_mix_f32 v199, v164, v22, 0 op_sel:[0,1,0] op_sel_hi:[0,1,0]
	v_fma_mix_f32 v22, v177, v22, 0 op_sel:[0,1,0] op_sel_hi:[0,1,0]
	v_add_f32_e32 v42, v42, v36
	v_fma_mix_f32 v199, v24, v23, v199 op_sel:[0,1,0] op_sel_hi:[0,1,0]
	v_fma_mix_f32 v208, v160, v23, v22 op_sel:[0,1,0] op_sel_hi:[0,1,0]
	v_lshrrev_b32_e32 v22, 1, v206
	v_mul_f32_e32 v176, v208, v154
	ds_read_b64 v[22:23], v22 offset:43584
	v_fma_f32 v35, v35, v155, -v176
	v_add_f32_e32 v41, v41, v35
	s_waitcnt lgkmcnt(0)
	v_fma_mix_f32 v26, v26, v22, 0 op_sel_hi:[0,1,0]
	v_fma_mix_f32 v164, v164, v22, 0 op_sel:[0,1,0] op_sel_hi:[0,1,0]
	v_fma_mix_f32 v25, v25, v23, v26 op_sel_hi:[0,1,0]
	v_cvt_f32_i32_e32 v26, v29
	v_fma_mix_f32 v24, v24, v23, v164 op_sel:[0,1,0] op_sel_hi:[0,1,0]
	v_fma_mix_f32 v164, v167, v22, 0 op_sel:[0,1,0] op_sel_hi:[0,1,0]
	v_cvt_f32_i32_e32 v29, v32
	v_mul_f32_e32 v32, v207, v150
	v_fma_mix_f32 v26, v26, v22, 0 op_sel_hi:[0,1,0]
	v_mul_f32_e32 v24, v24, v149
	v_fma_mix_f32 v27, v27, v23, v164 op_sel:[0,1,0] op_sel_hi:[0,1,0]
	v_fma_mix_f32 v164, v170, v22, 0 op_sel:[0,1,0] op_sel_hi:[0,1,0]
	v_fma_f32 v32, v166, v151, -v32
	v_fma_mix_f32 v26, v28, v23, v26 op_sel_hi:[0,1,0]
	v_cvt_f32_i32_e32 v28, v31
	v_cvt_f32_i32_e32 v31, v34
	v_fma_mix_f32 v156, v156, v23, v164 op_sel:[0,1,0] op_sel_hi:[0,1,0]
	v_fma_mix_f32 v164, v177, v22, 0 op_sel:[0,1,0] op_sel_hi:[0,1,0]
	v_mul_f32_e32 v34, v227, v154
	v_fma_mix_f32 v28, v28, v22, 0 op_sel_hi:[0,1,0]
	v_fma_f32 v24, v25, v148, -v24
	v_mul_f32_e32 v25, v27, v150
	v_fma_mix_f32 v160, v160, v23, v164 op_sel:[0,1,0] op_sel_hi:[0,1,0]
	v_fma_f32 v34, v169, v155, -v34
	v_fma_mix_f32 v28, v29, v23, v28 op_sel_hi:[0,1,0]
	v_cvt_f32_i32_e32 v29, v33
	v_mul_f32_e32 v33, v226, v152
	v_mul_f32_e32 v164, v219, v152
	;; [unrolled: 1-line block ×4, first 2 shown]
	v_fma_mix_f32 v22, v29, v22, 0 op_sel_hi:[0,1,0]
	v_mul_f32_e32 v29, v195, v152
	v_fma_f32 v33, v168, v153, -v33
	v_mul_f32_e32 v168, v215, v152
	v_mul_f32_e32 v169, v216, v154
	v_fma_mix_f32 v22, v31, v23, v22 op_sel_hi:[0,1,0]
	v_mul_f32_e32 v23, v183, v149
	v_fma_f32 v29, v159, v153, -v29
	v_mul_f32_e32 v31, v171, v149
	v_mul_f32_e32 v159, v223, v152
	v_mul_f32_e32 v170, v194, v149
	v_fma_f32 v21, v21, v148, -v23
	v_mul_f32_e32 v23, v189, v150
	v_fma_f32 v31, v165, v148, -v31
	v_fma_f32 v159, v174, v153, -v159
	v_mul_f32_e32 v165, v220, v154
	v_mul_f32_e32 v171, v210, v150
	v_fma_f32 v23, v30, v151, -v23
	v_mul_f32_e32 v30, v205, v154
	v_mul_f32_e32 v174, v199, v149
	;; [unrolled: 3-line block ×3, first 2 shown]
	v_fma_f32 v30, v163, v155, -v30
	v_mul_f32_e32 v163, v218, v150
	v_fma_f32 v164, v180, v153, -v164
	v_fma_f32 v165, v181, v155, -v165
	;; [unrolled: 1-line block ×12, first 2 shown]
	v_add_f32_e32 v96, v96, v21
	v_add_f32_e32 v93, v93, v23
	;; [unrolled: 1-line block ×23, first 2 shown]
	s_cbranch_scc1 .LBB134_8
; %bb.9:                                ;   in Loop: Header=BB134_5 Depth=1
	s_add_i32 s9, s9, 1
	s_cmp_eq_u32 s9, s4
	s_barrier
	buffer_gl0_inv
	s_cbranch_scc0 .LBB134_5
; %bb.10:
	v_mov_b32_e32 v2, v47
.LBB134_11:
	s_mov_b32 s0, exec_lo
	v_cmpx_gt_u32_e64 s10, v2
	s_cbranch_execz .LBB134_62
; %bb.12:
	v_add_nc_u32_e32 v0, s6, v0
	v_mul_lo_u32 v5, v2, s14
	v_cmp_gt_u32_e32 vcc_lo, s14, v0
	s_and_saveexec_b32 s1, vcc_lo
	s_cbranch_execz .LBB134_14
; %bb.13:
	v_add_nc_u32_e32 v2, v0, v5
	v_mov_b32_e32 v3, 0
	v_lshlrev_b64 v[2:3], 2, v[2:3]
	s_waitcnt lgkmcnt(0)
	v_add_co_u32 v2, s0, s12, v2
	v_add_co_ci_u32_e64 v3, null, s13, v3, s0
	global_store_dword v[2:3], v96, off
.LBB134_14:
	s_or_b32 exec_lo, exec_lo, s1
	v_add_nc_u32_e32 v2, 32, v0
	v_cmp_gt_u32_e64 s0, s14, v2
	s_and_saveexec_b32 s2, s0
	s_cbranch_execz .LBB134_16
; %bb.15:
	v_add_nc_u32_e32 v3, v2, v5
	v_mov_b32_e32 v4, 0
	v_lshlrev_b64 v[3:4], 2, v[3:4]
	s_waitcnt lgkmcnt(0)
	v_add_co_u32 v3, s1, s12, v3
	v_add_co_ci_u32_e64 v4, null, s13, v4, s1
	global_store_dword v[3:4], v93, off
.LBB134_16:
	s_or_b32 exec_lo, exec_lo, s2
	v_add_nc_u32_e32 v3, 64, v0
	v_cmp_gt_u32_e64 s1, s14, v3
	s_and_saveexec_b32 s3, s1
	;; [unrolled: 14-line block ×3, first 2 shown]
	s_cbranch_execz .LBB134_20
; %bb.19:
	v_add_nc_u32_e32 v5, v4, v5
	v_mov_b32_e32 v6, 0
	v_lshlrev_b64 v[5:6], 2, v[5:6]
	s_waitcnt lgkmcnt(0)
	v_add_co_u32 v5, s3, s12, v5
	v_add_co_ci_u32_e64 v6, null, s13, v6, s3
	global_store_dword v[5:6], v91, off
.LBB134_20:
	s_or_b32 exec_lo, exec_lo, s4
	v_add3_u32 v5, v1, s7, 8
	v_cmp_gt_u32_e64 s3, s10, v5
	s_and_b32 exec_lo, exec_lo, s3
	s_cbranch_execz .LBB134_62
; %bb.21:
	v_mul_lo_u32 v5, v5, s14
	s_and_saveexec_b32 s4, vcc_lo
	s_cbranch_execnz .LBB134_63
; %bb.22:
	s_or_b32 exec_lo, exec_lo, s4
	s_and_saveexec_b32 s4, s0
	s_cbranch_execnz .LBB134_64
.LBB134_23:
	s_or_b32 exec_lo, exec_lo, s4
	s_and_saveexec_b32 s4, s1
	s_cbranch_execnz .LBB134_65
.LBB134_24:
	s_or_b32 exec_lo, exec_lo, s4
	s_and_saveexec_b32 s4, s2
	s_cbranch_execz .LBB134_26
.LBB134_25:
	v_add_nc_u32_e32 v5, v5, v4
	v_mov_b32_e32 v6, 0
	v_lshlrev_b64 v[5:6], 2, v[5:6]
	s_waitcnt lgkmcnt(0)
	v_add_co_u32 v5, s3, s12, v5
	v_add_co_ci_u32_e64 v6, null, s13, v6, s3
	global_store_dword v[5:6], v84, off
.LBB134_26:
	s_or_b32 exec_lo, exec_lo, s4
	v_add3_u32 v5, v1, s7, 16
	v_cmp_gt_u32_e64 s3, s10, v5
	s_and_b32 exec_lo, exec_lo, s3
	s_cbranch_execz .LBB134_62
; %bb.27:
	v_mul_lo_u32 v5, v5, s14
	s_and_saveexec_b32 s4, vcc_lo
	s_cbranch_execnz .LBB134_66
; %bb.28:
	s_or_b32 exec_lo, exec_lo, s4
	s_and_saveexec_b32 s4, s0
	s_cbranch_execnz .LBB134_67
.LBB134_29:
	s_or_b32 exec_lo, exec_lo, s4
	s_and_saveexec_b32 s4, s1
	s_cbranch_execnz .LBB134_68
.LBB134_30:
	s_or_b32 exec_lo, exec_lo, s4
	s_and_saveexec_b32 s4, s2
	s_cbranch_execz .LBB134_32
.LBB134_31:
	v_add_nc_u32_e32 v5, v5, v4
	v_mov_b32_e32 v6, 0
	v_lshlrev_b64 v[5:6], 2, v[5:6]
	s_waitcnt lgkmcnt(0)
	v_add_co_u32 v5, s3, s12, v5
	v_add_co_ci_u32_e64 v6, null, s13, v6, s3
	global_store_dword v[5:6], v70, off
.LBB134_32:
	s_or_b32 exec_lo, exec_lo, s4
	v_add3_u32 v5, v1, s7, 24
	v_cmp_gt_u32_e64 s3, s10, v5
	s_and_b32 exec_lo, exec_lo, s3
	s_cbranch_execz .LBB134_62
; %bb.33:
	v_mul_lo_u32 v5, v5, s14
	s_and_saveexec_b32 s4, vcc_lo
	s_cbranch_execnz .LBB134_69
; %bb.34:
	s_or_b32 exec_lo, exec_lo, s4
	s_and_saveexec_b32 s4, s0
	s_cbranch_execnz .LBB134_70
.LBB134_35:
	s_or_b32 exec_lo, exec_lo, s4
	s_and_saveexec_b32 s4, s1
	s_cbranch_execnz .LBB134_71
.LBB134_36:
	s_or_b32 exec_lo, exec_lo, s4
	s_and_saveexec_b32 s4, s2
	s_cbranch_execz .LBB134_38
.LBB134_37:
	v_add_nc_u32_e32 v5, v5, v4
	v_mov_b32_e32 v6, 0
	v_lshlrev_b64 v[5:6], 2, v[5:6]
	s_waitcnt lgkmcnt(0)
	v_add_co_u32 v5, s3, s12, v5
	v_add_co_ci_u32_e64 v6, null, s13, v6, s3
	global_store_dword v[5:6], v56, off
.LBB134_38:
	s_or_b32 exec_lo, exec_lo, s4
	v_add3_u32 v5, v1, s7, 32
	v_cmp_gt_u32_e64 s3, s10, v5
	s_and_b32 exec_lo, exec_lo, s3
	s_cbranch_execz .LBB134_62
; %bb.39:
	v_mul_lo_u32 v5, v5, s14
	s_and_saveexec_b32 s4, vcc_lo
	s_cbranch_execnz .LBB134_72
; %bb.40:
	s_or_b32 exec_lo, exec_lo, s4
	s_and_saveexec_b32 s4, s0
	s_cbranch_execnz .LBB134_73
.LBB134_41:
	s_or_b32 exec_lo, exec_lo, s4
	s_and_saveexec_b32 s4, s1
	s_cbranch_execnz .LBB134_74
.LBB134_42:
	s_or_b32 exec_lo, exec_lo, s4
	s_and_saveexec_b32 s4, s2
	s_cbranch_execz .LBB134_44
.LBB134_43:
	v_add_nc_u32_e32 v5, v5, v4
	v_mov_b32_e32 v6, 0
	v_lshlrev_b64 v[5:6], 2, v[5:6]
	s_waitcnt lgkmcnt(0)
	v_add_co_u32 v5, s3, s12, v5
	v_add_co_ci_u32_e64 v6, null, s13, v6, s3
	global_store_dword v[5:6], v50, off
.LBB134_44:
	s_or_b32 exec_lo, exec_lo, s4
	v_add3_u32 v5, v1, s7, 40
	v_cmp_gt_u32_e64 s3, s10, v5
	s_and_b32 exec_lo, exec_lo, s3
	s_cbranch_execz .LBB134_62
; %bb.45:
	v_mul_lo_u32 v5, v5, s14
	s_and_saveexec_b32 s4, vcc_lo
	s_cbranch_execnz .LBB134_75
; %bb.46:
	s_or_b32 exec_lo, exec_lo, s4
	s_and_saveexec_b32 s4, s0
	s_cbranch_execnz .LBB134_76
.LBB134_47:
	s_or_b32 exec_lo, exec_lo, s4
	s_and_saveexec_b32 s4, s1
	s_cbranch_execnz .LBB134_77
.LBB134_48:
	s_or_b32 exec_lo, exec_lo, s4
	s_and_saveexec_b32 s4, s2
	s_cbranch_execz .LBB134_50
.LBB134_49:
	v_add_nc_u32_e32 v5, v5, v4
	v_mov_b32_e32 v6, 0
	v_lshlrev_b64 v[5:6], 2, v[5:6]
	s_waitcnt lgkmcnt(0)
	v_add_co_u32 v5, s3, s12, v5
	v_add_co_ci_u32_e64 v6, null, s13, v6, s3
	global_store_dword v[5:6], v45, off
.LBB134_50:
	s_or_b32 exec_lo, exec_lo, s4
	v_add3_u32 v5, v1, s7, 48
	v_cmp_gt_u32_e64 s3, s10, v5
	s_and_b32 exec_lo, exec_lo, s3
	s_cbranch_execz .LBB134_62
; %bb.51:
	v_mul_lo_u32 v5, v5, s14
	s_and_saveexec_b32 s4, vcc_lo
	s_cbranch_execnz .LBB134_78
; %bb.52:
	s_or_b32 exec_lo, exec_lo, s4
	s_and_saveexec_b32 s4, s0
	s_cbranch_execnz .LBB134_79
.LBB134_53:
	s_or_b32 exec_lo, exec_lo, s4
	s_and_saveexec_b32 s4, s1
	s_cbranch_execnz .LBB134_80
.LBB134_54:
	s_or_b32 exec_lo, exec_lo, s4
	s_and_saveexec_b32 s4, s2
	s_cbranch_execz .LBB134_56
.LBB134_55:
	v_add_nc_u32_e32 v5, v5, v4
	v_mov_b32_e32 v6, 0
	v_lshlrev_b64 v[5:6], 2, v[5:6]
	s_waitcnt lgkmcnt(0)
	v_add_co_u32 v5, s3, s12, v5
	v_add_co_ci_u32_e64 v6, null, s13, v6, s3
	global_store_dword v[5:6], v41, off
.LBB134_56:
	s_or_b32 exec_lo, exec_lo, s4
	v_add3_u32 v1, v1, s7, 56
	v_cmp_gt_u32_e64 s3, s10, v1
	s_and_b32 exec_lo, exec_lo, s3
	s_cbranch_execz .LBB134_62
; %bb.57:
	v_mul_lo_u32 v1, v1, s14
	s_and_saveexec_b32 s3, vcc_lo
	s_cbranch_execnz .LBB134_81
; %bb.58:
	s_or_b32 exec_lo, exec_lo, s3
	s_and_saveexec_b32 s3, s0
	s_cbranch_execnz .LBB134_82
.LBB134_59:
	s_or_b32 exec_lo, exec_lo, s3
	s_and_saveexec_b32 s0, s1
	s_cbranch_execnz .LBB134_83
.LBB134_60:
	s_or_b32 exec_lo, exec_lo, s0
	s_and_b32 exec_lo, exec_lo, s2
	s_cbranch_execz .LBB134_62
.LBB134_61:
	v_add_nc_u32_e32 v0, v1, v4
	v_mov_b32_e32 v1, 0
	v_lshlrev_b64 v[0:1], 2, v[0:1]
	s_waitcnt lgkmcnt(0)
	v_add_co_u32 v0, vcc_lo, s12, v0
	v_add_co_ci_u32_e64 v1, null, s13, v1, vcc_lo
	global_store_dword v[0:1], v37, off
.LBB134_62:
	s_endpgm
.LBB134_63:
	v_add_nc_u32_e32 v6, v5, v0
	v_mov_b32_e32 v7, 0
	v_lshlrev_b64 v[6:7], 2, v[6:7]
	s_waitcnt lgkmcnt(0)
	v_add_co_u32 v6, s3, s12, v6
	v_add_co_ci_u32_e64 v7, null, s13, v7, s3
	global_store_dword v[6:7], v90, off
	s_or_b32 exec_lo, exec_lo, s4
	s_and_saveexec_b32 s4, s0
	s_cbranch_execz .LBB134_23
.LBB134_64:
	v_add_nc_u32_e32 v6, v5, v2
	v_mov_b32_e32 v7, 0
	v_lshlrev_b64 v[6:7], 2, v[6:7]
	s_waitcnt lgkmcnt(0)
	v_add_co_u32 v6, s3, s12, v6
	v_add_co_ci_u32_e64 v7, null, s13, v7, s3
	global_store_dword v[6:7], v89, off
	s_or_b32 exec_lo, exec_lo, s4
	s_and_saveexec_b32 s4, s1
	s_cbranch_execz .LBB134_24
.LBB134_65:
	v_add_nc_u32_e32 v6, v5, v3
	v_mov_b32_e32 v7, 0
	v_lshlrev_b64 v[6:7], 2, v[6:7]
	s_waitcnt lgkmcnt(0)
	v_add_co_u32 v6, s3, s12, v6
	v_add_co_ci_u32_e64 v7, null, s13, v7, s3
	global_store_dword v[6:7], v85, off
	s_or_b32 exec_lo, exec_lo, s4
	s_and_saveexec_b32 s4, s2
	s_cbranch_execnz .LBB134_25
	s_branch .LBB134_26
.LBB134_66:
	v_add_nc_u32_e32 v6, v5, v0
	v_mov_b32_e32 v7, 0
	v_lshlrev_b64 v[6:7], 2, v[6:7]
	s_waitcnt lgkmcnt(0)
	v_add_co_u32 v6, s3, s12, v6
	v_add_co_ci_u32_e64 v7, null, s13, v7, s3
	global_store_dword v[6:7], v78, off
	s_or_b32 exec_lo, exec_lo, s4
	s_and_saveexec_b32 s4, s0
	s_cbranch_execz .LBB134_29
.LBB134_67:
	v_add_nc_u32_e32 v6, v5, v2
	v_mov_b32_e32 v7, 0
	v_lshlrev_b64 v[6:7], 2, v[6:7]
	s_waitcnt lgkmcnt(0)
	v_add_co_u32 v6, s3, s12, v6
	v_add_co_ci_u32_e64 v7, null, s13, v7, s3
	global_store_dword v[6:7], v74, off
	s_or_b32 exec_lo, exec_lo, s4
	s_and_saveexec_b32 s4, s1
	s_cbranch_execz .LBB134_30
.LBB134_68:
	v_add_nc_u32_e32 v6, v5, v3
	v_mov_b32_e32 v7, 0
	v_lshlrev_b64 v[6:7], 2, v[6:7]
	s_waitcnt lgkmcnt(0)
	v_add_co_u32 v6, s3, s12, v6
	v_add_co_ci_u32_e64 v7, null, s13, v7, s3
	global_store_dword v[6:7], v73, off
	s_or_b32 exec_lo, exec_lo, s4
	s_and_saveexec_b32 s4, s2
	s_cbranch_execnz .LBB134_31
	s_branch .LBB134_32
.LBB134_69:
	v_add_nc_u32_e32 v6, v5, v0
	v_mov_b32_e32 v7, 0
	v_lshlrev_b64 v[6:7], 2, v[6:7]
	s_waitcnt lgkmcnt(0)
	v_add_co_u32 v6, s3, s12, v6
	v_add_co_ci_u32_e64 v7, null, s13, v7, s3
	global_store_dword v[6:7], v65, off
	s_or_b32 exec_lo, exec_lo, s4
	s_and_saveexec_b32 s4, s0
	s_cbranch_execz .LBB134_35
.LBB134_70:
	v_add_nc_u32_e32 v6, v5, v2
	v_mov_b32_e32 v7, 0
	v_lshlrev_b64 v[6:7], 2, v[6:7]
	s_waitcnt lgkmcnt(0)
	v_add_co_u32 v6, s3, s12, v6
	v_add_co_ci_u32_e64 v7, null, s13, v7, s3
	global_store_dword v[6:7], v62, off
	s_or_b32 exec_lo, exec_lo, s4
	s_and_saveexec_b32 s4, s1
	s_cbranch_execz .LBB134_36
.LBB134_71:
	v_add_nc_u32_e32 v6, v5, v3
	v_mov_b32_e32 v7, 0
	v_lshlrev_b64 v[6:7], 2, v[6:7]
	s_waitcnt lgkmcnt(0)
	v_add_co_u32 v6, s3, s12, v6
	v_add_co_ci_u32_e64 v7, null, s13, v7, s3
	global_store_dword v[6:7], v57, off
	s_or_b32 exec_lo, exec_lo, s4
	s_and_saveexec_b32 s4, s2
	s_cbranch_execnz .LBB134_37
	s_branch .LBB134_38
.LBB134_72:
	v_add_nc_u32_e32 v6, v5, v0
	v_mov_b32_e32 v7, 0
	v_lshlrev_b64 v[6:7], 2, v[6:7]
	s_waitcnt lgkmcnt(0)
	v_add_co_u32 v6, s3, s12, v6
	v_add_co_ci_u32_e64 v7, null, s13, v7, s3
	global_store_dword v[6:7], v53, off
	s_or_b32 exec_lo, exec_lo, s4
	s_and_saveexec_b32 s4, s0
	s_cbranch_execz .LBB134_41
.LBB134_73:
	v_add_nc_u32_e32 v6, v5, v2
	v_mov_b32_e32 v7, 0
	v_lshlrev_b64 v[6:7], 2, v[6:7]
	s_waitcnt lgkmcnt(0)
	v_add_co_u32 v6, s3, s12, v6
	v_add_co_ci_u32_e64 v7, null, s13, v7, s3
	global_store_dword v[6:7], v52, off
	s_or_b32 exec_lo, exec_lo, s4
	s_and_saveexec_b32 s4, s1
	s_cbranch_execz .LBB134_42
.LBB134_74:
	v_add_nc_u32_e32 v6, v5, v3
	v_mov_b32_e32 v7, 0
	v_lshlrev_b64 v[6:7], 2, v[6:7]
	s_waitcnt lgkmcnt(0)
	v_add_co_u32 v6, s3, s12, v6
	v_add_co_ci_u32_e64 v7, null, s13, v7, s3
	global_store_dword v[6:7], v51, off
	s_or_b32 exec_lo, exec_lo, s4
	s_and_saveexec_b32 s4, s2
	s_cbranch_execnz .LBB134_43
	s_branch .LBB134_44
.LBB134_75:
	v_add_nc_u32_e32 v6, v5, v0
	v_mov_b32_e32 v7, 0
	v_lshlrev_b64 v[6:7], 2, v[6:7]
	s_waitcnt lgkmcnt(0)
	v_add_co_u32 v6, s3, s12, v6
	v_add_co_ci_u32_e64 v7, null, s13, v7, s3
	global_store_dword v[6:7], v49, off
	s_or_b32 exec_lo, exec_lo, s4
	s_and_saveexec_b32 s4, s0
	s_cbranch_execz .LBB134_47
.LBB134_76:
	v_add_nc_u32_e32 v6, v5, v2
	v_mov_b32_e32 v7, 0
	v_lshlrev_b64 v[6:7], 2, v[6:7]
	s_waitcnt lgkmcnt(0)
	v_add_co_u32 v6, s3, s12, v6
	v_add_co_ci_u32_e64 v7, null, s13, v7, s3
	global_store_dword v[6:7], v48, off
	s_or_b32 exec_lo, exec_lo, s4
	s_and_saveexec_b32 s4, s1
	s_cbranch_execz .LBB134_48
.LBB134_77:
	v_add_nc_u32_e32 v6, v5, v3
	v_mov_b32_e32 v7, 0
	v_lshlrev_b64 v[6:7], 2, v[6:7]
	s_waitcnt lgkmcnt(0)
	v_add_co_u32 v6, s3, s12, v6
	v_add_co_ci_u32_e64 v7, null, s13, v7, s3
	global_store_dword v[6:7], v46, off
	s_or_b32 exec_lo, exec_lo, s4
	s_and_saveexec_b32 s4, s2
	s_cbranch_execnz .LBB134_49
	s_branch .LBB134_50
.LBB134_78:
	v_add_nc_u32_e32 v6, v5, v0
	v_mov_b32_e32 v7, 0
	v_lshlrev_b64 v[6:7], 2, v[6:7]
	s_waitcnt lgkmcnt(0)
	v_add_co_u32 v6, s3, s12, v6
	v_add_co_ci_u32_e64 v7, null, s13, v7, s3
	global_store_dword v[6:7], v44, off
	s_or_b32 exec_lo, exec_lo, s4
	s_and_saveexec_b32 s4, s0
	s_cbranch_execz .LBB134_53
.LBB134_79:
	v_add_nc_u32_e32 v6, v5, v2
	v_mov_b32_e32 v7, 0
	v_lshlrev_b64 v[6:7], 2, v[6:7]
	s_waitcnt lgkmcnt(0)
	v_add_co_u32 v6, s3, s12, v6
	v_add_co_ci_u32_e64 v7, null, s13, v7, s3
	global_store_dword v[6:7], v43, off
	s_or_b32 exec_lo, exec_lo, s4
	s_and_saveexec_b32 s4, s1
	s_cbranch_execz .LBB134_54
.LBB134_80:
	v_add_nc_u32_e32 v6, v5, v3
	v_mov_b32_e32 v7, 0
	v_lshlrev_b64 v[6:7], 2, v[6:7]
	s_waitcnt lgkmcnt(0)
	v_add_co_u32 v6, s3, s12, v6
	v_add_co_ci_u32_e64 v7, null, s13, v7, s3
	global_store_dword v[6:7], v42, off
	s_or_b32 exec_lo, exec_lo, s4
	s_and_saveexec_b32 s4, s2
	s_cbranch_execnz .LBB134_55
	s_branch .LBB134_56
.LBB134_81:
	v_add_nc_u32_e32 v5, v1, v0
	v_mov_b32_e32 v6, 0
	v_lshlrev_b64 v[5:6], 2, v[5:6]
	s_waitcnt lgkmcnt(0)
	v_add_co_u32 v5, vcc_lo, s12, v5
	v_add_co_ci_u32_e64 v6, null, s13, v6, vcc_lo
	global_store_dword v[5:6], v40, off
	s_or_b32 exec_lo, exec_lo, s3
	s_and_saveexec_b32 s3, s0
	s_cbranch_execz .LBB134_59
.LBB134_82:
	v_add_nc_u32_e32 v5, v1, v2
	v_mov_b32_e32 v6, 0
	v_lshlrev_b64 v[5:6], 2, v[5:6]
	s_waitcnt lgkmcnt(0)
	v_add_co_u32 v5, vcc_lo, s12, v5
	v_add_co_ci_u32_e64 v6, null, s13, v6, vcc_lo
	global_store_dword v[5:6], v39, off
	s_or_b32 exec_lo, exec_lo, s3
	s_and_saveexec_b32 s0, s1
	s_cbranch_execz .LBB134_60
.LBB134_83:
	v_add_nc_u32_e32 v2, v1, v3
	v_mov_b32_e32 v3, 0
	v_lshlrev_b64 v[2:3], 2, v[2:3]
	s_waitcnt lgkmcnt(0)
	v_add_co_u32 v2, vcc_lo, s12, v2
	v_add_co_ci_u32_e64 v3, null, s13, v3, vcc_lo
	global_store_dword v[2:3], v38, off
	s_or_b32 exec_lo, exec_lo, s0
	s_and_b32 exec_lo, exec_lo, s2
	s_cbranch_execnz .LBB134_61
	s_branch .LBB134_62
	.section	.rodata,"a",@progbits
	.p2align	6, 0x0
	.amdhsa_kernel _ZL12mul_mat_q5_KIfLb1EEvPKvS1_PT_iiiii
		.amdhsa_group_segment_fixed_size 45136
		.amdhsa_private_segment_fixed_size 0
		.amdhsa_kernarg_size 44
		.amdhsa_user_sgpr_count 6
		.amdhsa_user_sgpr_private_segment_buffer 1
		.amdhsa_user_sgpr_dispatch_ptr 0
		.amdhsa_user_sgpr_queue_ptr 0
		.amdhsa_user_sgpr_kernarg_segment_ptr 1
		.amdhsa_user_sgpr_dispatch_id 0
		.amdhsa_user_sgpr_flat_scratch_init 0
		.amdhsa_user_sgpr_private_segment_size 0
		.amdhsa_wavefront_size32 1
		.amdhsa_uses_dynamic_stack 0
		.amdhsa_system_sgpr_private_segment_wavefront_offset 0
		.amdhsa_system_sgpr_workgroup_id_x 1
		.amdhsa_system_sgpr_workgroup_id_y 1
		.amdhsa_system_sgpr_workgroup_id_z 0
		.amdhsa_system_sgpr_workgroup_info 0
		.amdhsa_system_vgpr_workitem_id 1
		.amdhsa_next_free_vgpr 244
		.amdhsa_next_free_sgpr 17
		.amdhsa_reserve_vcc 1
		.amdhsa_reserve_flat_scratch 0
		.amdhsa_float_round_mode_32 0
		.amdhsa_float_round_mode_16_64 0
		.amdhsa_float_denorm_mode_32 3
		.amdhsa_float_denorm_mode_16_64 3
		.amdhsa_dx10_clamp 1
		.amdhsa_ieee_mode 1
		.amdhsa_fp16_overflow 0
		.amdhsa_workgroup_processor_mode 1
		.amdhsa_memory_ordered 1
		.amdhsa_forward_progress 1
		.amdhsa_shared_vgpr_count 0
		.amdhsa_exception_fp_ieee_invalid_op 0
		.amdhsa_exception_fp_denorm_src 0
		.amdhsa_exception_fp_ieee_div_zero 0
		.amdhsa_exception_fp_ieee_overflow 0
		.amdhsa_exception_fp_ieee_underflow 0
		.amdhsa_exception_fp_ieee_inexact 0
		.amdhsa_exception_int_div_zero 0
	.end_amdhsa_kernel
	.section	.text._ZL12mul_mat_q5_KIfLb1EEvPKvS1_PT_iiiii,"axG",@progbits,_ZL12mul_mat_q5_KIfLb1EEvPKvS1_PT_iiiii,comdat
.Lfunc_end134:
	.size	_ZL12mul_mat_q5_KIfLb1EEvPKvS1_PT_iiiii, .Lfunc_end134-_ZL12mul_mat_q5_KIfLb1EEvPKvS1_PT_iiiii
                                        ; -- End function
	.set _ZL12mul_mat_q5_KIfLb1EEvPKvS1_PT_iiiii.num_vgpr, 244
	.set _ZL12mul_mat_q5_KIfLb1EEvPKvS1_PT_iiiii.num_agpr, 0
	.set _ZL12mul_mat_q5_KIfLb1EEvPKvS1_PT_iiiii.numbered_sgpr, 17
	.set _ZL12mul_mat_q5_KIfLb1EEvPKvS1_PT_iiiii.num_named_barrier, 0
	.set _ZL12mul_mat_q5_KIfLb1EEvPKvS1_PT_iiiii.private_seg_size, 0
	.set _ZL12mul_mat_q5_KIfLb1EEvPKvS1_PT_iiiii.uses_vcc, 1
	.set _ZL12mul_mat_q5_KIfLb1EEvPKvS1_PT_iiiii.uses_flat_scratch, 0
	.set _ZL12mul_mat_q5_KIfLb1EEvPKvS1_PT_iiiii.has_dyn_sized_stack, 0
	.set _ZL12mul_mat_q5_KIfLb1EEvPKvS1_PT_iiiii.has_recursion, 0
	.set _ZL12mul_mat_q5_KIfLb1EEvPKvS1_PT_iiiii.has_indirect_call, 0
	.section	.AMDGPU.csdata,"",@progbits
; Kernel info:
; codeLenInByte = 19064
; TotalNumSgprs: 19
; NumVgprs: 244
; ScratchSize: 0
; MemoryBound: 0
; FloatMode: 240
; IeeeMode: 1
; LDSByteSize: 45136 bytes/workgroup (compile time only)
; SGPRBlocks: 0
; VGPRBlocks: 30
; NumSGPRsForWavesPerEU: 19
; NumVGPRsForWavesPerEU: 244
; Occupancy: 4
; WaveLimiterHint : 0
; COMPUTE_PGM_RSRC2:SCRATCH_EN: 0
; COMPUTE_PGM_RSRC2:USER_SGPR: 6
; COMPUTE_PGM_RSRC2:TRAP_HANDLER: 0
; COMPUTE_PGM_RSRC2:TGID_X_EN: 1
; COMPUTE_PGM_RSRC2:TGID_Y_EN: 1
; COMPUTE_PGM_RSRC2:TGID_Z_EN: 0
; COMPUTE_PGM_RSRC2:TIDIG_COMP_CNT: 1
	.section	.text._ZL12mul_mat_q6_KIfLb0EEvPKvS1_PT_iiiii,"axG",@progbits,_ZL12mul_mat_q6_KIfLb0EEvPKvS1_PT_iiiii,comdat
	.globl	_ZL12mul_mat_q6_KIfLb0EEvPKvS1_PT_iiiii ; -- Begin function _ZL12mul_mat_q6_KIfLb0EEvPKvS1_PT_iiiii
	.p2align	8
	.type	_ZL12mul_mat_q6_KIfLb0EEvPKvS1_PT_iiiii,@function
_ZL12mul_mat_q6_KIfLb0EEvPKvS1_PT_iiiii: ; @_ZL12mul_mat_q6_KIfLb0EEvPKvS1_PT_iiiii
; %bb.0:
	s_mov_b64 s[22:23], s[2:3]
	s_mov_b64 s[20:21], s[0:1]
	s_add_u32 s20, s20, s8
	s_clause 0x1
	s_load_dword s14, s[4:5], 0x18
	s_load_dwordx4 s[8:11], s[4:5], 0x20
	s_addc_u32 s21, s21, 0
	s_lshl_b32 s7, s7, 6
	v_add_nc_u32_e32 v35, s7, v1
	s_waitcnt lgkmcnt(0)
	s_cmpk_gt_i32 s14, 0xff
	s_cbranch_scc1 .LBB135_2
; %bb.1:
	v_add_nc_u32_e32 v34, s7, v1
	s_mov_b32 s0, 0
	s_branch .LBB135_3
.LBB135_2:
	s_mov_b32 s0, -1
                                        ; implicit-def: $vgpr34
.LBB135_3:
	s_load_dwordx2 s[12:13], s[4:5], 0x10
	v_mov_b32_e32 v9, 0
	v_mov_b32_e32 v8, 0
	;; [unrolled: 1-line block ×32, first 2 shown]
	s_andn2_b32 vcc_lo, exec_lo, s0
	s_lshl_b32 s6, s6, 7
	s_cbranch_vccnz .LBB135_11
; %bb.4:
	s_load_dwordx4 s[0:3], s[4:5], 0x0
	s_ashr_i32 s4, s14, 31
	s_ashr_i32 s5, s9, 31
	s_lshr_b32 s4, s4, 24
	s_lshr_b32 s5, s5, 27
	s_add_i32 s14, s14, s4
	s_add_i32 s5, s9, s5
	s_ashr_i32 s4, s14, 8
	s_ashr_i32 s11, s5, 5
	s_mul_i32 s9, s4, s6
	v_and_b32_e32 v14, 31, v0
	s_mul_i32 s5, s9, 0xd2
	s_mul_hi_i32 s9, s9, 0xd2
	v_lshrrev_b32_e32 v6, 1, v0
	v_and_b32_e32 v7, 7, v0
	v_lshlrev_b32_e32 v31, 1, v14
	v_cmp_gt_u32_e32 vcc_lo, 16, v14
	v_and_b32_e32 v8, 15, v0
	v_mul_u32_u24_e32 v9, 0x41, v1
	v_add_nc_u32_e32 v10, 8, v35
	s_waitcnt lgkmcnt(0)
	s_add_u32 s5, s0, s5
	s_addc_u32 s9, s1, s9
	s_lshl_b32 s0, s4, 3
	v_add_nc_u32_e32 v11, 16, v35
	v_mad_i32_i24 v3, s4, v1, s0
	v_add_nc_u32_e32 v12, 24, v35
	v_add_nc_u32_e32 v13, 32, v35
	v_add_nc_u32_e32 v16, 40, v35
	v_add_nc_u32_e32 v18, 48, v35
	buffer_store_dword v3, off, s[20:23], 0 offset:28 ; 4-byte Folded Spill
	v_add_nc_u32_e32 v3, s0, v3
	v_add_nc_u32_e32 v20, 56, v35
	v_lshlrev_b32_e32 v49, 5, v1
	v_lshlrev_b32_e32 v29, 3, v1
	v_lshrrev_b32_e32 v30, 2, v0
	v_add_nc_u32_e32 v5, s0, v3
	s_add_i32 s1, s8, -1
	buffer_store_dword v3, off, s[20:23], 0 offset:32 ; 4-byte Folded Spill
	v_cvt_f64_u32_e32 v[3:4], v35
	v_lshlrev_b32_e32 v54, 2, v14
	buffer_store_dword v5, off, s[20:23], 0 offset:36 ; 4-byte Folded Spill
	v_add_nc_u32_e32 v5, s0, v5
	v_and_or_b32 v32, v6, 8, v7
	v_lshlrev_b32_e32 v33, 2, v8
	v_lshlrev_b32_e32 v34, 2, v9
	v_cvt_f64_u32_e32 v[6:7], v10
	v_add_nc_u32_e32 v15, s0, v5
	v_cvt_f64_u32_e32 v[8:9], v11
	v_cvt_f64_u32_e32 v[10:11], v12
	;; [unrolled: 1-line block ×4, first 2 shown]
	v_add_nc_u32_e32 v17, s0, v15
	buffer_store_dword v15, off, s[20:23], 0 offset:44 ; 4-byte Folded Spill
	v_add_nc_u16 v15, v14, -16
	buffer_store_dword v35, off, s[20:23], 0 offset:128 ; 4-byte Folded Spill
	v_add_nc_u32_e32 v35, v49, v0
	buffer_store_dword v17, off, s[20:23], 0 offset:48 ; 4-byte Folded Spill
	v_add_nc_u32_e32 v17, s0, v17
	v_cndmask_b32_e32 v36, v15, v14, vcc_lo
	v_cvt_f64_i32_e32 v[14:15], s1
	v_lshlrev_b32_e32 v62, 2, v32
	v_lshrrev_b32_e32 v32, 3, v35
	v_add_nc_u32_e32 v19, s0, v17
	buffer_store_dword v17, off, s[20:23], 0 offset:52 ; 4-byte Folded Spill
	v_add_nc_u32_e32 v17, 0xe0, v31
	buffer_store_dword v5, off, s[20:23], 0 offset:40 ; 4-byte Folded Spill
	v_and_b32_e32 v5, 3, v0
	buffer_store_dword v19, off, s[20:23], 0 offset:56 ; 4-byte Folded Spill
	v_add_nc_u32_e32 v19, s0, v19
	v_cndmask_b32_e32 v37, v17, v31, vcc_lo
	v_cvt_f64_u32_e32 v[16:17], v16
	v_cmp_lt_u16_e32 vcc_lo, 7, v36
	v_lshlrev_b32_e32 v60, 2, v5
	v_add_nc_u32_e32 v38, s0, v19
	v_and_b32_e32 v37, 0xfe, v37
	buffer_store_dword v19, off, s[20:23], 0 offset:60 ; 4-byte Folded Spill
	v_cvt_f64_u32_e32 v[18:19], v18
	v_lshrrev_b32_e32 v39, 5, v0
	v_add_nc_u32_e32 v40, s0, v38
	buffer_store_dword v38, off, s[20:23], 0 offset:64 ; 4-byte Folded Spill
	v_add_nc_u32_e32 v38, v30, v29
	v_add_nc_u16 v29, v30, v29
	v_sub_nc_u32_e32 v30, v31, v37
	v_add_nc_u32_e32 v37, s0, v40
	v_and_b32_e32 v31, 0x7f, v35
	v_min_f64 v[3:4], v[3:4], v[14:15]
	v_min_f64 v[6:7], v[6:7], v[14:15]
	v_lshlrev_b32_e32 v30, 2, v30
	v_add_nc_u32_e32 v35, s0, v37
	v_mul_i32_i24_e32 v36, s4, v31
	v_lshlrev_b32_e32 v31, 2, v31
	v_min_f64 v[8:9], v[8:9], v[14:15]
	v_add3_u32 v66, v30, v33, v34
	v_add_nc_u32_e32 v33, s0, v35
	v_and_b32_e32 v30, 12, v32
	v_min_f64 v[10:11], v[10:11], v[14:15]
	v_min_f64 v[12:13], v[12:13], v[14:15]
	v_lshrrev_b16 v29, 1, v29
	v_add_nc_u32_e32 v32, s0, v33
	v_min_f64 v[16:17], v[16:17], v[14:15]
	v_min_f64 v[18:19], v[18:19], v[14:15]
	;; [unrolled: 1-line block ×3, first 2 shown]
	v_add3_u32 v20, v31, v30, 0xae40
	buffer_store_dword v32, off, s[20:23], 0 offset:88 ; 4-byte Folded Spill
	v_and_b32_e32 v32, 0x7f, v38
	buffer_store_dword v33, off, s[20:23], 0 offset:84 ; 4-byte Folded Spill
	v_and_b32_e32 v29, 60, v29
	buffer_store_dword v20, off, s[20:23], 0 offset:92 ; 4-byte Folded Spill
	v_cvt_i32_f64_e32 v3, v[3:4]
	v_lshl_or_b32 v33, v32, 4, v60
	v_mul_i32_i24_e32 v20, s4, v32
	v_xor_b32_e32 v34, 64, v32
	v_cvt_i32_f64_e32 v6, v[6:7]
	v_cvt_i32_f64_e32 v8, v[8:9]
	v_and_b32_e32 v7, 63, v38
	buffer_store_dword v20, off, s[20:23], 0 offset:96 ; 4-byte Folded Spill
	v_add3_u32 v20, v33, v29, 0xa200
	v_lshl_or_b32 v4, v34, 4, v60
	v_cvt_i32_f64_e32 v10, v[10:11]
	v_cvt_i32_f64_e32 v11, v[12:13]
	v_or_b32_e32 v12, s7, v7
	buffer_store_dword v20, off, s[20:23], 0 offset:100 ; 4-byte Folded Spill
	v_mul_i32_i24_e32 v20, s4, v34
	v_cvt_i32_f64_e32 v14, v[14:15]
	v_cvt_i32_f64_e32 v13, v[16:17]
	v_min_i32_e32 v12, s1, v12
	buffer_store_dword v40, off, s[20:23], 0 offset:68 ; 4-byte Folded Spill
	buffer_store_dword v20, off, s[20:23], 0 offset:104 ; 4-byte Folded Spill
	v_lshrrev_b32_e32 v20, 1, v34
	buffer_store_dword v37, off, s[20:23], 0 offset:72 ; 4-byte Folded Spill
	v_mul_lo_u32 v78, s11, v3
	buffer_store_dword v36, off, s[20:23], 0 offset:80 ; 4-byte Folded Spill
	buffer_store_dword v35, off, s[20:23], 0 offset:76 ; 4-byte Folded Spill
	v_and_b32_e32 v9, 60, v20
	v_mad_u64_u32 v[16:17], null, v12, s11, v[5:6]
	v_lshlrev_b32_e32 v74, 2, v0
	v_mov_b32_e32 v2, 0
	v_add3_u32 v4, v4, v9, 0xa200
	v_add_nc_u32_e32 v22, 8, v1
	v_add_nc_u32_e32 v23, 16, v1
	;; [unrolled: 1-line block ×4, first 2 shown]
	buffer_store_dword v4, off, s[20:23], 0 offset:108 ; 4-byte Folded Spill
	v_cvt_i32_f64_e32 v4, v[18:19]
	v_mul_lo_u32 v5, s11, v14
	buffer_store_dword v16, off, s[20:23], 0 offset:112 ; 4-byte Folded Spill
	buffer_store_dword v17, off, s[20:23], 0 offset:116 ; 4-byte Folded Spill
	v_lshlrev_b32_e32 v14, 2, v39
	v_add_nc_u32_e32 v26, 40, v1
	v_add_nc_u32_e32 v27, 48, v1
	;; [unrolled: 1-line block ×3, first 2 shown]
	v_lshl_or_b32 v7, v7, 4, v60
	v_add3_u32 v14, v74, v14, 0xae40
	buffer_store_dword v5, off, s[20:23], 0 offset:4 ; 4-byte Folded Spill
	v_add_nc_u32_e32 v5, 0x60, v0
	v_and_b32_e32 v9, 28, v74
	v_or_b32_e32 v15, 0x8200, v54
	buffer_store_dword v14, off, s[20:23], 0 offset:8 ; 4-byte Folded Spill
	v_add_nc_u32_e32 v76, 0xaa40, v7
	v_lshrrev_b32_e32 v88, 3, v5
	v_lshlrev_b32_e32 v7, 7, v1
	v_mul_lo_u32 v79, s11, v6
	v_lshlrev_b32_e32 v6, 7, v22
	v_mul_lo_u32 v80, s11, v8
	;; [unrolled: 2-line block ×3, first 2 shown]
	v_mul_lo_u32 v3, s11, v4
	v_add_nc_u32_e32 v4, 64, v0
	v_lshlrev_b32_e32 v10, 7, v24
	v_mul_lo_u32 v82, s11, v11
	v_lshlrev_b32_e32 v11, 7, v25
	v_mul_lo_u32 v84, s11, v13
	v_lshrrev_b32_e32 v87, 3, v4
	v_lshlrev_b32_e32 v12, 7, v26
	buffer_store_dword v3, off, s[20:23], 0 ; 4-byte Folded Spill
	v_add_nc_u32_e32 v3, 32, v0
	v_lshlrev_b32_e32 v13, 7, v27
	v_and_b32_e32 v14, 60, v87
	v_lshlrev_b32_e32 v16, 7, v28
	s_movk_i32 s0, 0x104
	v_lshrrev_b32_e32 v86, 3, v3
	v_lshlrev_b32_e32 v18, 2, v3
	v_and_b32_e32 v3, 60, v88
	buffer_store_dword v39, off, s[20:23], 0 offset:24 ; 4-byte Folded Spill
	s_movk_i32 s1, 0x2080
	v_and_b32_e32 v17, 60, v86
	s_movk_i32 s11, 0x4100
	v_add3_u32 v3, v74, v3, 0xae40
	v_mad_u32_u24 v103, v0, s0, 0x6180
	v_add_co_u32 v39, s0, s2, v9
	v_add3_u32 v17, v74, v17, 0xae40
	buffer_store_dword v3, off, s[20:23], 0 offset:20 ; 4-byte Folded Spill
	v_mov_b32_e32 v3, v2
	v_lshlrev_b32_e32 v93, 5, v22
	v_lshlrev_b32_e32 v94, 5, v23
	buffer_store_dword v17, off, s[20:23], 0 offset:12 ; 4-byte Folded Spill
	v_lshlrev_b32_e32 v17, 2, v4
	v_add3_u32 v4, v74, v14, 0xae40
	v_lshlrev_b32_e32 v14, 2, v5
	v_mov_b32_e32 v5, v2
	v_lshlrev_b32_e32 v95, 5, v24
	v_lshlrev_b32_e32 v96, 5, v25
	buffer_store_dword v4, off, s[20:23], 0 offset:16 ; 4-byte Folded Spill
	v_mov_b32_e32 v4, v2
	v_lshlrev_b32_e32 v97, 5, v26
	v_lshlrev_b32_e32 v98, 5, v27
	;; [unrolled: 1-line block ×3, first 2 shown]
	v_add_nc_u32_e32 v104, v15, v7
	v_add_nc_u32_e32 v105, v15, v6
	v_add_nc_u32_e32 v106, v15, v8
	v_add_nc_u32_e32 v107, v15, v10
	v_add_nc_u32_e32 v108, v15, v11
	v_add_nc_u32_e32 v109, v15, v12
	v_add_nc_u32_e32 v110, v15, v13
	v_add_nc_u32_e32 v111, v15, v16
	v_lshlrev_b32_e32 v112, 2, v18
	v_lshlrev_b32_e32 v113, 2, v17
	;; [unrolled: 1-line block ×3, first 2 shown]
	v_mov_b32_e32 v21, v5
	v_mov_b32_e32 v33, v5
	;; [unrolled: 1-line block ×7, first 2 shown]
	v_cndmask_b32_e64 v64, 0, 2, vcc_lo
	v_lshrrev_b32_e32 v77, 3, v0
	v_mul_u32_u24_e32 v100, 0x104, v0
	v_mad_u32_u24 v101, 0x104, v0, s1
	v_mad_u32_u24 v102, 0x104, v0, s11
	v_add_co_ci_u32_e64 v40, null, s3, 0, s0
	v_mov_b32_e32 v20, v4
	v_mov_b32_e32 v19, v3
	v_mov_b32_e32 v18, v2
	v_mov_b32_e32 v32, v4
	v_mov_b32_e32 v31, v3
	v_mov_b32_e32 v30, v2
	v_mov_b32_e32 v16, v4
	v_mov_b32_e32 v15, v3
	v_mov_b32_e32 v14, v2
	v_mov_b32_e32 v28, v4
	v_mov_b32_e32 v27, v3
	v_mov_b32_e32 v26, v2
	v_mov_b32_e32 v12, v4
	v_mov_b32_e32 v11, v3
	v_mov_b32_e32 v10, v2
	v_mov_b32_e32 v24, v4
	v_mov_b32_e32 v23, v3
	v_mov_b32_e32 v22, v2
	v_mov_b32_e32 v8, v4
	v_mov_b32_e32 v7, v3
	v_mov_b32_e32 v6, v2
	s_mov_b32 s11, 0
	buffer_store_dword v0, off, s[20:23], 0 offset:124 ; 4-byte Folded Spill
	buffer_store_dword v1, off, s[20:23], 0 offset:120 ; 4-byte Folded Spill
.LBB135_5:                              ; =>This Loop Header: Depth=1
                                        ;     Child Loop BB135_6 Depth 2
                                        ;     Child Loop BB135_8 Depth 2
	buffer_load_dword v0, off, s[20:23], 0 offset:24 ; 4-byte Folded Reload
	s_mul_i32 s0, s11, 0xd2
	s_mul_hi_u32 s1, s11, 0xd2
	s_add_u32 s0, s5, s0
	s_addc_u32 s1, s9, s1
	s_waitcnt vmcnt(1)
	v_mul_i32_i24_e32 v36, s4, v1
	s_mov_b32 s14, 0
	s_waitcnt vmcnt(0)
	v_mad_u64_u32 v[34:35], null, 0xd2, v0, s[0:1]
	buffer_load_dword v0, off, s[20:23], 0 offset:28 ; 4-byte Folded Reload
	v_mad_u64_u32 v[36:37], null, 0xd2, v36, v[34:35]
	v_add_co_u32 v115, vcc_lo, v36, v54
	v_add_co_ci_u32_e64 v116, null, 0, v37, vcc_lo
	v_add_co_u32 v36, vcc_lo, v36, v62
	v_add_co_ci_u32_e64 v37, null, 0, v37, vcc_lo
	s_waitcnt vmcnt(0)
	v_mad_u64_u32 v[41:42], null, 0xd2, v0, v[34:35]
	buffer_load_dword v0, off, s[20:23], 0 offset:32 ; 4-byte Folded Reload
	v_add_co_u32 v117, vcc_lo, v41, v54
	v_add_co_ci_u32_e64 v118, null, 0, v42, vcc_lo
	v_add_co_u32 v41, vcc_lo, v41, v62
	v_add_co_ci_u32_e64 v42, null, 0, v42, vcc_lo
	s_waitcnt vmcnt(0)
	v_mad_u64_u32 v[43:44], null, 0xd2, v0, v[34:35]
	buffer_load_dword v0, off, s[20:23], 0 offset:36 ; 4-byte Folded Reload
	;; [unrolled: 7-line block ×3, first 2 shown]
	v_add_co_u32 v130, vcc_lo, v121, v54
	v_add_co_ci_u32_e64 v131, null, 0, v122, vcc_lo
	v_add_co_u32 v132, vcc_lo, v121, v62
	v_add_co_ci_u32_e64 v133, null, 0, v122, vcc_lo
	s_waitcnt vmcnt(0)
	v_mad_u64_u32 v[128:129], null, 0xd2, v0, v[34:35]
	v_add_co_u32 v122, vcc_lo, v128, v54
	v_add_co_ci_u32_e64 v123, null, 0, v129, vcc_lo
	s_clause 0x8
	global_load_dword v126, v[115:116], off
	global_load_dword v127, v[36:37], off offset:128
	global_load_dword v124, v[117:118], off
	global_load_dword v125, v[41:42], off offset:128
	;; [unrolled: 2-line block ×4, first 2 shown]
	global_load_dword v122, v[122:123], off
	buffer_load_dword v0, off, s[20:23], 0 offset:44 ; 4-byte Folded Reload
	v_add_co_u32 v41, vcc_lo, v128, v62
	v_add_co_ci_u32_e64 v42, null, 0, v129, vcc_lo
	s_waitcnt vmcnt(8)
	v_ashrrev_i32_e32 v127, v64, v127
	s_waitcnt vmcnt(6)
	v_ashrrev_i32_e32 v125, v64, v125
	;; [unrolled: 2-line block ×4, first 2 shown]
	s_waitcnt vmcnt(0)
	v_mad_u64_u32 v[36:37], null, 0xd2, v0, v[34:35]
	buffer_load_dword v0, off, s[20:23], 0 offset:48 ; 4-byte Folded Reload
	v_add_co_u32 v115, vcc_lo, v36, v54
	v_add_co_ci_u32_e64 v116, null, 0, v37, vcc_lo
	v_add_co_u32 v36, vcc_lo, v36, v62
	v_add_co_ci_u32_e64 v37, null, 0, v37, vcc_lo
	s_waitcnt vmcnt(0)
	v_mad_u64_u32 v[43:44], null, 0xd2, v0, v[34:35]
	v_add_co_u32 v128, vcc_lo, v43, v54
	v_add_co_ci_u32_e64 v129, null, 0, v44, vcc_lo
	v_add_co_u32 v43, vcc_lo, v43, v62
	v_add_co_ci_u32_e64 v44, null, 0, v44, vcc_lo
	s_clause 0x4
	global_load_dword v45, v[41:42], off offset:128
	global_load_dword v46, v[115:116], off
	global_load_dword v47, v[36:37], off offset:128
	global_load_dword v48, v[128:129], off
	global_load_dword v69, v[43:44], off offset:128
	buffer_load_dword v0, off, s[20:23], 0 offset:52 ; 4-byte Folded Reload
	s_waitcnt vmcnt(5)
	v_ashrrev_i32_e32 v45, v64, v45
	s_waitcnt vmcnt(3)
	v_ashrrev_i32_e32 v47, v64, v47
	;; [unrolled: 2-line block ×3, first 2 shown]
	s_waitcnt vmcnt(0)
	v_mad_u64_u32 v[36:37], null, 0xd2, v0, v[34:35]
	buffer_load_dword v0, off, s[20:23], 0 offset:56 ; 4-byte Folded Reload
	v_add_co_u32 v43, vcc_lo, v36, v54
	v_add_co_ci_u32_e64 v44, null, 0, v37, vcc_lo
	v_add_co_u32 v36, vcc_lo, v36, v62
	v_add_co_ci_u32_e64 v37, null, 0, v37, vcc_lo
	s_waitcnt vmcnt(0)
	v_mad_u64_u32 v[41:42], null, 0xd2, v0, v[34:35]
	buffer_load_dword v0, off, s[20:23], 0 offset:60 ; 4-byte Folded Reload
	v_add_co_u32 v136, vcc_lo, v41, v54
	v_add_co_ci_u32_e64 v137, null, 0, v42, vcc_lo
	v_add_co_u32 v41, vcc_lo, v41, v62
	v_add_co_ci_u32_e64 v42, null, 0, v42, vcc_lo
	;; [unrolled: 7-line block ×3, first 2 shown]
	s_waitcnt vmcnt(0)
	v_mad_u64_u32 v[128:129], null, 0xd2, v0, v[34:35]
	buffer_load_dword v0, off, s[20:23], 0 offset:68 ; 4-byte Folded Reload
	s_clause 0x1
	global_load_dword v44, v[43:44], off
	global_load_dword v70, v[36:37], off offset:128
	v_add_co_u32 v140, vcc_lo, v128, v54
	v_add_co_ci_u32_e64 v141, null, 0, v129, vcc_lo
	v_add_co_u32 v128, vcc_lo, v128, v62
	v_add_co_ci_u32_e64 v129, null, 0, v129, vcc_lo
	s_waitcnt vmcnt(2)
	v_mad_u64_u32 v[130:131], null, 0xd2, v0, v[34:35]
	buffer_load_dword v0, off, s[20:23], 0 offset:72 ; 4-byte Folded Reload
	s_waitcnt vmcnt(1)
	v_ashrrev_i32_e32 v70, v64, v70
	v_add_co_u32 v142, vcc_lo, v130, v54
	v_add_co_ci_u32_e64 v143, null, 0, v131, vcc_lo
	v_add_co_u32 v130, vcc_lo, v130, v62
	v_add_co_ci_u32_e64 v131, null, 0, v131, vcc_lo
	s_waitcnt vmcnt(0)
	v_mad_u64_u32 v[36:37], null, 0xd2, v0, v[34:35]
	buffer_load_dword v0, off, s[20:23], 0 offset:76 ; 4-byte Folded Reload
	v_add_co_u32 v144, vcc_lo, v36, v54
	v_add_co_ci_u32_e64 v145, null, 0, v37, vcc_lo
	v_add_co_u32 v36, vcc_lo, v36, v62
	v_add_co_ci_u32_e64 v37, null, 0, v37, vcc_lo
	s_waitcnt vmcnt(0)
	v_mad_u64_u32 v[132:133], null, 0xd2, v0, v[34:35]
	buffer_load_dword v0, off, s[20:23], 0 offset:84 ; 4-byte Folded Reload
	v_add_co_u32 v146, vcc_lo, v132, v54
	v_add_co_ci_u32_e64 v147, null, 0, v133, vcc_lo
	v_add_co_u32 v132, vcc_lo, v132, v62
	v_add_co_ci_u32_e64 v133, null, 0, v133, vcc_lo
	s_waitcnt vmcnt(0)
	v_mad_u64_u32 v[134:135], null, 0xd2, v0, v[34:35]
	v_add_co_u32 v148, vcc_lo, v134, v54
	v_add_co_ci_u32_e64 v149, null, 0, v135, vcc_lo
	v_add_co_u32 v134, vcc_lo, v134, v62
	v_add_co_ci_u32_e64 v135, null, 0, v135, vcc_lo
	s_clause 0xd
	global_load_dword v71, v[136:137], off
	global_load_dword v72, v[41:42], off offset:128
	global_load_dword v137, v[138:139], off
	global_load_dword v138, v[115:116], off offset:128
	;; [unrolled: 2-line block ×7, first 2 shown]
	v_and_b32_e32 v129, 0xf0f0f0f, v126
	v_lshrrev_b32_e32 v126, 4, v126
	v_and_b32_e32 v130, 0xf0f0f0f, v124
	v_lshrrev_b32_e32 v124, 4, v124
	;; [unrolled: 2-line block ×4, first 2 shown]
	v_and_b32_e32 v126, 0xf0f0f0f, v126
	v_lshlrev_b32_e32 v136, 4, v127
	v_and_b32_e32 v133, 0xf0f0f0f, v122
	v_lshrrev_b32_e32 v122, 4, v122
	v_and_b32_e32 v124, 0xf0f0f0f, v124
	v_lshlrev_b32_e32 v139, 4, v125
	v_and_b32_e32 v134, 0xf0f0f0f, v46
	v_lshrrev_b32_e32 v46, 4, v46
	v_and_b32_e32 v120, 0xf0f0f0f, v120
	v_lshlrev_b32_e32 v140, 4, v121
	v_and_b32_e32 v118, 0xf0f0f0f, v118
	v_lshlrev_b32_e32 v141, 4, v119
	v_and_or_b32 v129, 0x30303030, v136, v129
	v_and_or_b32 v126, 0x30303030, v127, v126
	v_and_b32_e32 v122, 0xf0f0f0f, v122
	v_lshlrev_b32_e32 v142, 4, v45
	v_lshlrev_b32_e32 v143, 4, v47
	v_and_or_b32 v127, 0x30303030, v139, v130
	v_and_or_b32 v124, 0x30303030, v125, v124
	v_and_b32_e32 v135, 0xf0f0f0f, v48
	v_and_b32_e32 v46, 0xf0f0f0f, v46
	v_lshlrev_b32_e32 v144, 4, v69
	v_and_or_b32 v125, 0x30303030, v140, v131
	v_and_or_b32 v120, 0x30303030, v121, v120
	;; [unrolled: 1-line block ×4, first 2 shown]
	v_lshrrev_b32_e32 v130, 16, v129
	v_and_b32_e32 v131, 0x3f00, v129
	v_lshlrev_b16 v129, 8, v129
	v_lshrrev_b32_e32 v132, 16, v126
	v_and_or_b32 v119, 0x30303030, v142, v133
	v_and_or_b32 v45, 0x30303030, v45, v122
	;; [unrolled: 1-line block ×3, first 2 shown]
	v_and_b32_e32 v133, 0x3f00, v126
	v_lshlrev_b16 v126, 8, v126
	v_lshrrev_b32_e32 v134, 16, v127
	v_lshrrev_b32_e32 v136, 16, v124
	v_and_or_b32 v46, 0x30303030, v47, v46
	v_and_or_b32 v47, 0x30303030, v144, v135
	v_and_b32_e32 v135, 0x3f00, v127
	v_lshlrev_b16 v127, 8, v127
	v_lshrrev_b32_e32 v140, 16, v125
	v_lshrrev_b32_e32 v142, 16, v120
	v_and_b32_e32 v139, 0x3f00, v124
	v_lshlrev_b16 v124, 8, v124
	v_lshrrev_b32_e32 v144, 16, v121
	v_lshrrev_b32_e32 v146, 16, v118
	v_add_nc_u16 v129, 0xe000, v129
	v_and_b32_e32 v158, 0x3f00, v130
	v_lshlrev_b16 v130, 8, v130
	v_and_b32_e32 v159, 0x3f00, v132
	v_lshlrev_b16 v132, 8, v132
	v_add_nc_u16 v126, 0xe000, v126
	v_and_b32_e32 v160, 0x3f00, v134
	v_lshlrev_b16 v134, 8, v134
	v_and_b32_e32 v161, 0x3f00, v136
	v_lshlrev_b16 v136, 8, v136
	;; [unrolled: 5-line block ×4, first 2 shown]
	v_or_b32_sdwa v129, v131, v129 dst_sel:DWORD dst_unused:UNUSED_PAD src0_sel:DWORD src1_sel:BYTE_1
	v_add_nc_u16 v130, 0xe000, v130
	v_add_nc_u16 v131, 0xe000, v132
	v_or_b32_sdwa v126, v133, v126 dst_sel:DWORD dst_unused:UNUSED_PAD src0_sel:DWORD src1_sel:BYTE_1
	v_add_nc_u16 v132, 0xe000, v134
	v_add_nc_u16 v133, 0xe000, v136
	v_and_b32_e32 v141, 0x3f00, v125
	v_lshlrev_b16 v125, 8, v125
	v_and_b32_e32 v143, 0x3f00, v120
	v_lshlrev_b16 v120, 8, v120
	v_or_b32_sdwa v127, v135, v127 dst_sel:DWORD dst_unused:UNUSED_PAD src0_sel:DWORD src1_sel:BYTE_1
	v_add_nc_u16 v134, 0xe000, v140
	v_add_nc_u16 v135, 0xe000, v142
	v_and_b32_e32 v145, 0x3f00, v121
	v_lshlrev_b16 v121, 8, v121
	v_and_b32_e32 v147, 0x3f00, v118
	v_lshlrev_b16 v118, 8, v118
	v_or_b32_sdwa v124, v139, v124 dst_sel:DWORD dst_unused:UNUSED_PAD src0_sel:DWORD src1_sel:BYTE_1
	v_add_nc_u16 v136, 0xe000, v144
	v_add_nc_u16 v139, 0xe000, v146
	v_or_b32_sdwa v130, v158, v130 dst_sel:DWORD dst_unused:UNUSED_PAD src0_sel:DWORD src1_sel:BYTE_1
	v_or_b32_sdwa v131, v159, v131 dst_sel:DWORD dst_unused:UNUSED_PAD src0_sel:DWORD src1_sel:BYTE_1
	;; [unrolled: 1-line block ×4, first 2 shown]
	v_add_nc_u16 v125, 0xe000, v125
	v_add_nc_u16 v120, 0xe000, v120
	v_or_b32_sdwa v134, v162, v134 dst_sel:DWORD dst_unused:UNUSED_PAD src0_sel:DWORD src1_sel:BYTE_1
	v_or_b32_sdwa v135, v163, v135 dst_sel:DWORD dst_unused:UNUSED_PAD src0_sel:DWORD src1_sel:BYTE_1
	v_add_nc_u16 v121, 0xe000, v121
	v_add_nc_u16 v118, 0xe000, v118
	v_or_b32_sdwa v136, v164, v136 dst_sel:DWORD dst_unused:UNUSED_PAD src0_sel:DWORD src1_sel:BYTE_1
	v_or_b32_sdwa v139, v165, v139 dst_sel:DWORD dst_unused:UNUSED_PAD src0_sel:DWORD src1_sel:BYTE_1
	v_add_nc_u16 v130, 0xe000, v130
	v_add_nc_u16 v131, 0xe000, v131
	;; [unrolled: 1-line block ×4, first 2 shown]
	v_or_b32_sdwa v125, v141, v125 dst_sel:DWORD dst_unused:UNUSED_PAD src0_sel:DWORD src1_sel:BYTE_1
	v_or_b32_sdwa v120, v143, v120 dst_sel:DWORD dst_unused:UNUSED_PAD src0_sel:DWORD src1_sel:BYTE_1
	v_add_nc_u16 v134, 0xe000, v134
	v_add_nc_u16 v135, 0xe000, v135
	v_or_b32_sdwa v121, v145, v121 dst_sel:DWORD dst_unused:UNUSED_PAD src0_sel:DWORD src1_sel:BYTE_1
	v_or_b32_sdwa v118, v147, v118 dst_sel:DWORD dst_unused:UNUSED_PAD src0_sel:DWORD src1_sel:BYTE_1
	v_add_nc_u16 v136, 0xe000, v136
	v_add_nc_u16 v139, 0xe000, v139
	;; [unrolled: 1-line block ×4, first 2 shown]
	v_lshlrev_b32_e32 v130, 16, v130
	v_lshlrev_b32_e32 v131, 16, v131
	v_add_nc_u16 v127, 0xe000, v127
	v_add_nc_u16 v124, 0xe000, v124
	v_lshlrev_b32_e32 v132, 16, v132
	v_lshlrev_b32_e32 v133, 16, v133
	v_add_nc_u16 v125, 0xe000, v125
	v_add_nc_u16 v120, 0xe000, v120
	;; [unrolled: 4-line block ×3, first 2 shown]
	v_lshlrev_b32_e32 v136, 16, v136
	v_lshlrev_b32_e32 v139, 16, v139
	v_or_b32_sdwa v129, v129, v130 dst_sel:DWORD dst_unused:UNUSED_PAD src0_sel:WORD_0 src1_sel:DWORD
	v_or_b32_sdwa v126, v126, v131 dst_sel:DWORD dst_unused:UNUSED_PAD src0_sel:WORD_0 src1_sel:DWORD
	;; [unrolled: 1-line block ×4, first 2 shown]
	v_add_nc_u32_e32 v130, 0x800, v66
	v_or_b32_sdwa v125, v125, v134 dst_sel:DWORD dst_unused:UNUSED_PAD src0_sel:WORD_0 src1_sel:DWORD
	v_or_b32_sdwa v120, v120, v135 dst_sel:DWORD dst_unused:UNUSED_PAD src0_sel:WORD_0 src1_sel:DWORD
	v_add_nc_u32_e32 v131, 0x1000, v66
	v_or_b32_sdwa v121, v121, v136 dst_sel:DWORD dst_unused:UNUSED_PAD src0_sel:WORD_0 src1_sel:DWORD
	v_or_b32_sdwa v118, v118, v139 dst_sel:DWORD dst_unused:UNUSED_PAD src0_sel:WORD_0 src1_sel:DWORD
	v_add_nc_u32_e32 v132, 0x1800, v66
	ds_write2_b32 v66, v129, v126 offset1:16
	ds_write2_b32 v130, v127, v124 offset0:8 offset1:24
	ds_write2_b32 v131, v125, v120 offset0:16 offset1:32
	;; [unrolled: 1-line block ×3, first 2 shown]
	buffer_load_dword v0, off, s[20:23], 0 offset:88 ; 4-byte Folded Reload
	v_lshrrev_b32_e32 v148, 16, v119
	v_lshrrev_b32_e32 v150, 16, v45
	;; [unrolled: 1-line block ×4, first 2 shown]
	v_and_b32_e32 v149, 0x3f00, v119
	v_and_b32_e32 v166, 0x3f00, v148
	v_lshlrev_b16 v148, 8, v148
	v_and_b32_e32 v167, 0x3f00, v150
	v_lshlrev_b16 v150, 8, v150
	;; [unrolled: 2-line block ×4, first 2 shown]
	v_lshlrev_b16 v119, 8, v119
	v_and_b32_e32 v151, 0x3f00, v45
	v_lshlrev_b16 v45, 8, v45
	v_add_nc_u16 v140, 0xe000, v148
	v_add_nc_u16 v141, 0xe000, v150
	v_and_b32_e32 v153, 0x3f00, v122
	v_lshlrev_b16 v122, 8, v122
	v_and_b32_e32 v155, 0x3f00, v46
	v_lshlrev_b16 v46, 8, v46
	v_add_nc_u16 v142, 0xe000, v152
	v_add_nc_u16 v143, 0xe000, v154
	v_lshrrev_b32_e32 v156, 16, v47
	v_add_nc_u16 v119, 0xe000, v119
	v_add_nc_u16 v45, 0xe000, v45
	v_or_b32_sdwa v140, v166, v140 dst_sel:DWORD dst_unused:UNUSED_PAD src0_sel:DWORD src1_sel:BYTE_1
	v_or_b32_sdwa v141, v167, v141 dst_sel:DWORD dst_unused:UNUSED_PAD src0_sel:DWORD src1_sel:BYTE_1
	v_add_nc_u16 v122, 0xe000, v122
	v_add_nc_u16 v46, 0xe000, v46
	v_or_b32_sdwa v142, v168, v142 dst_sel:DWORD dst_unused:UNUSED_PAD src0_sel:DWORD src1_sel:BYTE_1
	v_or_b32_sdwa v143, v169, v143 dst_sel:DWORD dst_unused:UNUSED_PAD src0_sel:DWORD src1_sel:BYTE_1
	v_and_b32_e32 v170, 0x3f00, v156
	v_lshlrev_b16 v156, 8, v156
	v_or_b32_sdwa v119, v149, v119 dst_sel:DWORD dst_unused:UNUSED_PAD src0_sel:DWORD src1_sel:BYTE_1
	v_or_b32_sdwa v45, v151, v45 dst_sel:DWORD dst_unused:UNUSED_PAD src0_sel:DWORD src1_sel:BYTE_1
	v_add_nc_u16 v140, 0xe000, v140
	v_add_nc_u16 v141, 0xe000, v141
	v_or_b32_sdwa v122, v153, v122 dst_sel:DWORD dst_unused:UNUSED_PAD src0_sel:DWORD src1_sel:BYTE_1
	v_or_b32_sdwa v46, v155, v46 dst_sel:DWORD dst_unused:UNUSED_PAD src0_sel:DWORD src1_sel:BYTE_1
	v_add_nc_u16 v142, 0xe000, v142
	v_add_nc_u16 v143, 0xe000, v143
	;; [unrolled: 1-line block ×4, first 2 shown]
	v_lshlrev_b32_e32 v140, 16, v140
	v_lshlrev_b32_e32 v141, 16, v141
	v_add_nc_u16 v118, 0xe000, v156
	v_add_nc_u16 v122, 0xe000, v122
	;; [unrolled: 1-line block ×3, first 2 shown]
	v_lshlrev_b32_e32 v142, 16, v142
	v_lshlrev_b32_e32 v143, 16, v143
	v_or_b32_sdwa v119, v119, v140 dst_sel:DWORD dst_unused:UNUSED_PAD src0_sel:WORD_0 src1_sel:DWORD
	v_or_b32_sdwa v45, v45, v141 dst_sel:DWORD dst_unused:UNUSED_PAD src0_sel:WORD_0 src1_sel:DWORD
	v_or_b32_sdwa v118, v170, v118 dst_sel:DWORD dst_unused:UNUSED_PAD src0_sel:DWORD src1_sel:BYTE_1
	v_add_nc_u32_e32 v121, 0x2000, v66
	v_or_b32_sdwa v120, v122, v142 dst_sel:DWORD dst_unused:UNUSED_PAD src0_sel:WORD_0 src1_sel:DWORD
	v_or_b32_sdwa v46, v46, v143 dst_sel:DWORD dst_unused:UNUSED_PAD src0_sel:WORD_0 src1_sel:DWORD
	v_add_nc_u32_e32 v122, 0x2800, v66
	ds_write2_b32 v121, v119, v45 offset0:32 offset1:48
	ds_write2_b32 v122, v120, v46 offset0:40 offset1:56
	v_add_nc_u16 v46, 0xe000, v118
	v_lshrrev_b32_e32 v48, 4, v48
	v_and_b32_e32 v157, 0x3f00, v47
	v_lshlrev_b16 v47, 8, v47
	v_lshlrev_b32_e32 v46, 16, v46
	v_and_b32_e32 v48, 0xf0f0f0f, v48
	v_add_nc_u16 v47, 0xe000, v47
	v_and_or_b32 v48, 0x30303030, v69, v48
	v_or_b32_sdwa v47, v157, v47 dst_sel:DWORD dst_unused:UNUSED_PAD src0_sel:DWORD src1_sel:BYTE_1
	v_lshlrev_b16 v69, 8, v48
	v_add_nc_u16 v45, 0xe000, v47
	v_lshrrev_b32_e32 v47, 16, v48
	v_and_b32_e32 v48, 0x3f00, v48
	v_add_nc_u16 v69, 0xe000, v69
	v_or_b32_sdwa v45, v45, v46 dst_sel:DWORD dst_unused:UNUSED_PAD src0_sel:WORD_0 src1_sel:DWORD
	v_lshlrev_b16 v120, 8, v47
	v_or_b32_sdwa v48, v48, v69 dst_sel:DWORD dst_unused:UNUSED_PAD src0_sel:DWORD src1_sel:BYTE_1
	v_add_nc_u16 v48, 0xe000, v48
	s_waitcnt vmcnt(13)
	v_ashrrev_i32_e32 v72, v64, v72
	s_waitcnt vmcnt(3)
	v_ashrrev_i32_e32 v42, v64, v42
	;; [unrolled: 2-line block ×3, first 2 shown]
	s_waitcnt vmcnt(0)
	v_mad_u64_u32 v[34:35], null, 0xd2, v0, v[34:35]
	v_add_co_u32 v118, vcc_lo, v34, v54
	v_add_co_ci_u32_e64 v119, null, 0, v35, vcc_lo
	v_add_co_u32 v34, vcc_lo, v34, v62
	v_add_co_ci_u32_e64 v35, null, 0, v35, vcc_lo
	s_clause 0x1
	global_load_dword v139, v[118:119], off
	global_load_dword v140, v[34:35], off offset:128
	buffer_load_dword v0, off, s[20:23], 0 offset:96 ; 4-byte Folded Reload
	v_and_b32_e32 v34, 0x3f00, v47
	v_add_nc_u16 v35, 0xe000, v120
	v_and_b32_e32 v47, 0xf0f0f0f, v44
	v_lshlrev_b32_e32 v118, 4, v70
	v_lshrrev_b32_e32 v44, 4, v44
	v_or_b32_sdwa v69, v34, v35 dst_sel:DWORD dst_unused:UNUSED_PAD src0_sel:DWORD src1_sel:BYTE_1
	v_and_or_b32 v47, 0x30303030, v118, v47
	v_and_b32_e32 v44, 0xf0f0f0f, v44
	v_add_nc_u16 v69, 0xe000, v69
	v_lshrrev_b32_e32 v141, 16, v47
	v_and_or_b32 v44, 0x30303030, v70, v44
	v_lshlrev_b32_e32 v69, 16, v69
	v_lshrrev_b32_e32 v70, 16, v44
	v_or_b32_sdwa v48, v48, v69 dst_sel:DWORD dst_unused:UNUSED_PAD src0_sel:WORD_0 src1_sel:DWORD
	v_lshlrev_b16 v69, 8, v44
	v_and_b32_e32 v44, 0x3f00, v44
	v_add_nc_u16 v69, 0xe000, v69
	v_or_b32_sdwa v44, v44, v69 dst_sel:DWORD dst_unused:UNUSED_PAD src0_sel:DWORD src1_sel:BYTE_1
	v_add_nc_u16 v44, 0xe000, v44
	s_waitcnt vmcnt(0)
	v_mad_u64_u32 v[34:35], null, 0xd2, v0, s[0:1]
	buffer_load_dword v0, off, s[20:23], 0 offset:80 ; 4-byte Folded Reload
	v_add_co_u32 v34, vcc_lo, v34, v60
	v_add_co_ci_u32_e64 v35, null, 0, v35, vcc_lo
	s_waitcnt vmcnt(0)
	v_mad_u64_u32 v[118:119], null, 0xd2, v0, s[0:1]
	buffer_load_dword v0, off, s[20:23], 0 offset:104 ; 4-byte Folded Reload
	s_waitcnt vmcnt(0)
	v_mad_u64_u32 v[120:121], null, 0xd2, v0, s[0:1]
	s_lshl_b32 s0, s11, 3
	s_mov_b32 s1, -1
	v_add_nc_u32_e32 v131, s0, v77
	v_add_co_u32 v120, vcc_lo, v120, v60
	v_add_co_ci_u32_e64 v121, null, 0, v121, vcc_lo
	s_clause 0x2
	global_load_ushort v142, v[118:119], off offset:208
	global_load_dword v143, v[34:35], off offset:192
	global_load_dword v144, v[120:121], off offset:192
	s_clause 0x1
	buffer_load_dword v0, off, s[20:23], 0 offset:112
	buffer_load_dword v1, off, s[20:23], 0 offset:116
	v_add_nc_u32_e32 v122, v131, v78
	v_add_nc_u32_e32 v118, v131, v79
	;; [unrolled: 1-line block ×5, first 2 shown]
	v_mad_i64_i32 v[34:35], null, v122, 36, v[39:40]
	v_add_nc_u32_e32 v132, v131, v84
	v_mad_i64_i32 v[118:119], null, v118, 36, v[39:40]
	v_mad_i64_i32 v[121:122], null, v121, 36, v[39:40]
	;; [unrolled: 1-line block ×4, first 2 shown]
	s_waitcnt vmcnt(1)
	v_add_nc_u32_e32 v120, s0, v0
	buffer_load_dword v0, off, s[20:23], 0  ; 4-byte Folded Reload
	v_mad_u64_u32 v[129:130], null, v120, 36, s[2:3]
	s_waitcnt vmcnt(0)
	v_add_nc_u32_e32 v133, v131, v0
	buffer_load_dword v0, off, s[20:23], 0 offset:4 ; 4-byte Folded Reload
	v_mad_i64_i32 v[133:134], null, v133, 36, v[39:40]
	s_waitcnt vmcnt(0)
	v_add_nc_u32_e32 v135, v131, v0
	v_mad_i64_i32 v[131:132], null, v132, 36, v[39:40]
	v_add_nc_u32_e32 v0, 0x30c0, v66
	v_mad_i64_i32 v[135:136], null, v135, 36, v[39:40]
	s_clause 0x8
	global_load_dword v129, v[129:130], off
	global_load_dword v34, v[34:35], off offset:4
	global_load_dword v35, v[118:119], off offset:4
	;; [unrolled: 1-line block ×8, first 2 shown]
	v_lshlrev_b16 v126, 8, v47
	v_lshlrev_b16 v127, 8, v141
	v_and_b32_e32 v47, 0x3f00, v47
	v_and_b32_e32 v130, 0x3f00, v141
	ds_write2_b32 v0, v45, v48 offset1:16
	v_add_nc_u16 v126, 0xe000, v126
	v_add_nc_u16 v127, 0xe000, v127
	v_or_b32_sdwa v47, v47, v126 dst_sel:DWORD dst_unused:UNUSED_PAD src0_sel:DWORD src1_sel:BYTE_1
	v_or_b32_sdwa v46, v130, v127 dst_sel:DWORD dst_unused:UNUSED_PAD src0_sel:DWORD src1_sel:BYTE_1
	v_lshlrev_b16 v126, 8, v70
	v_and_b32_e32 v70, 0x3f00, v70
	v_and_b32_e32 v127, 0xf0f0f0f, v71
	v_add_nc_u16 v47, 0xe000, v47
	v_add_nc_u16 v46, 0xe000, v46
	;; [unrolled: 1-line block ×3, first 2 shown]
	v_lshlrev_b32_e32 v130, 4, v72
	v_lshlrev_b32_e32 v46, 16, v46
	v_or_b32_sdwa v45, v70, v126 dst_sel:DWORD dst_unused:UNUSED_PAD src0_sel:DWORD src1_sel:BYTE_1
	v_and_or_b32 v48, 0x30303030, v130, v127
	v_or_b32_sdwa v46, v47, v46 dst_sel:DWORD dst_unused:UNUSED_PAD src0_sel:WORD_0 src1_sel:DWORD
	v_lshrrev_b32_e32 v47, 4, v71
	v_add_nc_u16 v45, 0xe000, v45
	v_lshrrev_b32_e32 v69, 16, v48
	v_lshlrev_b16 v70, 8, v48
	v_and_b32_e32 v48, 0x3f00, v48
	v_and_b32_e32 v47, 0xf0f0f0f, v47
	v_lshlrev_b32_e32 v45, 16, v45
	v_lshlrev_b16 v71, 8, v69
	v_add_nc_u16 v70, 0xe000, v70
	v_and_b32_e32 v69, 0x3f00, v69
	v_and_or_b32 v47, 0x30303030, v72, v47
	v_or_b32_sdwa v44, v44, v45 dst_sel:DWORD dst_unused:UNUSED_PAD src0_sel:WORD_0 src1_sel:DWORD
	v_add_nc_u32_e32 v45, 0x800, v0
	v_add_nc_u16 v71, 0xe000, v71
	v_or_b32_sdwa v48, v48, v70 dst_sel:DWORD dst_unused:UNUSED_PAD src0_sel:DWORD src1_sel:BYTE_1
	v_lshrrev_b32_e32 v70, 16, v47
	v_lshlrev_b16 v72, 8, v47
	ds_write2_b32 v45, v46, v44 offset0:8 offset1:24
	v_ashrrev_i32_e32 v44, v64, v138
	v_or_b32_sdwa v45, v69, v71 dst_sel:DWORD dst_unused:UNUSED_PAD src0_sel:DWORD src1_sel:BYTE_1
	v_add_nc_u16 v46, 0xe000, v48
	v_lshlrev_b16 v48, 8, v70
	v_and_b32_e32 v69, 0xf0f0f0f, v137
	v_lshlrev_b32_e32 v71, 4, v44
	v_and_b32_e32 v70, 0x3f00, v70
	v_and_b32_e32 v47, 0x3f00, v47
	v_add_nc_u16 v48, 0xe000, v48
	v_add_nc_u16 v45, 0xe000, v45
	v_and_or_b32 v69, 0x30303030, v71, v69
	v_add_nc_u16 v71, 0xe000, v72
	v_lshrrev_b32_e32 v72, 4, v137
	v_or_b32_sdwa v48, v70, v48 dst_sel:DWORD dst_unused:UNUSED_PAD src0_sel:DWORD src1_sel:BYTE_1
	v_lshlrev_b32_e32 v45, 16, v45
	v_lshrrev_b32_e32 v70, 16, v69
	v_or_b32_sdwa v47, v47, v71 dst_sel:DWORD dst_unused:UNUSED_PAD src0_sel:DWORD src1_sel:BYTE_1
	v_lshlrev_b16 v71, 8, v69
	v_and_b32_e32 v72, 0xf0f0f0f, v72
	v_add_nc_u16 v48, 0xe000, v48
	v_lshlrev_b16 v126, 8, v70
	v_and_b32_e32 v69, 0x3f00, v69
	v_add_nc_u16 v71, 0xe000, v71
	v_and_b32_e32 v70, 0x3f00, v70
	v_and_or_b32 v44, 0x30303030, v44, v72
	v_add_nc_u16 v126, 0xe000, v126
	v_add_nc_u16 v47, 0xe000, v47
	v_lshlrev_b32_e32 v48, 16, v48
	v_or_b32_sdwa v69, v69, v71 dst_sel:DWORD dst_unused:UNUSED_PAD src0_sel:DWORD src1_sel:BYTE_1
	v_lshrrev_b32_e32 v71, 16, v44
	v_or_b32_sdwa v70, v70, v126 dst_sel:DWORD dst_unused:UNUSED_PAD src0_sel:DWORD src1_sel:BYTE_1
	v_or_b32_sdwa v45, v46, v45 dst_sel:DWORD dst_unused:UNUSED_PAD src0_sel:WORD_0 src1_sel:DWORD
	v_or_b32_sdwa v46, v47, v48 dst_sel:DWORD dst_unused:UNUSED_PAD src0_sel:WORD_0 src1_sel:DWORD
	v_add_nc_u16 v47, 0xe000, v69
	v_lshlrev_b16 v69, 8, v71
	v_add_nc_u16 v48, 0xe000, v70
	v_lshlrev_b16 v70, 8, v44
	v_and_b32_e32 v44, 0x3f00, v44
	v_ashrrev_i32_e32 v72, v64, v128
	v_and_b32_e32 v71, 0x3f00, v71
	v_add_nc_u16 v69, 0xe000, v69
	v_add_nc_u16 v70, 0xe000, v70
	v_and_b32_e32 v126, 0xf0f0f0f, v123
	v_lshlrev_b32_e32 v127, 4, v72
	v_lshlrev_b32_e32 v48, 16, v48
	v_or_b32_sdwa v69, v71, v69 dst_sel:DWORD dst_unused:UNUSED_PAD src0_sel:DWORD src1_sel:BYTE_1
	v_or_b32_sdwa v44, v44, v70 dst_sel:DWORD dst_unused:UNUSED_PAD src0_sel:DWORD src1_sel:BYTE_1
	v_lshrrev_b32_e32 v70, 4, v123
	v_and_or_b32 v71, 0x30303030, v127, v126
	v_or_b32_sdwa v47, v47, v48 dst_sel:DWORD dst_unused:UNUSED_PAD src0_sel:WORD_0 src1_sel:DWORD
	v_add_nc_u16 v48, 0xe000, v69
	v_add_nc_u16 v44, 0xe000, v44
	v_and_b32_e32 v69, 0xf0f0f0f, v70
	v_lshrrev_b32_e32 v70, 16, v71
	v_lshlrev_b16 v123, 8, v71
	v_lshlrev_b32_e32 v48, 16, v48
	v_add_nc_u32_e32 v126, 0x1800, v0
	v_and_or_b32 v69, 0x30303030, v72, v69
	v_lshlrev_b16 v72, 8, v70
	v_and_b32_e32 v71, 0x3f00, v71
	v_or_b32_sdwa v44, v44, v48 dst_sel:DWORD dst_unused:UNUSED_PAD src0_sel:WORD_0 src1_sel:DWORD
	v_and_b32_e32 v48, 0x3f00, v70
	v_add_nc_u32_e32 v70, 0x1000, v0
	v_lshrrev_b32_e32 v127, 16, v69
	v_add_nc_u16 v123, 0xe000, v123
	v_add_nc_u16 v72, 0xe000, v72
	ds_write2_b32 v70, v45, v46 offset0:16 offset1:32
	ds_write2_b32 v126, v47, v44 offset0:24 offset1:40
	v_lshlrev_b16 v44, 8, v127
	v_or_b32_sdwa v71, v71, v123 dst_sel:DWORD dst_unused:UNUSED_PAD src0_sel:DWORD src1_sel:BYTE_1
	v_or_b32_sdwa v45, v48, v72 dst_sel:DWORD dst_unused:UNUSED_PAD src0_sel:DWORD src1_sel:BYTE_1
	v_lshlrev_b16 v47, 8, v69
	v_and_b32_e32 v48, 0x3f00, v127
	v_add_nc_u16 v44, 0xe000, v44
	v_ashrrev_i32_e32 v70, v64, v117
	v_add_nc_u16 v46, 0xe000, v71
	v_add_nc_u16 v45, 0xe000, v45
	v_and_b32_e32 v69, 0x3f00, v69
	v_add_nc_u16 v47, 0xe000, v47
	v_or_b32_sdwa v44, v48, v44 dst_sel:DWORD dst_unused:UNUSED_PAD src0_sel:DWORD src1_sel:BYTE_1
	v_and_b32_e32 v48, 0xf0f0f0f, v116
	v_lshrrev_b32_e32 v71, 4, v116
	v_lshlrev_b32_e32 v72, 4, v70
	v_or_b32_sdwa v47, v69, v47 dst_sel:DWORD dst_unused:UNUSED_PAD src0_sel:DWORD src1_sel:BYTE_1
	v_add_nc_u16 v44, 0xe000, v44
	v_lshlrev_b32_e32 v45, 16, v45
	v_and_b32_e32 v69, 0xf0f0f0f, v71
	v_and_or_b32 v48, 0x30303030, v72, v48
	v_add_nc_u16 v47, 0xe000, v47
	v_lshlrev_b32_e32 v44, 16, v44
	v_or_b32_sdwa v45, v46, v45 dst_sel:DWORD dst_unused:UNUSED_PAD src0_sel:WORD_0 src1_sel:DWORD
	v_and_or_b32 v46, 0x30303030, v70, v69
	v_lshrrev_b32_e32 v69, 16, v48
	v_lshlrev_b16 v70, 8, v48
	v_or_b32_sdwa v44, v47, v44 dst_sel:DWORD dst_unused:UNUSED_PAD src0_sel:WORD_0 src1_sel:DWORD
	v_add_nc_u32_e32 v47, 0x5140, v66
	v_lshrrev_b32_e32 v71, 16, v46
	v_lshlrev_b16 v72, 8, v69
	v_and_b32_e32 v48, 0x3f00, v48
	v_add_nc_u16 v70, 0xe000, v70
	ds_write2_b32 v47, v45, v44 offset1:16
	v_and_b32_e32 v44, 0x3f00, v69
	v_lshlrev_b16 v45, 8, v71
	v_add_nc_u16 v47, 0xe000, v72
	v_or_b32_sdwa v48, v48, v70 dst_sel:DWORD dst_unused:UNUSED_PAD src0_sel:DWORD src1_sel:BYTE_1
	v_lshlrev_b16 v69, 8, v46
	v_and_b32_e32 v70, 0x3f00, v71
	v_add_nc_u16 v45, 0xe000, v45
	v_or_b32_sdwa v44, v44, v47 dst_sel:DWORD dst_unused:UNUSED_PAD src0_sel:DWORD src1_sel:BYTE_1
	v_ashrrev_i32_e32 v47, v64, v115
	v_and_b32_e32 v46, 0x3f00, v46
	v_add_nc_u16 v69, 0xe000, v69
	v_or_b32_sdwa v45, v70, v45 dst_sel:DWORD dst_unused:UNUSED_PAD src0_sel:DWORD src1_sel:BYTE_1
	v_and_b32_e32 v70, 0xf0f0f0f, v43
	v_lshlrev_b32_e32 v71, 4, v47
	v_add_nc_u16 v44, 0xe000, v44
	v_or_b32_sdwa v46, v46, v69 dst_sel:DWORD dst_unused:UNUSED_PAD src0_sel:DWORD src1_sel:BYTE_1
	v_add_nc_u16 v45, 0xe000, v45
	v_lshrrev_b32_e32 v43, 4, v43
	v_and_or_b32 v69, 0x30303030, v71, v70
	v_add_nc_u16 v48, 0xe000, v48
	v_lshlrev_b32_e32 v44, 16, v44
	v_add_nc_u16 v46, 0xe000, v46
	v_lshlrev_b32_e32 v45, 16, v45
	v_lshrrev_b32_e32 v70, 16, v69
	v_and_b32_e32 v43, 0xf0f0f0f, v43
	v_or_b32_sdwa v44, v48, v44 dst_sel:DWORD dst_unused:UNUSED_PAD src0_sel:WORD_0 src1_sel:DWORD
	v_lshlrev_b16 v48, 8, v69
	v_or_b32_sdwa v45, v46, v45 dst_sel:DWORD dst_unused:UNUSED_PAD src0_sel:WORD_0 src1_sel:DWORD
	v_lshlrev_b16 v46, 8, v70
	v_add_nc_u32_e32 v71, 0x5960, v66
	v_and_or_b32 v43, 0x30303030, v47, v43
	v_and_b32_e32 v69, 0x3f00, v69
	v_add_nc_u16 v47, 0xe000, v48
	v_and_b32_e32 v48, 0x3f00, v70
	v_add_nc_u16 v46, 0xe000, v46
	ds_write2_b32 v71, v44, v45 offset1:16
	v_lshrrev_b32_e32 v44, 16, v43
	v_or_b32_sdwa v45, v69, v47 dst_sel:DWORD dst_unused:UNUSED_PAD src0_sel:DWORD src1_sel:BYTE_1
	v_lshlrev_b16 v47, 8, v43
	v_or_b32_sdwa v46, v48, v46 dst_sel:DWORD dst_unused:UNUSED_PAD src0_sel:DWORD src1_sel:BYTE_1
	v_and_b32_e32 v69, 0xf0f0f0f, v41
	v_lshlrev_b16 v48, 8, v44
	v_lshlrev_b32_e32 v70, 4, v42
	v_and_b32_e32 v43, 0x3f00, v43
	v_add_nc_u16 v47, 0xe000, v47
	v_and_b32_e32 v44, 0x3f00, v44
	v_add_nc_u16 v48, 0xe000, v48
	v_and_or_b32 v69, 0x30303030, v70, v69
	v_lshrrev_b32_e32 v41, 4, v41
	v_or_b32_sdwa v43, v43, v47 dst_sel:DWORD dst_unused:UNUSED_PAD src0_sel:DWORD src1_sel:BYTE_1
	v_add_nc_u16 v46, 0xe000, v46
	v_or_b32_sdwa v44, v44, v48 dst_sel:DWORD dst_unused:UNUSED_PAD src0_sel:DWORD src1_sel:BYTE_1
	v_lshrrev_b32_e32 v47, 16, v69
	v_and_b32_e32 v41, 0xf0f0f0f, v41
	v_add_nc_u16 v43, 0xe000, v43
	v_lshlrev_b16 v70, 8, v69
	v_add_nc_u16 v44, 0xe000, v44
	v_lshlrev_b16 v48, 8, v47
	v_and_b32_e32 v47, 0x3f00, v47
	v_and_or_b32 v41, 0x30303030, v42, v41
	v_add_nc_u16 v45, 0xe000, v45
	v_lshlrev_b32_e32 v44, 16, v44
	v_add_nc_u16 v48, 0xe000, v48
	v_lshlrev_b32_e32 v46, 16, v46
	v_and_b32_e32 v69, 0x3f00, v69
	v_add_nc_u16 v70, 0xe000, v70
	v_or_b32_sdwa v43, v43, v44 dst_sel:DWORD dst_unused:UNUSED_PAD src0_sel:WORD_0 src1_sel:DWORD
	v_or_b32_sdwa v42, v47, v48 dst_sel:DWORD dst_unused:UNUSED_PAD src0_sel:DWORD src1_sel:BYTE_1
	v_lshrrev_b32_e32 v44, 16, v41
	v_or_b32_sdwa v45, v45, v46 dst_sel:DWORD dst_unused:UNUSED_PAD src0_sel:WORD_0 src1_sel:DWORD
	v_or_b32_sdwa v46, v69, v70 dst_sel:DWORD dst_unused:UNUSED_PAD src0_sel:DWORD src1_sel:BYTE_1
	v_and_b32_e32 v47, 0xf0f0f0f, v36
	v_add_nc_u16 v42, 0xe000, v42
	v_lshlrev_b32_e32 v48, 4, v37
	v_lshlrev_b16 v69, 8, v44
	v_add_nc_u16 v46, 0xe000, v46
	v_lshlrev_b16 v70, 8, v41
	v_lshlrev_b32_e32 v42, 16, v42
	v_and_b32_e32 v44, 0x3f00, v44
	v_and_or_b32 v47, 0x30303030, v48, v47
	v_add_nc_u16 v48, 0xe000, v69
	v_and_b32_e32 v41, 0x3f00, v41
	v_or_b32_sdwa v42, v46, v42 dst_sel:DWORD dst_unused:UNUSED_PAD src0_sel:WORD_0 src1_sel:DWORD
	v_add_nc_u16 v46, 0xe000, v70
	v_lshlrev_b16 v69, 8, v47
	v_or_b32_sdwa v44, v44, v48 dst_sel:DWORD dst_unused:UNUSED_PAD src0_sel:DWORD src1_sel:BYTE_1
	v_lshrrev_b32_e32 v48, 16, v47
	v_lshrrev_b32_e32 v36, 4, v36
	v_or_b32_sdwa v41, v41, v46 dst_sel:DWORD dst_unused:UNUSED_PAD src0_sel:DWORD src1_sel:BYTE_1
	v_and_b32_e32 v47, 0x3f00, v47
	v_add_nc_u16 v69, 0xe000, v69
	v_lshlrev_b16 v46, 8, v48
	v_and_b32_e32 v36, 0xf0f0f0f, v36
	v_and_b32_e32 v48, 0x3f00, v48
	v_add_nc_u16 v44, 0xe000, v44
	v_or_b32_sdwa v47, v47, v69 dst_sel:DWORD dst_unused:UNUSED_PAD src0_sel:DWORD src1_sel:BYTE_1
	v_add_nc_u16 v46, 0xe000, v46
	v_and_or_b32 v36, 0x30303030, v37, v36
	v_lshrrev_b32_e32 v70, 4, v139
	v_add_nc_u16 v37, 0xe000, v41
	v_lshlrev_b32_e32 v41, 16, v44
	v_or_b32_sdwa v46, v48, v46 dst_sel:DWORD dst_unused:UNUSED_PAD src0_sel:DWORD src1_sel:BYTE_1
	v_ashrrev_i32_e32 v48, v64, v140
	v_add_nc_u16 v44, 0xe000, v47
	v_lshrrev_b32_e32 v47, 16, v36
	v_lshlrev_b16 v69, 8, v36
	v_and_b32_e32 v71, 0xf0f0f0f, v139
	v_lshlrev_b32_e32 v72, 4, v48
	v_and_b32_e32 v70, 0xf0f0f0f, v70
	v_and_b32_e32 v36, 0x3f00, v36
	v_add_nc_u16 v69, 0xe000, v69
	v_lshlrev_b16 v115, 8, v47
	v_and_or_b32 v71, 0x30303030, v72, v71
	v_and_or_b32 v48, 0x30303030, v48, v70
	v_and_b32_e32 v47, 0x3f00, v47
	v_or_b32_sdwa v36, v36, v69 dst_sel:DWORD dst_unused:UNUSED_PAD src0_sel:DWORD src1_sel:BYTE_1
	v_add_nc_u16 v69, 0xe000, v115
	v_lshrrev_b32_e32 v70, 16, v71
	v_lshrrev_b32_e32 v72, 16, v48
	v_lshlrev_b16 v117, 8, v48
	v_and_b32_e32 v115, 0x3f00, v71
	v_or_b32_sdwa v47, v47, v69 dst_sel:DWORD dst_unused:UNUSED_PAD src0_sel:DWORD src1_sel:BYTE_1
	v_lshlrev_b16 v69, 8, v70
	v_lshlrev_b16 v116, 8, v72
	v_and_b32_e32 v70, 0x3f00, v70
	v_and_b32_e32 v72, 0x3f00, v72
	v_lshlrev_b16 v71, 8, v71
	v_add_nc_u16 v69, 0xe000, v69
	v_add_nc_u16 v116, 0xe000, v116
	v_and_b32_e32 v48, 0x3f00, v48
	v_add_nc_u16 v47, 0xe000, v47
	v_add_nc_u16 v71, 0xe000, v71
	v_or_b32_sdwa v69, v70, v69 dst_sel:DWORD dst_unused:UNUSED_PAD src0_sel:DWORD src1_sel:BYTE_1
	v_add_nc_u16 v70, 0xe000, v117
	v_or_b32_sdwa v72, v72, v116 dst_sel:DWORD dst_unused:UNUSED_PAD src0_sel:DWORD src1_sel:BYTE_1
	;; [unrolled: 2-line block ×4, first 2 shown]
	v_add_nc_u16 v70, 0xe000, v72
	v_add_nc_u16 v36, 0xe000, v36
	v_lshlrev_b32_e32 v47, 16, v47
	v_lshlrev_b32_e32 v46, 16, v46
	v_add_nc_u16 v48, 0xe000, v48
	v_lshlrev_b32_e32 v70, 16, v70
	v_add_nc_u16 v71, 0xe000, v71
	v_lshlrev_b32_e32 v69, 16, v69
	v_or_b32_sdwa v36, v36, v47 dst_sel:DWORD dst_unused:UNUSED_PAD src0_sel:WORD_0 src1_sel:DWORD
	v_add_nc_u32_e32 v47, 0x6180, v66
	v_or_b32_sdwa v37, v37, v41 dst_sel:DWORD dst_unused:UNUSED_PAD src0_sel:WORD_0 src1_sel:DWORD
	v_or_b32_sdwa v41, v44, v46 dst_sel:DWORD dst_unused:UNUSED_PAD src0_sel:WORD_0 src1_sel:DWORD
	;; [unrolled: 1-line block ×3, first 2 shown]
	v_add_nc_u32_e32 v48, 0x69a0, v66
	v_or_b32_sdwa v44, v71, v69 dst_sel:DWORD dst_unused:UNUSED_PAD src0_sel:WORD_0 src1_sel:DWORD
	v_add_nc_u32_e32 v69, 0x71c0, v66
	v_add_nc_u32_e32 v70, 0x79e0, v66
	ds_write2_b32 v47, v45, v43 offset1:16
	ds_write2_b32 v48, v42, v37 offset1:16
	;; [unrolled: 1-line block ×4, first 2 shown]
	buffer_load_dword v0, off, s[20:23], 0 offset:92 ; 4-byte Folded Reload
	v_cvt_f32_f16_e32 v71, v142
	s_waitcnt vmcnt(0)
	ds_write_b32 v0, v71
	buffer_load_dword v0, off, s[20:23], 0 offset:100 ; 4-byte Folded Reload
	s_waitcnt vmcnt(0)
	ds_write_b32 v0, v143
	buffer_load_dword v0, off, s[20:23], 0 offset:108 ; 4-byte Folded Reload
	s_waitcnt vmcnt(0)
	ds_write_b32 v0, v144
	ds_write_b32 v104, v34
	ds_write_b32 v105, v35
	ds_write_b32 v106, v118
	ds_write_b32 v107, v119
	v_cvt_f32_f16_e32 v34, v129
	ds_write_b32 v108, v121
	ds_write_b32 v109, v122
	;; [unrolled: 1-line block ×5, first 2 shown]
	s_waitcnt lgkmcnt(0)
	s_waitcnt_vscnt null, 0x0
	s_barrier
	buffer_gl0_inv
	buffer_load_dword v0, off, s[20:23], 0 offset:8 ; 4-byte Folded Reload
	s_waitcnt vmcnt(0)
	ds_read_b32 v121, v0
	buffer_load_dword v0, off, s[20:23], 0 offset:12 ; 4-byte Folded Reload
	s_waitcnt lgkmcnt(0)
	v_mov_b32_e32 v125, v121
	v_mov_b32_e32 v126, v121
	v_mov_b32_e32 v127, v121
	s_waitcnt vmcnt(0)
	ds_read_b32 v122, v0 offset:128
	buffer_load_dword v0, off, s[20:23], 0 offset:16 ; 4-byte Folded Reload
	s_waitcnt lgkmcnt(0)
	v_mov_b32_e32 v128, v122
	v_mov_b32_e32 v129, v122
	v_mov_b32_e32 v130, v122
	s_waitcnt vmcnt(0)
	ds_read_b32 v123, v0 offset:256
	;; [unrolled: 7-line block ×3, first 2 shown]
	s_waitcnt lgkmcnt(0)
	v_mov_b32_e32 v134, v124
	v_mov_b32_e32 v135, v124
	;; [unrolled: 1-line block ×3, first 2 shown]
.LBB135_6:                              ;   Parent Loop BB135_5 Depth=1
                                        ; =>  This Inner Loop Header: Depth=2
	s_lshl_b32 s15, s14, 1
	s_lshl_b32 s16, s14, 3
	v_or_b32_e32 v115, s15, v49
	v_add_nc_u32_e32 v116, s16, v100
	v_add_nc_u32_e32 v117, s16, v101
	;; [unrolled: 1-line block ×4, first 2 shown]
	v_lshlrev_b32_e32 v118, 2, v115
	v_or_b32_e32 v165, s15, v93
	ds_read2_b32 v[41:42], v116 offset0:12 offset1:13
	ds_read2_b32 v[43:44], v117 offset1:1
	ds_read2_b32 v[189:190], v116 offset0:14 offset1:15
	ds_read_b128 v[138:141], v118 offset:33328
	ds_read_b128 v[173:176], v118 offset:33312
	ds_read2_b32 v[191:192], v117 offset0:12 offset1:13
	ds_read2_b32 v[193:194], v117 offset0:14 offset1:15
	;; [unrolled: 1-line block ×8, first 2 shown]
	v_lshlrev_b32_e32 v45, 2, v165
	ds_read2_b32 v[201:202], v207 offset0:14 offset1:15
	ds_read_b128 v[34:37], v45 offset:33280
	v_mov_b32_e32 v137, 0
	v_mov_b32_e32 v154, 0
	;; [unrolled: 1-line block ×8, first 2 shown]
	v_or_b32_e32 v147, s15, v94
	v_mov_b32_e32 v151, 0
	s_waitcnt lgkmcnt(11)
	v_dot4c_i32_i8 v137, v41, v138
	s_waitcnt lgkmcnt(9)
	v_dot4c_i32_i8 v154, v191, v138
	;; [unrolled: 2-line block ×4, first 2 shown]
	v_lshlrev_b32_e32 v47, 2, v147
	v_dot4c_i32_i8 v137, v42, v139
	v_dot4c_i32_i8 v154, v192, v139
	;; [unrolled: 1-line block ×4, first 2 shown]
	v_mov_b32_e32 v153, 0
	v_dot4c_i32_i8 v137, v189, v140
	v_dot4c_i32_i8 v154, v193, v140
	;; [unrolled: 1-line block ×3, first 2 shown]
	s_waitcnt lgkmcnt(1)
	v_dot4c_i32_i8 v156, v201, v140
	v_mov_b32_e32 v152, 0
	v_dot4c_i32_i8 v137, v190, v141
	v_dot4c_i32_i8 v154, v194, v141
	;; [unrolled: 1-line block ×4, first 2 shown]
	ds_read_b128 v[138:141], v45 offset:33328
	v_mov_b32_e32 v150, 0
	v_or_b32_e32 v162, s15, v95
	v_mov_b32_e32 v168, 0
	v_mov_b32_e32 v169, 0
	v_mov_b32_e32 v167, 0
	v_mov_b32_e32 v166, 0
	v_lshlrev_b32_e32 v208, 2, v162
	v_or_b32_e32 v142, s15, v96
	v_mov_b32_e32 v145, 0
	v_mov_b32_e32 v148, 0
	v_mov_b32_e32 v146, 0
	v_mov_b32_e32 v144, 0
	v_lshlrev_b32_e32 v48, 2, v142
	;; [unrolled: 6-line block ×3, first 2 shown]
	s_waitcnt lgkmcnt(0)
	v_dot4c_i32_i8 v172, v41, v138
	v_dot4c_i32_i8 v171, v191, v138
	;; [unrolled: 1-line block ×4, first 2 shown]
	v_mov_b32_e32 v143, 0
	v_dot4c_i32_i8 v172, v42, v139
	v_dot4c_i32_i8 v171, v192, v139
	;; [unrolled: 1-line block ×4, first 2 shown]
	v_or_b32_e32 v149, s15, v99
	v_dot4c_i32_i8 v172, v189, v140
	v_dot4c_i32_i8 v171, v193, v140
	;; [unrolled: 1-line block ×4, first 2 shown]
	v_lshlrev_b32_e32 v203, 2, v149
	v_dot4c_i32_i8 v172, v190, v141
	v_dot4c_i32_i8 v171, v194, v141
	v_dot4c_i32_i8 v119, v198, v141
	v_dot4c_i32_i8 v170, v202, v141
	ds_read_b128 v[138:141], v47 offset:33328
	ds_read_b128 v[177:180], v47 offset:33312
	v_mov_b32_e32 v158, 0
	v_mov_b32_e32 v159, 0
	;; [unrolled: 1-line block ×18, first 2 shown]
	s_waitcnt lgkmcnt(1)
	v_dot4c_i32_i8 v151, v41, v138
	v_dot4c_i32_i8 v153, v191, v138
	v_dot4c_i32_i8 v152, v195, v138
	v_dot4c_i32_i8 v150, v199, v138
	v_mov_b32_e32 v57, 0
	v_dot4c_i32_i8 v151, v42, v139
	v_dot4c_i32_i8 v153, v192, v139
	v_dot4c_i32_i8 v152, v196, v139
	v_dot4c_i32_i8 v150, v200, v139
	v_mov_b32_e32 v63, 0
	;; [unrolled: 5-line block ×3, first 2 shown]
	v_dot4c_i32_i8 v151, v190, v141
	v_dot4c_i32_i8 v153, v194, v141
	;; [unrolled: 1-line block ×4, first 2 shown]
	ds_read_b128 v[138:141], v208 offset:33328
	v_mov_b32_e32 v68, 0
	v_mov_b32_e32 v1, 0
	;; [unrolled: 1-line block ×5, first 2 shown]
	s_lshr_b32 s14, s14, 1
	s_and_b32 vcc_lo, exec_lo, s1
	s_add_i32 s14, s14, 0xa200
	s_mov_b32 s1, 0
	s_waitcnt lgkmcnt(0)
	v_dot4c_i32_i8 v168, v41, v138
	v_dot4c_i32_i8 v169, v191, v138
	;; [unrolled: 1-line block ×16, first 2 shown]
	ds_read_b128 v[138:141], v48 offset:33328
	ds_read_b128 v[185:188], v48 offset:33312
	s_waitcnt lgkmcnt(1)
	v_dot4c_i32_i8 v145, v41, v138
	v_dot4c_i32_i8 v148, v191, v138
	;; [unrolled: 1-line block ×16, first 2 shown]
	ds_read_b128 v[138:141], v209 offset:33328
	s_waitcnt lgkmcnt(0)
	v_dot4c_i32_i8 v163, v41, v138
	v_dot4c_i32_i8 v164, v191, v138
	v_dot4c_i32_i8 v161, v195, v138
	v_dot4c_i32_i8 v160, v199, v138
	v_or_b32_e32 v138, s15, v98
	v_dot4c_i32_i8 v163, v42, v139
	v_dot4c_i32_i8 v164, v192, v139
	;; [unrolled: 1-line block ×4, first 2 shown]
	v_lshlrev_b32_e32 v69, 2, v138
	ds_read_b128 v[181:184], v69 offset:33328
	ds_read_b128 v[210:213], v69 offset:33312
	v_dot4c_i32_i8 v163, v189, v140
	v_dot4c_i32_i8 v164, v193, v140
	;; [unrolled: 1-line block ×4, first 2 shown]
	v_mov_b32_e32 v140, 0
	v_dot4c_i32_i8 v163, v190, v141
	v_dot4c_i32_i8 v164, v194, v141
	;; [unrolled: 1-line block ×4, first 2 shown]
	v_mov_b32_e32 v141, 0
	v_mov_b32_e32 v139, 0
	s_waitcnt lgkmcnt(1)
	v_dot4c_i32_i8 v140, v41, v181
	v_dot4c_i32_i8 v143, v191, v181
	;; [unrolled: 1-line block ×16, first 2 shown]
	ds_read_b128 v[181:184], v203 offset:33328
	ds_read2_b32 v[236:237], v116 offset0:8 offset1:9
	ds_read2_b32 v[238:239], v116 offset0:10 offset1:11
	;; [unrolled: 1-line block ×8, first 2 shown]
	s_waitcnt lgkmcnt(8)
	v_dot4c_i32_i8 v158, v41, v181
	v_dot4c_i32_i8 v159, v191, v181
	v_mov_b32_e32 v191, 0
	v_mov_b32_e32 v41, 0
	v_dot4c_i32_i8 v158, v42, v182
	v_dot4c_i32_i8 v159, v192, v182
	v_mov_b32_e32 v192, 0
	s_waitcnt lgkmcnt(4)
	v_dot4c_i32_i8 v191, v242, v173
	v_dot4c_i32_i8 v41, v199, v181
	;; [unrolled: 1-line block ×3, first 2 shown]
	v_mov_b32_e32 v189, 0
	s_waitcnt lgkmcnt(2)
	v_dot4c_i32_i8 v192, v246, v173
	v_dot4c_i32_i8 v191, v243, v174
	;; [unrolled: 1-line block ×4, first 2 shown]
	v_mov_b32_e32 v190, 0
	v_dot4c_i32_i8 v189, v236, v173
	v_dot4c_i32_i8 v192, v247, v174
	;; [unrolled: 1-line block ×4, first 2 shown]
	s_waitcnt lgkmcnt(1)
	v_dot4c_i32_i8 v190, v248, v173
	v_dot4c_i32_i8 v189, v237, v174
	;; [unrolled: 1-line block ×8, first 2 shown]
	v_mov_b32_e32 v202, 0
	v_mov_b32_e32 v201, 0
	v_dot4c_i32_i8 v190, v234, v175
	v_dot4c_i32_i8 v189, v239, v176
	v_mov_b32_e32 v42, 0
	v_mov_b32_e32 v199, 0
	;; [unrolled: 1-line block ×3, first 2 shown]
	v_dot4c_i32_i8 v190, v235, v176
	ds_read_b128 v[173:176], v45 offset:33312
	ds_read_b128 v[214:217], v45 offset:33296
	v_dot4c_i32_i8 v42, v195, v181
	v_dot4c_i32_i8 v159, v193, v183
	v_mov_b32_e32 v195, 0
	v_mov_b32_e32 v193, 0
	;; [unrolled: 1-line block ×3, first 2 shown]
	v_dot4c_i32_i8 v42, v196, v182
	v_dot4c_i32_i8 v159, v194, v184
	v_mov_b32_e32 v196, 0
	v_mov_b32_e32 v194, 0
	v_mov_b32_e32 v182, 0
	v_dot4c_i32_i8 v42, v197, v183
	v_mov_b32_e32 v197, 0
	v_mov_b32_e32 v183, 0
	v_dot4c_i32_i8 v181, v248, v177
	v_dot4c_i32_i8 v182, v246, v177
	;; [unrolled: 1-line block ×3, first 2 shown]
	v_mov_b32_e32 v198, 0
	v_mov_b32_e32 v184, 0
	s_waitcnt lgkmcnt(1)
	v_dot4c_i32_i8 v206, v236, v173
	v_dot4c_i32_i8 v204, v242, v173
	;; [unrolled: 1-line block ×19, first 2 shown]
	ds_read_b128 v[173:176], v208 offset:33312
	ds_read_b128 v[218:221], v208 offset:33296
	v_dot4c_i32_i8 v183, v243, v178
	v_dot4c_i32_i8 v182, v247, v178
	;; [unrolled: 1-line block ×4, first 2 shown]
	v_mov_b32_e32 v178, 0
	v_dot4c_i32_i8 v183, v230, v179
	v_dot4c_i32_i8 v182, v232, v179
	;; [unrolled: 1-line block ×4, first 2 shown]
	v_mov_b32_e32 v179, 0
	v_dot4c_i32_i8 v183, v231, v180
	v_dot4c_i32_i8 v182, v233, v180
	;; [unrolled: 1-line block ×3, first 2 shown]
	v_mov_b32_e32 v180, 0
	v_mov_b32_e32 v177, 0
	v_dot4c_i32_i8 v179, v242, v185
	v_dot4c_i32_i8 v178, v246, v185
	s_waitcnt lgkmcnt(1)
	v_dot4c_i32_i8 v199, v236, v173
	v_dot4c_i32_i8 v200, v242, v173
	;; [unrolled: 1-line block ×19, first 2 shown]
	ds_read_b128 v[173:176], v209 offset:33312
	ds_read_b128 v[222:225], v209 offset:33296
	v_dot4c_i32_i8 v179, v243, v186
	v_dot4c_i32_i8 v178, v247, v186
	;; [unrolled: 1-line block ×4, first 2 shown]
	v_mov_b32_e32 v186, 0
	v_dot4c_i32_i8 v179, v230, v187
	v_dot4c_i32_i8 v178, v232, v187
	;; [unrolled: 1-line block ×4, first 2 shown]
	v_mov_b32_e32 v187, 0
	v_dot4c_i32_i8 v179, v231, v188
	v_dot4c_i32_i8 v178, v233, v188
	;; [unrolled: 1-line block ×3, first 2 shown]
	v_mov_b32_e32 v188, 0
	v_mov_b32_e32 v185, 0
	s_waitcnt lgkmcnt(1)
	v_dot4c_i32_i8 v195, v236, v173
	v_dot4c_i32_i8 v196, v242, v173
	v_dot4c_i32_i8 v194, v246, v173
	v_dot4c_i32_i8 v193, v248, v173
	v_mov_b32_e32 v173, 0
	v_dot4c_i32_i8 v195, v237, v174
	v_dot4c_i32_i8 v196, v243, v174
	v_dot4c_i32_i8 v194, v247, v174
	v_dot4c_i32_i8 v193, v249, v174
	v_mov_b32_e32 v174, 0
	;; [unrolled: 5-line block ×4, first 2 shown]
	v_dot4c_i32_i8 v175, v242, v210
	v_dot4c_i32_i8 v174, v246, v210
	;; [unrolled: 1-line block ×16, first 2 shown]
	ds_read_b128 v[210:213], v203 offset:33312
	ds_read_b128 v[226:229], v203 offset:33296
	s_waitcnt lgkmcnt(1)
	v_dot4c_i32_i8 v186, v236, v210
	v_dot4c_i32_i8 v188, v242, v210
	v_dot4c_i32_i8 v187, v246, v210
	v_dot4c_i32_i8 v185, v248, v210
	v_dot4c_i32_i8 v186, v237, v211
	v_dot4c_i32_i8 v188, v243, v211
	v_dot4c_i32_i8 v187, v247, v211
	v_dot4c_i32_i8 v185, v249, v211
	v_dot4c_i32_i8 v186, v238, v212
	v_dot4c_i32_i8 v188, v230, v212
	v_dot4c_i32_i8 v187, v232, v212
	v_dot4c_i32_i8 v185, v234, v212
	v_dot4c_i32_i8 v186, v239, v213
	v_dot4c_i32_i8 v188, v231, v213
	v_dot4c_i32_i8 v187, v233, v213
	v_dot4c_i32_i8 v185, v235, v213
	ds_read2_b32 v[238:239], v116 offset0:4 offset1:5
	ds_read_b128 v[210:213], v118 offset:33296
	ds_read_b128 v[230:233], v118 offset:33280
	ds_read2_b32 v[242:243], v117 offset0:4 offset1:5
	ds_read2_b32 v[117:118], v117 offset0:2 offset1:3
	;; [unrolled: 1-line block ×7, first 2 shown]
	s_waitcnt lgkmcnt(9)
	v_dot4c_i32_i8 v75, v238, v214
	s_waitcnt lgkmcnt(8)
	v_dot4c_i32_i8 v70, v238, v210
	;; [unrolled: 2-line block ×5, first 2 shown]
	v_dot4c_i32_i8 v38, v242, v214
	v_dot4c_i32_i8 v0, v246, v214
	;; [unrolled: 1-line block ×27, first 2 shown]
	ds_read_b128 v[210:213], v47 offset:33296
	ds_read_b128 v[214:217], v47 offset:33280
	v_mov_b32_e32 v47, 0
	v_dot4c_i32_i8 v53, v238, v218
	v_dot4c_i32_i8 v55, v242, v218
	;; [unrolled: 1-line block ×17, first 2 shown]
	s_waitcnt lgkmcnt(1)
	v_dot4c_i32_i8 v50, v238, v210
	v_dot4c_i32_i8 v47, v242, v210
	;; [unrolled: 1-line block ×19, first 2 shown]
	ds_read_b128 v[210:213], v48 offset:33296
	ds_read_b128 v[218:221], v48 offset:33280
	v_dot4c_i32_i8 v63, v239, v223
	v_dot4c_i32_i8 v67, v243, v223
	;; [unrolled: 1-line block ×4, first 2 shown]
	v_mov_b32_e32 v48, 0
	v_dot4c_i32_i8 v63, v240, v224
	v_dot4c_i32_i8 v67, v244, v224
	v_dot4c_i32_i8 v68, v248, v224
	v_dot4c_i32_i8 v1, v250, v224
	v_dot4c_i32_i8 v63, v241, v225
	v_dot4c_i32_i8 v67, v245, v225
	v_dot4c_i32_i8 v68, v249, v225
	v_dot4c_i32_i8 v1, v251, v225
	ds_read_b128 v[222:225], v69 offset:33296
	ds_read_b128 v[234:237], v69 offset:33280
	v_mov_b32_e32 v69, 0
	s_waitcnt lgkmcnt(3)
	v_dot4c_i32_i8 v58, v238, v210
	v_dot4c_i32_i8 v48, v242, v210
	v_dot4c_i32_i8 v59, v246, v210
	v_dot4c_i32_i8 v61, v254, v210
	v_mov_b32_e32 v210, 0
	v_dot4c_i32_i8 v58, v239, v211
	v_dot4c_i32_i8 v48, v243, v211
	v_dot4c_i32_i8 v59, v247, v211
	v_dot4c_i32_i8 v61, v255, v211
	v_mov_b32_e32 v211, 0
	;; [unrolled: 5-line block ×4, first 2 shown]
	s_waitcnt lgkmcnt(1)
	v_dot4c_i32_i8 v212, v238, v222
	v_dot4c_i32_i8 v211, v246, v222
	;; [unrolled: 1-line block ×5, first 2 shown]
	v_mov_b32_e32 v238, 0
	v_dot4c_i32_i8 v212, v239, v223
	v_dot4c_i32_i8 v211, v247, v223
	;; [unrolled: 1-line block ×6, first 2 shown]
	v_mov_b32_e32 v239, 0
	v_mov_b32_e32 v242, 0
	v_dot4c_i32_i8 v212, v240, v224
	v_dot4c_i32_i8 v213, v244, v224
	;; [unrolled: 1-line block ×13, first 2 shown]
	ds_read2_b32 v[222:223], v116 offset1:1
	ds_read2_b32 v[224:225], v205 offset1:1
	;; [unrolled: 1-line block ×3, first 2 shown]
	v_dot4c_i32_i8 v69, v240, v228
	v_dot4c_i32_i8 v238, v244, v228
	;; [unrolled: 1-line block ×4, first 2 shown]
	v_mov_b32_e32 v240, 0
	v_dot4c_i32_i8 v69, v241, v229
	v_mov_b32_e32 v241, 0
	v_mov_b32_e32 v243, 0
	;; [unrolled: 1-line block ×3, first 2 shown]
	v_dot4c_i32_i8 v238, v245, v229
	v_dot4c_i32_i8 v239, v249, v229
	;; [unrolled: 1-line block ×4, first 2 shown]
	ds_read2_b32 v[228:229], v116 offset0:2 offset1:3
	v_mov_b32_e32 v205, 0
	v_mov_b32_e32 v207, 0
	;; [unrolled: 1-line block ×3, first 2 shown]
	s_waitcnt lgkmcnt(3)
	v_dot4c_i32_i8 v240, v222, v230
	s_waitcnt lgkmcnt(2)
	v_dot4c_i32_i8 v243, v224, v230
	;; [unrolled: 2-line block ×3, first 2 shown]
	v_dot4c_i32_i8 v241, v44, v231
	v_mov_b32_e32 v230, 0
	v_dot4c_i32_i8 v240, v223, v231
	v_dot4c_i32_i8 v243, v225, v231
	;; [unrolled: 1-line block ×3, first 2 shown]
	v_mov_b32_e32 v231, 0
	v_dot4c_i32_i8 v205, v222, v34
	v_dot4c_i32_i8 v207, v43, v34
	;; [unrolled: 1-line block ×8, first 2 shown]
	s_waitcnt lgkmcnt(0)
	v_dot4c_i32_i8 v240, v228, v232
	v_dot4c_i32_i8 v231, v227, v35
	;; [unrolled: 1-line block ×16, first 2 shown]
	v_mov_b32_e32 v232, 0
	v_mov_b32_e32 v233, 0
	;; [unrolled: 1-line block ×3, first 2 shown]
	ds_read_b128 v[34:37], v208 offset:33280
	v_dot4c_i32_i8 v245, v224, v214
	v_dot4c_i32_i8 v232, v222, v214
	v_dot4c_i32_i8 v233, v43, v214
	v_dot4c_i32_i8 v246, v226, v214
	v_mov_b32_e32 v214, 0
	v_dot4c_i32_i8 v245, v225, v215
	v_dot4c_i32_i8 v232, v223, v215
	v_dot4c_i32_i8 v233, v44, v215
	v_dot4c_i32_i8 v246, v227, v215
	v_mov_b32_e32 v208, 0
	;; [unrolled: 5-line block ×3, first 2 shown]
	v_mov_b32_e32 v216, 0
	v_dot4c_i32_i8 v232, v229, v217
	v_dot4c_i32_i8 v233, v118, v217
	;; [unrolled: 1-line block ×3, first 2 shown]
	s_waitcnt lgkmcnt(0)
	v_dot4c_i32_i8 v214, v222, v34
	v_dot4c_i32_i8 v208, v43, v34
	;; [unrolled: 1-line block ×9, first 2 shown]
	v_mov_b32_e32 v217, 0
	v_dot4c_i32_i8 v214, v228, v36
	v_dot4c_i32_i8 v208, v117, v36
	;; [unrolled: 1-line block ×4, first 2 shown]
	v_mov_b32_e32 v247, 0
	v_dot4c_i32_i8 v214, v229, v37
	v_dot4c_i32_i8 v208, v118, v37
	;; [unrolled: 1-line block ×4, first 2 shown]
	v_mov_b32_e32 v248, 0
	v_mov_b32_e32 v249, 0
	ds_read_b128 v[34:37], v209 offset:33280
	v_dot4c_i32_i8 v217, v222, v218
	v_dot4c_i32_i8 v247, v43, v218
	v_dot4c_i32_i8 v248, v224, v218
	v_dot4c_i32_i8 v249, v226, v218
	v_mov_b32_e32 v218, 0
	v_dot4c_i32_i8 v217, v223, v219
	v_dot4c_i32_i8 v247, v44, v219
	v_dot4c_i32_i8 v248, v225, v219
	v_dot4c_i32_i8 v249, v227, v219
	v_mov_b32_e32 v209, 0
	;; [unrolled: 5-line block ×3, first 2 shown]
	v_mov_b32_e32 v220, 0
	v_dot4c_i32_i8 v217, v229, v221
	v_dot4c_i32_i8 v247, v118, v221
	;; [unrolled: 1-line block ×3, first 2 shown]
	s_waitcnt lgkmcnt(0)
	v_dot4c_i32_i8 v218, v222, v34
	v_dot4c_i32_i8 v209, v43, v34
	v_dot4c_i32_i8 v219, v224, v34
	v_dot4c_i32_i8 v220, v226, v34
	v_dot4c_i32_i8 v249, v46, v221
	v_dot4c_i32_i8 v218, v223, v35
	v_dot4c_i32_i8 v209, v44, v35
	v_dot4c_i32_i8 v219, v225, v35
	v_dot4c_i32_i8 v220, v227, v35
	v_mov_b32_e32 v221, 0
	v_dot4c_i32_i8 v218, v228, v36
	v_dot4c_i32_i8 v209, v117, v36
	;; [unrolled: 1-line block ×4, first 2 shown]
	v_mov_b32_e32 v250, 0
	v_dot4c_i32_i8 v218, v229, v37
	v_dot4c_i32_i8 v209, v118, v37
	;; [unrolled: 1-line block ×4, first 2 shown]
	ds_read_b128 v[34:37], v203 offset:33280
	v_mov_b32_e32 v251, 0
	v_mov_b32_e32 v254, 0
	v_dot4c_i32_i8 v221, v222, v234
	v_dot4c_i32_i8 v250, v43, v234
	v_lshlrev_b32_e32 v116, 2, v74
	v_dot4c_i32_i8 v251, v224, v234
	v_dot4c_i32_i8 v254, v226, v234
	v_mov_b32_e32 v234, 0
	v_dot4c_i32_i8 v221, v223, v235
	v_dot4c_i32_i8 v250, v44, v235
	;; [unrolled: 1-line block ×9, first 2 shown]
	s_waitcnt lgkmcnt(0)
	v_dot4c_i32_i8 v234, v222, v34
	v_mov_b32_e32 v222, 0
	v_dot4c_i32_i8 v254, v46, v237
	v_dot4c_i32_i8 v250, v118, v237
	;; [unrolled: 1-line block ×4, first 2 shown]
	v_mov_b32_e32 v223, 0
	v_dot4c_i32_i8 v222, v43, v34
	v_dot4c_i32_i8 v234, v228, v36
	;; [unrolled: 1-line block ×3, first 2 shown]
	v_mov_b32_e32 v224, 0
	v_dot4c_i32_i8 v222, v44, v35
	v_dot4c_i32_i8 v234, v229, v37
	;; [unrolled: 1-line block ×4, first 2 shown]
	v_lshrrev_b32_e32 v34, 1, v115
	v_lshlrev_b32_e32 v115, 2, v77
	v_dot4c_i32_i8 v222, v117, v36
	v_dot4c_i32_i8 v223, v252, v36
	;; [unrolled: 1-line block ×3, first 2 shown]
	v_lshlrev_b32_e32 v117, 2, v86
	v_add3_u32 v35, s14, v115, v116
	ds_read_b32 v43, v35
	ds_read_b64 v[34:35], v34 offset:43584
	v_dot4c_i32_i8 v224, v45, v36
	v_dot4c_i32_i8 v222, v118, v37
	;; [unrolled: 1-line block ×3, first 2 shown]
	v_lshlrev_b32_e32 v118, 2, v87
	v_dot4c_i32_i8 v224, v46, v37
	s_waitcnt lgkmcnt(1)
	v_bfe_i32 v225, v43, 8, 8
	v_bfe_i32 v226, v43, 0, 8
	;; [unrolled: 1-line block ×3, first 2 shown]
	v_mul_lo_u32 v36, v75, v225
	v_ashrrev_i32_e32 v75, 24, v43
	v_mad_u64_u32 v[36:37], null, v205, v226, v[36:37]
	v_mul_lo_u32 v37, v172, v75
	v_mad_u64_u32 v[43:44], null, v206, v227, v[37:38]
	v_add3_u32 v37, s14, v117, v112
	ds_read_b32 v46, v37
	v_cvt_f32_i32_e32 v43, v43
	s_waitcnt lgkmcnt(0)
	v_bfe_i32 v206, v46, 8, 8
	v_bfe_i32 v228, v46, 0, 8
	v_mul_lo_u32 v37, v38, v206
	v_mad_u64_u32 v[44:45], null, v207, v228, v[37:38]
	v_ashrrev_i32_e32 v38, 24, v46
	v_bfe_i32 v207, v46, 16, 8
	v_mul_lo_u32 v37, v171, v38
	v_cvt_f32_i32_e32 v44, v44
	v_mad_u64_u32 v[45:46], null, v204, v207, v[37:38]
	v_add3_u32 v37, s14, v118, v113
	ds_read_b32 v46, v37
	v_cvt_f32_i32_e32 v45, v45
	s_waitcnt lgkmcnt(0)
	v_bfe_i32 v229, v46, 8, 8
	v_bfe_i32 v235, v46, 0, 8
	v_mul_lo_u32 v37, v0, v229
	v_ashrrev_i32_e32 v0, 24, v46
	v_mad_u64_u32 v[171:172], null, v230, v235, v[37:38]
	v_mul_lo_u32 v37, v119, v0
	v_bfe_i32 v230, v46, 16, 8
	v_lshlrev_b32_e32 v119, 2, v88
	v_mad_u64_u32 v[202:203], null, v202, v230, v[37:38]
	v_add3_u32 v37, s14, v119, v114
	s_mov_b32 s14, 8
	ds_read_b32 v46, v37
	s_waitcnt lgkmcnt(0)
	v_bfe_i32 v236, v46, 8, 8
	v_bfe_i32 v237, v46, 0, 8
	v_mul_lo_u32 v37, v65, v236
	v_ashrrev_i32_e32 v65, 24, v46
	v_mad_u64_u32 v[203:204], null, v231, v237, v[37:38]
	v_mul_lo_u32 v37, v170, v65
	v_bfe_i32 v231, v46, 16, 8
	v_cvt_f32_i32_e32 v46, v36
	v_lshrrev_b32_e32 v36, 1, v165
	v_cvt_f32_i32_e32 v170, v171
	v_cvt_f32_i32_e32 v171, v202
	;; [unrolled: 1-line block ×3, first 2 shown]
	v_mad_u64_u32 v[204:205], null, v201, v231, v[37:38]
	ds_read_b64 v[36:37], v36 offset:43584
	v_cvt_f32_i32_e32 v201, v204
	s_waitcnt lgkmcnt(0)
	v_fma_f32 v165, v36, v46, 0
	v_fma_f32 v202, v36, v44, 0
	;; [unrolled: 1-line block ×4, first 2 shown]
	v_mul_lo_u32 v36, v240, v226
	v_fmac_f32_e32 v165, v37, v43
	v_fmac_f32_e32 v202, v37, v45
	;; [unrolled: 1-line block ×6, first 2 shown]
	v_mad_u64_u32 v[36:37], null, v70, v225, v[36:37]
	v_mul_lo_u32 v37, v189, v227
	v_fmac_f32_e32 v26, v123, v203
	v_fmac_f32_e32 v22, v124, v204
	v_cvt_f32_i32_e32 v36, v36
	v_mad_u64_u32 v[43:44], null, v137, v75, v[37:38]
	v_mul_lo_u32 v37, v241, v228
	v_mad_u64_u32 v[44:45], null, v71, v206, v[37:38]
	v_mul_lo_u32 v37, v191, v207
	;; [unrolled: 2-line block ×4, first 2 shown]
	v_fma_f32 v72, v34, v36, 0
	v_mad_u64_u32 v[154:155], null, v155, v0, v[37:38]
	v_mul_lo_u32 v37, v244, v237
	v_cvt_f32_i32_e32 v46, v154
	v_mad_u64_u32 v[171:172], null, v73, v236, v[37:38]
	v_mul_lo_u32 v37, v190, v231
	v_cvt_f32_i32_e32 v70, v171
	v_mad_u64_u32 v[155:156], null, v156, v65, v[37:38]
	v_cvt_f32_i32_e32 v37, v43
	v_cvt_f32_i32_e32 v43, v44
	;; [unrolled: 1-line block ×4, first 2 shown]
	v_fma_f32 v70, v34, v70, 0
	v_fmac_f32_e32 v72, v35, v37
	v_fma_f32 v73, v34, v43, 0
	v_cvt_f32_i32_e32 v71, v155
	v_fma_f32 v137, v34, v45, 0
	v_mul_lo_u32 v34, v53, v225
	v_fma_f32 v3, v125, v72, v3
	v_fmac_f32_e32 v73, v35, v44
	v_fmac_f32_e32 v70, v35, v71
	;; [unrolled: 1-line block ×3, first 2 shown]
	v_fma_f32 v31, v128, v73, v31
	v_mad_u64_u32 v[34:35], null, v214, v226, v[34:35]
	v_mul_lo_u32 v35, v168, v75
	v_fma_f32 v27, v131, v137, v27
	v_fma_f32 v23, v134, v70, v23
	v_mad_u64_u32 v[35:36], null, v199, v227, v[35:36]
	v_mul_lo_u32 v36, v55, v206
	v_mad_u64_u32 v[36:37], null, v208, v228, v[36:37]
	v_mul_lo_u32 v37, v169, v38
	v_cvt_f32_i32_e32 v36, v36
	v_mad_u64_u32 v[43:44], null, v200, v207, v[37:38]
	v_mul_lo_u32 v37, v56, v229
	v_cvt_f32_i32_e32 v43, v43
	;; [unrolled: 3-line block ×4, first 2 shown]
	v_cvt_f32_i32_e32 v45, v45
	v_mad_u64_u32 v[154:155], null, v216, v237, v[37:38]
	v_mul_lo_u32 v37, v166, v65
	v_cvt_f32_i32_e32 v53, v154
	v_mad_u64_u32 v[155:156], null, v197, v231, v[37:38]
	v_cvt_f32_i32_e32 v37, v34
	v_lshrrev_b32_e32 v34, 1, v162
	ds_read_b64 v[34:35], v34 offset:43584
	v_cvt_f32_i32_e32 v55, v155
	s_waitcnt lgkmcnt(0)
	v_fma_f32 v56, v34, v37, 0
	v_fma_f32 v57, v34, v36, 0
	;; [unrolled: 1-line block ×4, first 2 shown]
	v_mul_lo_u32 v34, v232, v226
	v_fmac_f32_e32 v56, v35, v46
	v_fmac_f32_e32 v57, v35, v43
	;; [unrolled: 1-line block ×4, first 2 shown]
	v_fma_f32 v4, v126, v56, v4
	v_fma_f32 v32, v129, v57, v32
	v_mad_u64_u32 v[34:35], null, v50, v225, v[34:35]
	v_mul_lo_u32 v35, v184, v227
	v_fma_f32 v28, v132, v71, v28
	v_fma_f32 v24, v135, v53, v24
	v_mad_u64_u32 v[35:36], null, v151, v75, v[35:36]
	v_mul_lo_u32 v36, v233, v228
	v_mad_u64_u32 v[36:37], null, v47, v206, v[36:37]
	v_mul_lo_u32 v37, v183, v207
	v_cvt_f32_i32_e32 v36, v36
	v_mad_u64_u32 v[43:44], null, v153, v38, v[37:38]
	v_mul_lo_u32 v37, v245, v235
	v_cvt_f32_i32_e32 v43, v43
	;; [unrolled: 3-line block ×4, first 2 shown]
	v_cvt_f32_i32_e32 v45, v45
	v_mad_u64_u32 v[151:152], null, v52, v236, v[37:38]
	v_mul_lo_u32 v37, v181, v231
	v_cvt_f32_i32_e32 v47, v151
	v_mad_u64_u32 v[152:153], null, v150, v65, v[37:38]
	v_cvt_f32_i32_e32 v37, v34
	v_lshrrev_b32_e32 v34, 1, v147
	ds_read_b64 v[34:35], v34 offset:43584
	v_cvt_f32_i32_e32 v50, v152
	s_waitcnt lgkmcnt(0)
	v_fma_f32 v51, v34, v37, 0
	v_fma_f32 v52, v34, v36, 0
	;; [unrolled: 1-line block ×4, first 2 shown]
	v_mul_lo_u32 v34, v63, v225
	v_fmac_f32_e32 v51, v35, v46
	v_fmac_f32_e32 v52, v35, v43
	;; [unrolled: 1-line block ×4, first 2 shown]
	v_fma_f32 v5, v127, v51, v5
	v_fma_f32 v33, v130, v52, v33
	v_mad_u64_u32 v[34:35], null, v218, v226, v[34:35]
	v_mul_lo_u32 v35, v163, v75
	v_fma_f32 v29, v133, v55, v29
	v_fma_f32 v25, v136, v47, v25
	v_mad_u64_u32 v[35:36], null, v195, v227, v[35:36]
	v_mul_lo_u32 v36, v67, v206
	v_mad_u64_u32 v[36:37], null, v209, v228, v[36:37]
	v_mul_lo_u32 v37, v164, v38
	v_cvt_f32_i32_e32 v36, v36
	v_mad_u64_u32 v[43:44], null, v196, v207, v[37:38]
	v_mul_lo_u32 v37, v68, v229
	v_cvt_f32_i32_e32 v43, v43
	;; [unrolled: 3-line block ×4, first 2 shown]
	v_lshrrev_b32_e32 v34, 1, v157
	v_cvt_f32_i32_e32 v45, v45
	v_mad_u64_u32 v[150:151], null, v220, v237, v[37:38]
	v_mul_lo_u32 v37, v160, v65
	v_cvt_f32_i32_e32 v46, v150
	v_mad_u64_u32 v[151:152], null, v193, v231, v[37:38]
	v_cvt_f32_i32_e32 v37, v35
	ds_read_b64 v[34:35], v34 offset:43584
	v_cvt_f32_i32_e32 v50, v151
	s_waitcnt lgkmcnt(0)
	v_fma_f32 v1, v34, v1, 0
	v_fma_f32 v63, v34, v36, 0
	;; [unrolled: 1-line block ×4, first 2 shown]
	v_mul_lo_u32 v34, v217, v226
	v_fmac_f32_e32 v1, v35, v37
	v_fmac_f32_e32 v63, v35, v43
	;; [unrolled: 1-line block ×6, first 2 shown]
	v_mad_u64_u32 v[34:35], null, v58, v225, v[34:35]
	v_mul_lo_u32 v35, v180, v227
	v_fmac_f32_e32 v10, v123, v67
	v_fmac_f32_e32 v6, v124, v68
	v_mad_u64_u32 v[35:36], null, v145, v75, v[35:36]
	v_mul_lo_u32 v36, v247, v228
	v_mad_u64_u32 v[36:37], null, v48, v206, v[36:37]
	v_mul_lo_u32 v37, v179, v207
	v_cvt_f32_i32_e32 v36, v36
	v_mad_u64_u32 v[43:44], null, v148, v38, v[37:38]
	v_mul_lo_u32 v37, v248, v235
	v_cvt_f32_i32_e32 v43, v43
	;; [unrolled: 3-line block ×4, first 2 shown]
	v_cvt_f32_i32_e32 v45, v45
	v_mad_u64_u32 v[145:146], null, v61, v236, v[37:38]
	v_mul_lo_u32 v37, v177, v231
	v_cvt_f32_i32_e32 v48, v145
	v_mad_u64_u32 v[146:147], null, v144, v65, v[37:38]
	v_cvt_f32_i32_e32 v37, v34
	v_lshrrev_b32_e32 v34, 1, v142
	ds_read_b64 v[34:35], v34 offset:43584
	v_cvt_f32_i32_e32 v50, v146
	s_waitcnt lgkmcnt(0)
	v_fma_f32 v58, v34, v37, 0
	v_fma_f32 v59, v34, v36, 0
	;; [unrolled: 1-line block ×4, first 2 shown]
	v_mul_lo_u32 v34, v69, v225
	v_fmac_f32_e32 v58, v35, v46
	v_fmac_f32_e32 v59, v35, v43
	;; [unrolled: 1-line block ×4, first 2 shown]
	v_fma_f32 v19, v125, v58, v19
	v_fma_f32 v15, v128, v59, v15
	v_mad_u64_u32 v[34:35], null, v234, v226, v[34:35]
	v_mul_lo_u32 v35, v158, v75
	v_fma_f32 v11, v131, v61, v11
	v_fma_f32 v7, v134, v48, v7
	v_mad_u64_u32 v[35:36], null, v186, v227, v[35:36]
	v_mul_lo_u32 v36, v238, v206
	v_mad_u64_u32 v[36:37], null, v222, v228, v[36:37]
	v_mul_lo_u32 v37, v159, v38
	v_cvt_f32_i32_e32 v36, v36
	v_mad_u64_u32 v[43:44], null, v188, v207, v[37:38]
	v_mul_lo_u32 v37, v239, v229
	v_cvt_f32_i32_e32 v43, v43
	;; [unrolled: 3-line block ×5, first 2 shown]
	v_mad_u64_u32 v[41:42], null, v185, v231, v[37:38]
	v_cvt_f32_i32_e32 v37, v34
	v_lshrrev_b32_e32 v34, 1, v149
	v_cvt_f32_i32_e32 v42, v35
	ds_read_b64 v[34:35], v34 offset:43584
	v_cvt_f32_i32_e32 v41, v41
	s_waitcnt lgkmcnt(0)
	v_fma_f32 v50, v34, v37, 0
	v_fma_f32 v69, v34, v36, 0
	;; [unrolled: 1-line block ×4, first 2 shown]
	v_mul_lo_u32 v34, v221, v226
	v_fmac_f32_e32 v50, v35, v42
	v_fmac_f32_e32 v69, v35, v43
	;; [unrolled: 1-line block ×4, first 2 shown]
	v_fma_f32 v20, v126, v50, v20
	v_fma_f32 v16, v129, v69, v16
	v_mad_u64_u32 v[34:35], null, v212, v225, v[34:35]
	v_mul_lo_u32 v35, v176, v227
	v_fma_f32 v12, v132, v142, v12
	v_fma_f32 v8, v135, v144, v8
	v_mad_u64_u32 v[35:36], null, v140, v75, v[35:36]
	v_mul_lo_u32 v36, v250, v228
	v_mad_u64_u32 v[36:37], null, v213, v206, v[36:37]
	v_mul_lo_u32 v37, v175, v207
	v_cvt_f32_i32_e32 v36, v36
	v_mad_u64_u32 v[41:42], null, v143, v38, v[37:38]
	v_mul_lo_u32 v37, v251, v235
	v_mad_u64_u32 v[42:43], null, v211, v229, v[37:38]
	v_mul_lo_u32 v37, v174, v230
	;; [unrolled: 2-line block ×3, first 2 shown]
	v_cvt_f32_i32_e32 v0, v34
	v_lshrrev_b32_e32 v34, 1, v138
	v_mad_u64_u32 v[44:45], null, v210, v236, v[37:38]
	v_mul_lo_u32 v37, v173, v231
	v_mad_u64_u32 v[45:46], null, v139, v65, v[37:38]
	v_cvt_f32_i32_e32 v37, v35
	ds_read_b64 v[34:35], v34 offset:43584
	v_cvt_f32_i32_e32 v38, v41
	v_cvt_f32_i32_e32 v41, v42
	;; [unrolled: 1-line block ×5, first 2 shown]
	s_waitcnt lgkmcnt(0)
	v_fma_f32 v0, v34, v0, 0
	v_fma_f32 v36, v34, v36, 0
	v_fmac_f32_e32 v0, v35, v37
	v_fma_f32 v37, v34, v41, 0
	v_fma_f32 v34, v34, v43, 0
	v_fmac_f32_e32 v36, v35, v38
	v_fma_f32 v21, v127, v0, v21
	v_fmac_f32_e32 v37, v35, v42
	v_fmac_f32_e32 v34, v35, v44
	v_fma_f32 v17, v130, v36, v17
	v_fma_f32 v13, v133, v37, v13
	;; [unrolled: 1-line block ×3, first 2 shown]
	s_cbranch_vccnz .LBB135_6
; %bb.7:                                ;   in Loop: Header=BB135_5 Depth=1
	v_add_nc_u32_e32 v0, s0, v86
	s_barrier
	buffer_gl0_inv
	buffer_load_dword v47, off, s[20:23], 0 ; 4-byte Folded Reload
	v_add_nc_u32_e32 v1, v0, v78
	v_add_nc_u32_e32 v38, v0, v80
	;; [unrolled: 1-line block ×3, first 2 shown]
	v_mov_b32_e32 v85, v78
	v_mov_b32_e32 v89, v79
	v_mad_i64_i32 v[34:35], null, v1, 36, v[39:40]
	v_add_nc_u32_e32 v1, v0, v81
	v_mad_i64_i32 v[41:42], null, v38, 36, v[39:40]
	v_add_nc_u32_e32 v38, v0, v82
	v_mad_i64_i32 v[36:37], null, v36, 36, v[39:40]
	v_mad_i64_i32 v[43:44], null, v1, 36, v[39:40]
	v_add_nc_u32_e32 v1, 4, v120
	v_mad_i64_i32 v[45:46], null, v38, 36, v[39:40]
	v_add_nc_u32_e32 v38, v0, v84
	v_mov_b32_e32 v90, v80
	v_mad_u64_u32 v[120:121], null, v1, 36, s[2:3]
	buffer_load_dword v1, off, s[20:23], 0 offset:4 ; 4-byte Folded Reload
	v_mad_i64_i32 v[122:123], null, v38, 36, v[39:40]
	v_mov_b32_e32 v91, v81
	v_mov_b32_e32 v83, v82
	;; [unrolled: 1-line block ×4, first 2 shown]
	s_mov_b32 s0, 16
	s_waitcnt vmcnt(1)
	v_add_nc_u32_e32 v47, v0, v47
	v_mad_i64_i32 v[124:125], null, v47, 36, v[39:40]
	s_waitcnt vmcnt(0)
	v_add_nc_u32_e32 v0, v0, v1
	v_mad_i64_i32 v[126:127], null, v0, 36, v[39:40]
	s_clause 0x8
	global_load_dword v0, v[120:121], off
	global_load_dword v1, v[34:35], off offset:4
	global_load_dword v34, v[36:37], off offset:4
	global_load_dword v35, v[41:42], off offset:4
	global_load_dword v36, v[43:44], off offset:4
	global_load_dword v37, v[45:46], off offset:4
	global_load_dword v38, v[122:123], off offset:4
	global_load_dword v41, v[124:125], off offset:4
	global_load_dword v42, v[126:127], off offset:4
	s_waitcnt vmcnt(7)
	ds_write_b32 v104, v1
	s_waitcnt vmcnt(6)
	ds_write_b32 v105, v34
	;; [unrolled: 2-line block ×8, first 2 shown]
	v_cvt_f32_f16_e32 v0, v0
	ds_write_b32 v76, v0
	s_waitcnt lgkmcnt(0)
	s_barrier
	buffer_gl0_inv
	buffer_load_dword v0, off, s[20:23], 0 offset:8 ; 4-byte Folded Reload
	s_waitcnt vmcnt(0)
	ds_read_b32 v120, v0
	buffer_load_dword v0, off, s[20:23], 0 offset:12 ; 4-byte Folded Reload
	s_waitcnt lgkmcnt(0)
	v_mov_b32_e32 v124, v120
	v_mov_b32_e32 v125, v120
	v_mov_b32_e32 v126, v120
	s_waitcnt vmcnt(0)
	ds_read_b32 v121, v0 offset:128
	buffer_load_dword v0, off, s[20:23], 0 offset:16 ; 4-byte Folded Reload
	s_waitcnt lgkmcnt(0)
	v_mov_b32_e32 v127, v121
	v_mov_b32_e32 v128, v121
	v_mov_b32_e32 v129, v121
	s_waitcnt vmcnt(0)
	ds_read_b32 v122, v0 offset:256
	;; [unrolled: 7-line block ×3, first 2 shown]
	s_waitcnt lgkmcnt(0)
	v_mov_b32_e32 v133, v123
	v_mov_b32_e32 v134, v123
	;; [unrolled: 1-line block ×3, first 2 shown]
.LBB135_8:                              ;   Parent Loop BB135_5 Depth=1
                                        ; =>  This Inner Loop Header: Depth=2
	s_lshl_b32 s14, s0, 1
	s_lshl_b32 s1, s0, 3
	s_and_b32 s14, s14, 16
	v_add_nc_u32_e32 v138, s1, v100
	v_or_b32_e32 v137, s14, v49
	v_add_nc_u32_e32 v139, s1, v101
	v_add_nc_u32_e32 v209, s1, v102
	;; [unrolled: 1-line block ×3, first 2 shown]
	ds_read2_b32 v[41:42], v138 offset0:12 offset1:13
	v_lshlrev_b32_e32 v140, 2, v137
	v_or_b32_e32 v168, s14, v93
	v_mov_b32_e32 v136, 0
	ds_read2_b32 v[43:44], v139 offset1:1
	ds_read2_b32 v[45:46], v138 offset0:14 offset1:15
	ds_read_b128 v[141:144], v140 offset:33328
	ds_read_b128 v[177:180], v140 offset:33312
	ds_read2_b32 v[193:194], v139 offset0:12 offset1:13
	ds_read2_b32 v[195:196], v139 offset0:14 offset1:15
	;; [unrolled: 1-line block ×8, first 2 shown]
	v_lshlrev_b32_e32 v0, 2, v168
	ds_read2_b32 v[203:204], v210 offset0:14 offset1:15
	ds_read_b128 v[34:37], v0 offset:33280
	v_mov_b32_e32 v157, 0
	v_mov_b32_e32 v158, 0
	;; [unrolled: 1-line block ×7, first 2 shown]
	v_or_b32_e32 v150, s14, v94
	v_mov_b32_e32 v154, 0
	v_mov_b32_e32 v156, 0
	s_waitcnt lgkmcnt(11)
	v_dot4c_i32_i8 v136, v41, v141
	s_waitcnt lgkmcnt(9)
	v_dot4c_i32_i8 v157, v193, v141
	;; [unrolled: 2-line block ×4, first 2 shown]
	v_lshlrev_b32_e32 v1, 2, v150
	v_dot4c_i32_i8 v136, v42, v142
	v_dot4c_i32_i8 v157, v194, v142
	;; [unrolled: 1-line block ×4, first 2 shown]
	v_mov_b32_e32 v155, 0
	v_dot4c_i32_i8 v136, v45, v143
	v_dot4c_i32_i8 v157, v195, v143
	;; [unrolled: 1-line block ×3, first 2 shown]
	s_waitcnt lgkmcnt(1)
	v_dot4c_i32_i8 v159, v203, v143
	v_mov_b32_e32 v153, 0
	v_dot4c_i32_i8 v136, v46, v144
	v_dot4c_i32_i8 v157, v196, v144
	;; [unrolled: 1-line block ×4, first 2 shown]
	ds_read_b128 v[141:144], v0 offset:33328
	v_or_b32_e32 v165, s14, v95
	v_mov_b32_e32 v171, 0
	v_mov_b32_e32 v172, 0
	v_mov_b32_e32 v170, 0
	v_mov_b32_e32 v169, 0
	v_lshlrev_b32_e32 v212, 2, v165
	v_or_b32_e32 v145, s14, v96
	v_mov_b32_e32 v148, 0
	v_mov_b32_e32 v151, 0
	v_mov_b32_e32 v149, 0
	v_mov_b32_e32 v147, 0
	v_lshlrev_b32_e32 v38, 2, v145
	;; [unrolled: 6-line block ×3, first 2 shown]
	v_mov_b32_e32 v146, 0
	s_waitcnt lgkmcnt(0)
	v_dot4c_i32_i8 v176, v41, v141
	v_dot4c_i32_i8 v175, v193, v141
	;; [unrolled: 1-line block ×4, first 2 shown]
	v_or_b32_e32 v152, s14, v99
	v_dot4c_i32_i8 v176, v42, v142
	v_dot4c_i32_i8 v175, v194, v142
	;; [unrolled: 1-line block ×4, first 2 shown]
	v_lshlrev_b32_e32 v206, 2, v152
	v_dot4c_i32_i8 v176, v45, v143
	v_dot4c_i32_i8 v175, v195, v143
	;; [unrolled: 1-line block ×4, first 2 shown]
	v_mov_b32_e32 v161, 0
	v_dot4c_i32_i8 v176, v46, v144
	v_dot4c_i32_i8 v175, v196, v144
	;; [unrolled: 1-line block ×4, first 2 shown]
	ds_read_b128 v[141:144], v1 offset:33328
	ds_read_b128 v[181:184], v1 offset:33312
	v_mov_b32_e32 v162, 0
	v_mov_b32_e32 v211, 0
	;; [unrolled: 1-line block ×18, first 2 shown]
	s_waitcnt lgkmcnt(1)
	v_dot4c_i32_i8 v154, v41, v141
	v_dot4c_i32_i8 v156, v193, v141
	v_dot4c_i32_i8 v155, v197, v141
	v_dot4c_i32_i8 v153, v201, v141
	v_mov_b32_e32 v73, 0
	v_dot4c_i32_i8 v154, v42, v142
	v_dot4c_i32_i8 v156, v194, v142
	v_dot4c_i32_i8 v155, v198, v142
	v_dot4c_i32_i8 v153, v202, v142
	v_mov_b32_e32 v79, 0
	;; [unrolled: 5-line block ×3, first 2 shown]
	v_dot4c_i32_i8 v154, v46, v144
	v_dot4c_i32_i8 v156, v196, v144
	;; [unrolled: 1-line block ×4, first 2 shown]
	ds_read_b128 v[141:144], v212 offset:33328
	v_mov_b32_e32 v81, 0
	v_mov_b32_e32 v82, 0
	v_mov_b32_e32 v75, 0
	v_mov_b32_e32 v76, 0
	v_mov_b32_e32 v78, 0
	s_lshr_b32 s1, s0, 1
	s_add_i32 s1, s1, 0xa200
	s_waitcnt lgkmcnt(0)
	v_dot4c_i32_i8 v171, v41, v141
	v_dot4c_i32_i8 v172, v193, v141
	;; [unrolled: 1-line block ×16, first 2 shown]
	ds_read_b128 v[141:144], v38 offset:33328
	ds_read_b128 v[189:192], v38 offset:33312
	s_waitcnt lgkmcnt(1)
	v_dot4c_i32_i8 v148, v41, v141
	v_dot4c_i32_i8 v151, v193, v141
	;; [unrolled: 1-line block ×16, first 2 shown]
	ds_read_b128 v[141:144], v213 offset:33328
	s_waitcnt lgkmcnt(0)
	v_dot4c_i32_i8 v166, v41, v141
	v_dot4c_i32_i8 v167, v193, v141
	;; [unrolled: 1-line block ×4, first 2 shown]
	v_or_b32_e32 v141, s14, v98
	v_dot4c_i32_i8 v166, v42, v142
	v_dot4c_i32_i8 v167, v194, v142
	;; [unrolled: 1-line block ×4, first 2 shown]
	v_lshlrev_b32_e32 v50, 2, v141
	ds_read_b128 v[185:188], v50 offset:33328
	ds_read_b128 v[214:217], v50 offset:33312
	v_dot4c_i32_i8 v166, v45, v143
	v_dot4c_i32_i8 v167, v195, v143
	;; [unrolled: 1-line block ×4, first 2 shown]
	v_mov_b32_e32 v143, 0
	v_dot4c_i32_i8 v166, v46, v144
	v_dot4c_i32_i8 v167, v196, v144
	;; [unrolled: 1-line block ×4, first 2 shown]
	v_mov_b32_e32 v144, 0
	v_mov_b32_e32 v142, 0
	s_waitcnt lgkmcnt(1)
	v_dot4c_i32_i8 v143, v41, v185
	v_dot4c_i32_i8 v146, v193, v185
	;; [unrolled: 1-line block ×16, first 2 shown]
	ds_read_b128 v[185:188], v206 offset:33328
	s_waitcnt lgkmcnt(0)
	v_dot4c_i32_i8 v161, v41, v185
	v_dot4c_i32_i8 v162, v193, v185
	v_mov_b32_e32 v193, 0
	v_mov_b32_e32 v41, 0
	v_dot4c_i32_i8 v161, v42, v186
	v_dot4c_i32_i8 v162, v194, v186
	v_mov_b32_e32 v194, 0
	v_dot4c_i32_i8 v41, v201, v185
	v_mov_b32_e32 v201, 0
	v_dot4c_i32_i8 v161, v45, v187
	v_dot4c_i32_i8 v162, v195, v187
	v_mov_b32_e32 v195, 0
	v_dot4c_i32_i8 v41, v202, v186
	v_mov_b32_e32 v202, 0
	v_dot4c_i32_i8 v161, v46, v188
	ds_read2_b32 v[45:46], v138 offset0:8 offset1:9
	ds_read2_b32 v[240:241], v138 offset0:10 offset1:11
	;; [unrolled: 1-line block ×8, first 2 shown]
	v_dot4c_i32_i8 v162, v196, v188
	v_mov_b32_e32 v196, 0
	v_dot4c_i32_i8 v41, v203, v187
	v_mov_b32_e32 v203, 0
	v_mov_b32_e32 v42, 0
	v_dot4c_i32_i8 v41, v204, v188
	v_mov_b32_e32 v204, 0
	v_dot4c_i32_i8 v42, v197, v185
	v_mov_b32_e32 v197, 0
	v_mov_b32_e32 v185, 0
	s_waitcnt lgkmcnt(7)
	v_dot4c_i32_i8 v193, v45, v177
	v_dot4c_i32_i8 v42, v198, v186
	s_waitcnt lgkmcnt(4)
	v_dot4c_i32_i8 v195, v244, v177
	v_mov_b32_e32 v198, 0
	s_waitcnt lgkmcnt(2)
	v_dot4c_i32_i8 v196, v248, v177
	s_waitcnt lgkmcnt(1)
	v_dot4c_i32_i8 v194, v250, v177
	v_dot4c_i32_i8 v193, v46, v178
	;; [unrolled: 1-line block ×13, first 2 shown]
	v_mov_b32_e32 v199, 0
	v_dot4c_i32_i8 v196, v237, v180
	v_dot4c_i32_i8 v194, v239, v180
	ds_read_b128 v[177:180], v0 offset:33312
	ds_read_b128 v[218:221], v0 offset:33296
	v_mov_b32_e32 v200, 0
	v_mov_b32_e32 v188, 0
	v_mov_b32_e32 v187, 0
	v_mov_b32_e32 v186, 0
	v_dot4c_i32_i8 v185, v250, v181
	v_mov_b32_e32 v0, 0
	v_dot4c_i32_i8 v188, v45, v181
	v_dot4c_i32_i8 v187, v244, v181
	;; [unrolled: 1-line block ×4, first 2 shown]
	v_mov_b32_e32 v181, 0
	v_dot4c_i32_i8 v188, v46, v182
	v_dot4c_i32_i8 v187, v245, v182
	;; [unrolled: 1-line block ×4, first 2 shown]
	v_mov_b32_e32 v182, 0
	v_dot4c_i32_i8 v188, v240, v183
	v_dot4c_i32_i8 v187, v234, v183
	s_waitcnt lgkmcnt(1)
	v_dot4c_i32_i8 v211, v45, v177
	v_dot4c_i32_i8 v208, v244, v177
	;; [unrolled: 1-line block ×19, first 2 shown]
	ds_read_b128 v[177:180], v212 offset:33312
	ds_read_b128 v[222:225], v212 offset:33296
	v_dot4c_i32_i8 v186, v237, v184
	v_dot4c_i32_i8 v185, v239, v184
	v_mov_b32_e32 v184, 0
	v_mov_b32_e32 v183, 0
	v_dot4c_i32_i8 v182, v248, v189
	v_dot4c_i32_i8 v181, v250, v189
	;; [unrolled: 1-line block ×6, first 2 shown]
	v_mov_b32_e32 v189, 0
	v_dot4c_i32_i8 v184, v46, v190
	v_dot4c_i32_i8 v183, v245, v190
	;; [unrolled: 1-line block ×4, first 2 shown]
	v_mov_b32_e32 v190, 0
	v_dot4c_i32_i8 v184, v240, v191
	s_waitcnt lgkmcnt(1)
	v_dot4c_i32_i8 v203, v45, v177
	v_dot4c_i32_i8 v204, v244, v177
	;; [unrolled: 1-line block ×19, first 2 shown]
	ds_read_b128 v[177:180], v213 offset:33312
	ds_read_b128 v[226:229], v213 offset:33296
	v_dot4c_i32_i8 v182, v237, v192
	v_dot4c_i32_i8 v181, v239, v192
	v_mov_b32_e32 v192, 0
	v_mov_b32_e32 v191, 0
	s_waitcnt lgkmcnt(1)
	v_dot4c_i32_i8 v199, v45, v177
	v_dot4c_i32_i8 v200, v244, v177
	v_dot4c_i32_i8 v198, v248, v177
	v_dot4c_i32_i8 v197, v250, v177
	v_mov_b32_e32 v177, 0
	v_dot4c_i32_i8 v199, v46, v178
	v_dot4c_i32_i8 v200, v245, v178
	v_dot4c_i32_i8 v198, v249, v178
	v_dot4c_i32_i8 v197, v251, v178
	v_mov_b32_e32 v178, 0
	;; [unrolled: 5-line block ×4, first 2 shown]
	v_dot4c_i32_i8 v179, v244, v214
	v_dot4c_i32_i8 v178, v248, v214
	;; [unrolled: 1-line block ×16, first 2 shown]
	ds_read_b128 v[214:217], v206 offset:33312
	ds_read_b128 v[230:233], v206 offset:33296
	s_waitcnt lgkmcnt(1)
	v_dot4c_i32_i8 v190, v45, v214
	v_dot4c_i32_i8 v192, v244, v214
	;; [unrolled: 1-line block ×16, first 2 shown]
	ds_read2_b32 v[45:46], v138 offset0:4 offset1:5
	ds_read_b128 v[214:217], v140 offset:33296
	ds_read_b128 v[234:237], v140 offset:33280
	ds_read2_b32 v[244:245], v139 offset0:4 offset1:5
	ds_read2_b32 v[248:249], v139 offset0:2 offset1:3
	;; [unrolled: 1-line block ×7, first 2 shown]
	v_mov_b32_e32 v140, 0
	v_mov_b32_e32 v139, 0
	s_waitcnt lgkmcnt(9)
	v_dot4c_i32_i8 v55, v45, v218
	s_waitcnt lgkmcnt(8)
	v_dot4c_i32_i8 v0, v45, v214
	;; [unrolled: 2-line block ×5, first 2 shown]
	v_dot4c_i32_i8 v56, v244, v218
	v_dot4c_i32_i8 v57, v250, v218
	;; [unrolled: 1-line block ×27, first 2 shown]
	ds_read_b128 v[214:217], v1 offset:33296
	ds_read_b128 v[218:221], v1 offset:33280
	v_mov_b32_e32 v1, 0
	v_dot4c_i32_i8 v65, v45, v222
	v_dot4c_i32_i8 v67, v244, v222
	;; [unrolled: 1-line block ×17, first 2 shown]
	s_waitcnt lgkmcnt(1)
	v_dot4c_i32_i8 v59, v45, v214
	v_dot4c_i32_i8 v1, v244, v214
	;; [unrolled: 1-line block ×19, first 2 shown]
	ds_read_b128 v[214:217], v38 offset:33296
	ds_read_b128 v[222:225], v38 offset:33280
	v_dot4c_i32_i8 v79, v46, v227
	v_dot4c_i32_i8 v80, v245, v227
	;; [unrolled: 1-line block ×4, first 2 shown]
	v_mov_b32_e32 v38, 0
	v_dot4c_i32_i8 v79, v242, v228
	v_dot4c_i32_i8 v80, v246, v228
	;; [unrolled: 1-line block ×8, first 2 shown]
	ds_read_b128 v[226:229], v50 offset:33296
	ds_read_b128 v[238:241], v50 offset:33280
	v_mov_b32_e32 v50, 0
	s_waitcnt lgkmcnt(3)
	v_dot4c_i32_i8 v75, v45, v214
	v_dot4c_i32_i8 v38, v244, v214
	;; [unrolled: 1-line block ×4, first 2 shown]
	v_mov_b32_e32 v214, 0
	v_dot4c_i32_i8 v75, v46, v215
	v_dot4c_i32_i8 v38, v245, v215
	;; [unrolled: 1-line block ×4, first 2 shown]
	v_mov_b32_e32 v215, 0
	v_dot4c_i32_i8 v75, v242, v216
	v_dot4c_i32_i8 v38, v246, v216
	;; [unrolled: 1-line block ×5, first 2 shown]
	s_waitcnt lgkmcnt(1)
	v_dot4c_i32_i8 v214, v45, v226
	v_dot4c_i32_i8 v215, v244, v226
	v_dot4c_i32_i8 v140, v250, v226
	v_dot4c_i32_i8 v139, v71, v226
	v_dot4c_i32_i8 v75, v243, v217
	v_dot4c_i32_i8 v214, v46, v227
	v_dot4c_i32_i8 v215, v245, v227
	v_dot4c_i32_i8 v140, v251, v227
	v_dot4c_i32_i8 v139, v72, v227
	v_dot4c_i32_i8 v38, v247, v217
	v_dot4c_i32_i8 v214, v242, v228
	v_dot4c_i32_i8 v215, v246, v228
	v_dot4c_i32_i8 v140, v254, v228
	v_dot4c_i32_i8 v139, v252, v228
	v_mov_b32_e32 v228, 0
	v_dot4c_i32_i8 v76, v255, v217
	v_dot4c_i32_i8 v78, v253, v217
	;; [unrolled: 1-line block ×3, first 2 shown]
	v_mov_b32_e32 v226, 0
	v_dot4c_i32_i8 v228, v71, v230
	v_mov_b32_e32 v227, 0
	ds_read2_b32 v[45:46], v138 offset1:1
	ds_read2_b32 v[216:217], v138 offset0:2 offset1:3
	v_dot4c_i32_i8 v226, v244, v230
	v_dot4c_i32_i8 v228, v72, v231
	ds_read2_b32 v[71:72], v209 offset1:1
	ds_read2_b32 v[209:210], v210 offset1:1
	v_dot4c_i32_i8 v227, v250, v230
	v_dot4c_i32_i8 v226, v245, v231
	;; [unrolled: 1-line block ×11, first 2 shown]
	v_mov_b32_e32 v229, 0
	v_mov_b32_e32 v230, 0
	v_mov_b32_e32 v231, 0
	v_mov_b32_e32 v232, 0
	v_dot4c_i32_i8 v50, v243, v233
	s_waitcnt lgkmcnt(3)
	v_dot4c_i32_i8 v229, v45, v234
	v_dot4c_i32_i8 v230, v43, v234
	s_waitcnt lgkmcnt(1)
	v_dot4c_i32_i8 v231, v71, v234
	s_waitcnt lgkmcnt(0)
	v_dot4c_i32_i8 v232, v209, v234
	v_dot4c_i32_i8 v226, v247, v233
	;; [unrolled: 1-line block ×8, first 2 shown]
	v_mov_b32_e32 v138, 0
	v_mov_b32_e32 v233, 0
	;; [unrolled: 1-line block ×4, first 2 shown]
	v_dot4c_i32_i8 v229, v216, v236
	v_dot4c_i32_i8 v138, v45, v34
	;; [unrolled: 1-line block ×24, first 2 shown]
	v_mov_b32_e32 v236, 0
	v_mov_b32_e32 v237, 0
	;; [unrolled: 1-line block ×4, first 2 shown]
	ds_read_b128 v[34:37], v212 offset:33280
	v_dot4c_i32_i8 v236, v45, v218
	v_dot4c_i32_i8 v237, v43, v218
	v_dot4c_i32_i8 v242, v71, v218
	v_dot4c_i32_i8 v243, v209, v218
	v_mov_b32_e32 v218, 0
	v_dot4c_i32_i8 v236, v46, v219
	v_dot4c_i32_i8 v237, v44, v219
	v_dot4c_i32_i8 v242, v72, v219
	v_dot4c_i32_i8 v243, v210, v219
	v_mov_b32_e32 v212, 0
	v_dot4c_i32_i8 v236, v216, v220
	v_dot4c_i32_i8 v237, v248, v220
	v_dot4c_i32_i8 v242, v69, v220
	v_dot4c_i32_i8 v243, v47, v220
	v_mov_b32_e32 v219, 0
	v_mov_b32_e32 v220, 0
	v_dot4c_i32_i8 v236, v217, v221
	v_dot4c_i32_i8 v237, v249, v221
	;; [unrolled: 1-line block ×3, first 2 shown]
	s_waitcnt lgkmcnt(0)
	v_dot4c_i32_i8 v218, v45, v34
	v_dot4c_i32_i8 v212, v43, v34
	;; [unrolled: 1-line block ×9, first 2 shown]
	v_mov_b32_e32 v221, 0
	v_dot4c_i32_i8 v218, v216, v36
	v_dot4c_i32_i8 v212, v248, v36
	;; [unrolled: 1-line block ×4, first 2 shown]
	v_mov_b32_e32 v244, 0
	v_dot4c_i32_i8 v218, v217, v37
	v_dot4c_i32_i8 v212, v249, v37
	;; [unrolled: 1-line block ×4, first 2 shown]
	v_mov_b32_e32 v245, 0
	v_mov_b32_e32 v246, 0
	ds_read_b128 v[34:37], v213 offset:33280
	v_dot4c_i32_i8 v221, v45, v222
	v_dot4c_i32_i8 v244, v43, v222
	v_dot4c_i32_i8 v245, v71, v222
	v_dot4c_i32_i8 v246, v209, v222
	v_mov_b32_e32 v222, 0
	v_dot4c_i32_i8 v221, v46, v223
	v_dot4c_i32_i8 v244, v44, v223
	v_dot4c_i32_i8 v245, v72, v223
	v_dot4c_i32_i8 v246, v210, v223
	v_mov_b32_e32 v213, 0
	;; [unrolled: 5-line block ×3, first 2 shown]
	v_mov_b32_e32 v224, 0
	v_dot4c_i32_i8 v221, v217, v225
	v_dot4c_i32_i8 v244, v249, v225
	;; [unrolled: 1-line block ×3, first 2 shown]
	s_waitcnt lgkmcnt(0)
	v_dot4c_i32_i8 v222, v45, v34
	v_dot4c_i32_i8 v213, v43, v34
	;; [unrolled: 1-line block ×9, first 2 shown]
	v_mov_b32_e32 v225, 0
	v_dot4c_i32_i8 v222, v216, v36
	v_dot4c_i32_i8 v213, v248, v36
	v_dot4c_i32_i8 v223, v69, v36
	v_dot4c_i32_i8 v224, v47, v36
	v_mov_b32_e32 v247, 0
	v_dot4c_i32_i8 v222, v217, v37
	v_dot4c_i32_i8 v213, v249, v37
	;; [unrolled: 1-line block ×4, first 2 shown]
	ds_read_b128 v[34:37], v206 offset:33280
	v_mov_b32_e32 v250, 0
	v_mov_b32_e32 v251, 0
	v_dot4c_i32_i8 v225, v45, v238
	v_dot4c_i32_i8 v247, v43, v238
	v_mov_b32_e32 v206, 0
	v_dot4c_i32_i8 v250, v71, v238
	v_dot4c_i32_i8 v251, v209, v238
	;; [unrolled: 1-line block ×4, first 2 shown]
	v_mov_b32_e32 v238, 0
	v_dot4c_i32_i8 v250, v72, v239
	v_dot4c_i32_i8 v251, v210, v239
	v_mov_b32_e32 v239, 0
	v_dot4c_i32_i8 v225, v216, v240
	v_dot4c_i32_i8 v247, v248, v240
	;; [unrolled: 1-line block ×5, first 2 shown]
	s_waitcnt lgkmcnt(0)
	v_dot4c_i32_i8 v239, v71, v34
	v_dot4c_i32_i8 v238, v45, v34
	v_dot4c_i32_i8 v206, v43, v34
	v_dot4c_i32_i8 v251, v48, v241
	v_dot4c_i32_i8 v250, v70, v241
	v_dot4c_i32_i8 v239, v72, v35
	v_mov_b32_e32 v72, 0
	v_dot4c_i32_i8 v238, v46, v35
	v_dot4c_i32_i8 v206, v44, v35
	;; [unrolled: 1-line block ×5, first 2 shown]
	v_add3_u32 v34, s1, v115, v116
	v_dot4c_i32_i8 v238, v216, v36
	v_dot4c_i32_i8 v206, v248, v36
	;; [unrolled: 1-line block ×4, first 2 shown]
	ds_read_b32 v43, v34
	v_lshrrev_b32_e32 v34, 1, v137
	v_dot4c_i32_i8 v238, v217, v37
	v_dot4c_i32_i8 v206, v249, v37
	;; [unrolled: 1-line block ×3, first 2 shown]
	ds_read_b64 v[34:35], v34 offset:43584
	v_dot4c_i32_i8 v72, v48, v37
	s_waitcnt lgkmcnt(1)
	v_bfe_i32 v137, v43, 8, 8
	v_bfe_i32 v209, v43, 0, 8
	v_mul_lo_u32 v36, v55, v137
	v_ashrrev_i32_e32 v55, 24, v43
	v_mad_u64_u32 v[36:37], null, v138, v209, v[36:37]
	v_mul_lo_u32 v37, v176, v55
	v_bfe_i32 v138, v43, 16, 8
	v_mad_u64_u32 v[43:44], null, v211, v138, v[37:38]
	v_add3_u32 v37, s1, v117, v112
	ds_read_b32 v46, v37
	v_cvt_f32_i32_e32 v43, v43
	s_waitcnt lgkmcnt(0)
	v_bfe_i32 v176, v46, 8, 8
	v_bfe_i32 v210, v46, 0, 8
	;; [unrolled: 1-line block ×3, first 2 shown]
	v_mul_lo_u32 v37, v56, v176
	v_ashrrev_i32_e32 v56, 24, v46
	v_mad_u64_u32 v[44:45], null, v233, v210, v[37:38]
	v_mul_lo_u32 v37, v175, v56
	v_cvt_f32_i32_e32 v44, v44
	v_mad_u64_u32 v[45:46], null, v208, v211, v[37:38]
	v_add3_u32 v37, s1, v118, v113
	ds_read_b32 v48, v37
	v_cvt_f32_i32_e32 v45, v45
	s_waitcnt lgkmcnt(0)
	v_bfe_i32 v175, v48, 8, 8
	v_bfe_i32 v208, v48, 0, 8
	;; [unrolled: 1-line block ×3, first 2 shown]
	v_mul_lo_u32 v37, v57, v175
	v_ashrrev_i32_e32 v57, 24, v48
	v_mad_u64_u32 v[46:47], null, v234, v208, v[37:38]
	v_mul_lo_u32 v37, v174, v57
	v_cvt_f32_i32_e32 v46, v46
	v_mad_u64_u32 v[47:48], null, v207, v216, v[37:38]
	v_add3_u32 v37, s1, v119, v114
	s_add_i32 s1, s0, 8
	s_cmp_lt_u32 s0, 24
	s_mov_b32 s0, s1
	ds_read_b32 v48, v37
	v_cvt_f32_i32_e32 v47, v47
	s_waitcnt lgkmcnt(0)
	v_bfe_i32 v174, v48, 8, 8
	v_bfe_i32 v207, v48, 0, 8
	;; [unrolled: 1-line block ×3, first 2 shown]
	v_mul_lo_u32 v37, v58, v174
	v_ashrrev_i32_e32 v58, 24, v48
	v_cvt_f32_i32_e32 v48, v36
	v_lshrrev_b32_e32 v36, 1, v168
	v_mad_u64_u32 v[69:70], null, v235, v207, v[37:38]
	v_mul_lo_u32 v37, v173, v58
	v_cvt_f32_i32_e32 v69, v69
	v_mad_u64_u32 v[70:71], null, v205, v217, v[37:38]
	ds_read_b64 v[36:37], v36 offset:43584
	v_cvt_f32_i32_e32 v70, v70
	s_waitcnt lgkmcnt(0)
	v_fma_f32 v168, v36, v48, 0
	v_fma_f32 v173, v36, v44, 0
	;; [unrolled: 1-line block ×4, first 2 shown]
	v_mul_lo_u32 v36, v229, v209
	v_fmac_f32_e32 v168, v37, v43
	v_fmac_f32_e32 v173, v37, v45
	;; [unrolled: 1-line block ×6, first 2 shown]
	v_mad_u64_u32 v[36:37], null, v0, v137, v[36:37]
	v_mul_lo_u32 v37, v193, v138
	v_fmac_f32_e32 v26, v122, v205
	v_fmac_f32_e32 v22, v123, v233
	v_cvt_f32_i32_e32 v0, v36
	v_mad_u64_u32 v[43:44], null, v136, v55, v[37:38]
	v_mul_lo_u32 v37, v230, v210
	v_fma_f32 v0, v34, v0, 0
	v_cvt_f32_i32_e32 v36, v43
	v_mad_u64_u32 v[44:45], null, v51, v176, v[37:38]
	v_mul_lo_u32 v37, v195, v211
	v_fmac_f32_e32 v0, v35, v36
	v_fma_f32 v3, v124, v0, v3
	v_mad_u64_u32 v[45:46], null, v157, v56, v[37:38]
	v_mul_lo_u32 v37, v231, v208
	v_cvt_f32_i32_e32 v43, v45
	v_mad_u64_u32 v[46:47], null, v52, v175, v[37:38]
	v_mul_lo_u32 v37, v196, v216
	v_mad_u64_u32 v[47:48], null, v158, v57, v[37:38]
	v_mul_lo_u32 v37, v232, v207
	v_cvt_f32_i32_e32 v45, v47
	v_mad_u64_u32 v[69:70], null, v53, v174, v[37:38]
	v_mul_lo_u32 v37, v194, v217
	v_mad_u64_u32 v[70:71], null, v159, v58, v[37:38]
	v_cvt_f32_i32_e32 v37, v44
	v_cvt_f32_i32_e32 v44, v46
	;; [unrolled: 1-line block ×3, first 2 shown]
	v_fma_f32 v51, v34, v37, 0
	v_fma_f32 v52, v34, v44, 0
	;; [unrolled: 1-line block ×3, first 2 shown]
	v_mul_lo_u32 v34, v65, v137
	v_cvt_f32_i32_e32 v47, v70
	v_fmac_f32_e32 v51, v35, v43
	v_fmac_f32_e32 v52, v35, v45
	;; [unrolled: 1-line block ×3, first 2 shown]
	v_fma_f32 v31, v127, v51, v31
	v_mad_u64_u32 v[34:35], null, v218, v209, v[34:35]
	v_mul_lo_u32 v35, v171, v55
	v_fma_f32 v27, v130, v52, v27
	v_fma_f32 v23, v133, v53, v23
	v_mad_u64_u32 v[35:36], null, v203, v138, v[35:36]
	v_mul_lo_u32 v36, v67, v176
	v_mad_u64_u32 v[36:37], null, v212, v210, v[36:37]
	v_mul_lo_u32 v37, v172, v56
	v_cvt_f32_i32_e32 v36, v36
	v_mad_u64_u32 v[43:44], null, v204, v211, v[37:38]
	v_mul_lo_u32 v37, v68, v175
	v_cvt_f32_i32_e32 v43, v43
	;; [unrolled: 3-line block ×5, first 2 shown]
	v_mad_u64_u32 v[47:48], null, v201, v217, v[37:38]
	v_cvt_f32_i32_e32 v37, v34
	v_lshrrev_b32_e32 v34, 1, v165
	v_cvt_f32_i32_e32 v48, v35
	ds_read_b64 v[34:35], v34 offset:43584
	v_cvt_f32_i32_e32 v47, v47
	s_waitcnt lgkmcnt(0)
	v_fma_f32 v65, v34, v37, 0
	v_fma_f32 v67, v34, v36, 0
	;; [unrolled: 1-line block ×4, first 2 shown]
	v_mul_lo_u32 v34, v236, v209
	v_fmac_f32_e32 v65, v35, v48
	v_fmac_f32_e32 v67, v35, v43
	;; [unrolled: 1-line block ×4, first 2 shown]
	v_fma_f32 v4, v125, v65, v4
	v_fma_f32 v32, v128, v67, v32
	v_mad_u64_u32 v[34:35], null, v59, v137, v[34:35]
	v_mul_lo_u32 v35, v188, v138
	v_fma_f32 v28, v131, v68, v28
	v_fma_f32 v24, v134, v69, v24
	v_mad_u64_u32 v[35:36], null, v154, v55, v[35:36]
	v_mul_lo_u32 v36, v237, v210
	v_mad_u64_u32 v[36:37], null, v1, v176, v[36:37]
	v_mul_lo_u32 v37, v187, v211
	v_cvt_f32_i32_e32 v1, v34
	v_lshrrev_b32_e32 v34, 1, v150
	v_cvt_f32_i32_e32 v36, v36
	v_mad_u64_u32 v[43:44], null, v156, v56, v[37:38]
	v_mul_lo_u32 v37, v242, v208
	v_cvt_f32_i32_e32 v43, v43
	v_mad_u64_u32 v[44:45], null, v61, v175, v[37:38]
	v_mul_lo_u32 v37, v186, v216
	;; [unrolled: 3-line block ×4, first 2 shown]
	v_cvt_f32_i32_e32 v46, v46
	v_mad_u64_u32 v[47:48], null, v153, v58, v[37:38]
	v_cvt_f32_i32_e32 v37, v35
	ds_read_b64 v[34:35], v34 offset:43584
	v_cvt_f32_i32_e32 v47, v47
	s_waitcnt lgkmcnt(0)
	v_fma_f32 v1, v34, v1, 0
	v_fma_f32 v59, v34, v36, 0
	;; [unrolled: 1-line block ×4, first 2 shown]
	v_mul_lo_u32 v34, v79, v137
	v_fmac_f32_e32 v1, v35, v37
	v_fmac_f32_e32 v59, v35, v43
	;; [unrolled: 1-line block ×4, first 2 shown]
	v_fma_f32 v5, v126, v1, v5
	v_fma_f32 v33, v129, v59, v33
	v_mad_u64_u32 v[34:35], null, v222, v209, v[34:35]
	v_mul_lo_u32 v35, v166, v55
	v_fma_f32 v29, v132, v61, v29
	v_fma_f32 v25, v135, v63, v25
	v_mad_u64_u32 v[35:36], null, v199, v138, v[35:36]
	v_mul_lo_u32 v36, v80, v176
	v_mad_u64_u32 v[36:37], null, v213, v210, v[36:37]
	v_mul_lo_u32 v37, v167, v56
	v_cvt_f32_i32_e32 v36, v36
	v_mad_u64_u32 v[43:44], null, v200, v211, v[37:38]
	v_mul_lo_u32 v37, v81, v175
	v_cvt_f32_i32_e32 v43, v43
	v_mad_u64_u32 v[44:45], null, v223, v208, v[37:38]
	v_mul_lo_u32 v37, v164, v57
	v_cvt_f32_i32_e32 v44, v44
	v_mad_u64_u32 v[45:46], null, v198, v216, v[37:38]
	v_mul_lo_u32 v37, v82, v174
	v_cvt_f32_i32_e32 v45, v45
	v_mad_u64_u32 v[46:47], null, v224, v207, v[37:38]
	v_mul_lo_u32 v37, v163, v58
	v_cvt_f32_i32_e32 v46, v46
	v_mad_u64_u32 v[47:48], null, v197, v217, v[37:38]
	v_cvt_f32_i32_e32 v37, v34
	v_lshrrev_b32_e32 v34, 1, v160
	v_cvt_f32_i32_e32 v48, v35
	ds_read_b64 v[34:35], v34 offset:43584
	v_cvt_f32_i32_e32 v47, v47
	s_waitcnt lgkmcnt(0)
	v_fma_f32 v70, v34, v37, 0
	v_fma_f32 v71, v34, v36, 0
	;; [unrolled: 1-line block ×4, first 2 shown]
	v_mul_lo_u32 v34, v221, v209
	v_fmac_f32_e32 v70, v35, v48
	v_fmac_f32_e32 v71, v35, v43
	;; [unrolled: 1-line block ×6, first 2 shown]
	v_mad_u64_u32 v[34:35], null, v75, v137, v[34:35]
	v_mul_lo_u32 v35, v184, v138
	v_fmac_f32_e32 v10, v122, v73
	v_fmac_f32_e32 v6, v123, v79
	v_mad_u64_u32 v[35:36], null, v148, v55, v[35:36]
	v_mul_lo_u32 v36, v244, v210
	v_mad_u64_u32 v[36:37], null, v38, v176, v[36:37]
	v_mul_lo_u32 v37, v183, v211
	v_cvt_f32_i32_e32 v36, v36
	v_mad_u64_u32 v[43:44], null, v151, v56, v[37:38]
	v_mul_lo_u32 v37, v245, v208
	v_cvt_f32_i32_e32 v43, v43
	v_mad_u64_u32 v[44:45], null, v76, v175, v[37:38]
	v_mul_lo_u32 v37, v182, v216
	v_cvt_f32_i32_e32 v44, v44
	v_mad_u64_u32 v[45:46], null, v149, v57, v[37:38]
	v_mul_lo_u32 v37, v246, v207
	v_cvt_f32_i32_e32 v45, v45
	v_mad_u64_u32 v[46:47], null, v78, v174, v[37:38]
	v_mul_lo_u32 v37, v181, v217
	v_cvt_f32_i32_e32 v46, v46
	v_mad_u64_u32 v[47:48], null, v147, v58, v[37:38]
	v_cvt_f32_i32_e32 v37, v34
	v_lshrrev_b32_e32 v34, 1, v145
	v_cvt_f32_i32_e32 v38, v35
	ds_read_b64 v[34:35], v34 offset:43584
	v_cvt_f32_i32_e32 v47, v47
	s_waitcnt lgkmcnt(0)
	v_fma_f32 v48, v34, v37, 0
	v_fma_f32 v75, v34, v44, 0
	v_fma_f32 v76, v34, v46, 0
	v_fmac_f32_e32 v48, v35, v38
	v_fma_f32 v38, v34, v36, 0
	v_mul_lo_u32 v34, v50, v137
	v_fmac_f32_e32 v75, v35, v45
	v_fmac_f32_e32 v76, v35, v47
	v_fma_f32 v19, v124, v48, v19
	v_fmac_f32_e32 v38, v35, v43
	v_fma_f32 v11, v130, v75, v11
	v_fma_f32 v7, v133, v76, v7
	v_mad_u64_u32 v[34:35], null, v238, v209, v[34:35]
	v_mul_lo_u32 v35, v161, v55
	v_fma_f32 v15, v127, v38, v15
	v_mad_u64_u32 v[35:36], null, v190, v138, v[35:36]
	v_mul_lo_u32 v36, v226, v176
	v_mad_u64_u32 v[36:37], null, v206, v210, v[36:37]
	v_mul_lo_u32 v37, v162, v56
	v_cvt_f32_i32_e32 v36, v36
	v_mad_u64_u32 v[43:44], null, v192, v211, v[37:38]
	v_mul_lo_u32 v37, v227, v175
	v_cvt_f32_i32_e32 v43, v43
	;; [unrolled: 3-line block ×5, first 2 shown]
	v_mad_u64_u32 v[41:42], null, v189, v217, v[37:38]
	v_cvt_f32_i32_e32 v37, v34
	v_lshrrev_b32_e32 v34, 1, v152
	v_cvt_f32_i32_e32 v42, v35
	ds_read_b64 v[34:35], v34 offset:43584
	v_cvt_f32_i32_e32 v41, v41
	s_waitcnt lgkmcnt(0)
	v_fma_f32 v47, v34, v37, 0
	v_fma_f32 v50, v34, v36, 0
	;; [unrolled: 1-line block ×4, first 2 shown]
	v_mul_lo_u32 v34, v225, v209
	v_fmac_f32_e32 v47, v35, v42
	v_fmac_f32_e32 v50, v35, v43
	;; [unrolled: 1-line block ×4, first 2 shown]
	v_fma_f32 v20, v125, v47, v20
	v_fma_f32 v16, v128, v50, v16
	v_mad_u64_u32 v[34:35], null, v214, v137, v[34:35]
	v_mul_lo_u32 v35, v180, v138
	v_fma_f32 v12, v131, v72, v12
	v_fma_f32 v8, v134, v78, v8
	v_mad_u64_u32 v[35:36], null, v143, v55, v[35:36]
	v_mul_lo_u32 v36, v247, v210
	v_mad_u64_u32 v[36:37], null, v215, v176, v[36:37]
	v_mul_lo_u32 v37, v179, v211
	v_cvt_f32_i32_e32 v36, v36
	v_mad_u64_u32 v[41:42], null, v146, v56, v[37:38]
	v_mul_lo_u32 v37, v250, v208
	v_cvt_f32_i32_e32 v41, v41
	;; [unrolled: 3-line block ×5, first 2 shown]
	v_mad_u64_u32 v[45:46], null, v142, v58, v[37:38]
	v_cvt_f32_i32_e32 v37, v34
	v_lshrrev_b32_e32 v34, 1, v141
	v_cvt_f32_i32_e32 v46, v35
	ds_read_b64 v[34:35], v34 offset:43584
	v_cvt_f32_i32_e32 v45, v45
	s_waitcnt lgkmcnt(0)
	v_fma_f32 v36, v34, v36, 0
	v_fma_f32 v37, v34, v37, 0
	v_fmac_f32_e32 v36, v35, v41
	v_fma_f32 v41, v34, v42, 0
	v_fma_f32 v34, v34, v44, 0
	v_fmac_f32_e32 v37, v35, v46
	v_fma_f32 v17, v129, v36, v17
	v_fmac_f32_e32 v41, v35, v43
	v_fmac_f32_e32 v34, v35, v45
	v_fma_f32 v21, v126, v37, v21
	v_fma_f32 v13, v132, v41, v13
	;; [unrolled: 1-line block ×3, first 2 shown]
	s_cbranch_scc1 .LBB135_8
; %bb.9:                                ;   in Loop: Header=BB135_5 Depth=1
	s_barrier
	buffer_gl0_inv
	buffer_load_dword v1, off, s[20:23], 0 offset:120 ; 4-byte Folded Reload
	v_mov_b32_e32 v76, v84
	v_mov_b32_e32 v78, v85
	;; [unrolled: 1-line block ×7, first 2 shown]
	s_add_i32 s11, s11, 1
	s_cmp_eq_u32 s11, s4
	s_cbranch_scc0 .LBB135_5
; %bb.10:
	s_clause 0x1
	buffer_load_dword v34, off, s[20:23], 0 offset:128
	buffer_load_dword v0, off, s[20:23], 0 offset:124
.LBB135_11:
	s_mov_b32 s0, exec_lo
	s_waitcnt vmcnt(1)
	v_cmpx_gt_u32_e64 s8, v34
	s_cbranch_execz .LBB135_62
; %bb.12:
	s_waitcnt vmcnt(0)
	v_add_nc_u32_e32 v0, s6, v0
	v_mul_lo_u32 v34, v34, s10
	v_cmp_gt_u32_e32 vcc_lo, s10, v0
	s_and_saveexec_b32 s1, vcc_lo
	s_cbranch_execz .LBB135_14
; %bb.13:
	v_add_nc_u32_e32 v35, v0, v34
	v_mov_b32_e32 v36, 0
	v_lshlrev_b64 v[35:36], 2, v[35:36]
	s_waitcnt lgkmcnt(0)
	v_add_co_u32 v35, s0, s12, v35
	v_add_co_ci_u32_e64 v36, null, s13, v36, s0
	global_store_dword v[35:36], v3, off
.LBB135_14:
	s_or_b32 exec_lo, exec_lo, s1
	v_add_nc_u32_e32 v3, 32, v0
	v_cmp_gt_u32_e64 s0, s10, v3
	s_and_saveexec_b32 s2, s0
	s_cbranch_execz .LBB135_16
; %bb.15:
	v_add_nc_u32_e32 v35, v3, v34
	v_mov_b32_e32 v36, 0
	v_lshlrev_b64 v[35:36], 2, v[35:36]
	s_waitcnt lgkmcnt(0)
	v_add_co_u32 v35, s1, s12, v35
	v_add_co_ci_u32_e64 v36, null, s13, v36, s1
	global_store_dword v[35:36], v31, off
.LBB135_16:
	s_or_b32 exec_lo, exec_lo, s2
	v_add_nc_u32_e32 v31, 64, v0
	v_cmp_gt_u32_e64 s1, s10, v31
	s_and_saveexec_b32 s3, s1
	;; [unrolled: 14-line block ×3, first 2 shown]
	s_cbranch_execz .LBB135_20
; %bb.19:
	v_add_nc_u32_e32 v34, v27, v34
	v_mov_b32_e32 v35, 0
	v_lshlrev_b64 v[34:35], 2, v[34:35]
	s_waitcnt lgkmcnt(0)
	v_add_co_u32 v34, s3, s12, v34
	v_add_co_ci_u32_e64 v35, null, s13, v35, s3
	global_store_dword v[34:35], v23, off
.LBB135_20:
	s_or_b32 exec_lo, exec_lo, s4
	v_add3_u32 v23, v1, s7, 8
	v_cmp_gt_u32_e64 s3, s8, v23
	s_and_b32 exec_lo, exec_lo, s3
	s_cbranch_execz .LBB135_62
; %bb.21:
	v_mul_lo_u32 v23, v23, s10
	s_and_saveexec_b32 s4, vcc_lo
	s_cbranch_execnz .LBB135_63
; %bb.22:
	s_or_b32 exec_lo, exec_lo, s4
	s_and_saveexec_b32 s4, s0
	s_cbranch_execnz .LBB135_64
.LBB135_23:
	s_or_b32 exec_lo, exec_lo, s4
	s_and_saveexec_b32 s4, s1
	s_cbranch_execnz .LBB135_65
.LBB135_24:
	s_or_b32 exec_lo, exec_lo, s4
	s_and_saveexec_b32 s4, s2
	s_cbranch_execz .LBB135_26
.LBB135_25:
	v_add_nc_u32_e32 v34, v23, v27
	v_mov_b32_e32 v35, 0
	v_lshlrev_b64 v[34:35], 2, v[34:35]
	s_waitcnt lgkmcnt(0)
	v_add_co_u32 v34, s3, s12, v34
	v_add_co_ci_u32_e64 v35, null, s13, v35, s3
	global_store_dword v[34:35], v22, off
.LBB135_26:
	s_or_b32 exec_lo, exec_lo, s4
	v_add3_u32 v2, v1, s7, 16
	v_cmp_gt_u32_e64 s3, s8, v2
	s_and_b32 exec_lo, exec_lo, s3
	s_cbranch_execz .LBB135_62
; %bb.27:
	v_mul_lo_u32 v2, v2, s10
	s_and_saveexec_b32 s4, vcc_lo
	s_cbranch_execnz .LBB135_66
; %bb.28:
	s_or_b32 exec_lo, exec_lo, s4
	s_and_saveexec_b32 s4, s0
	s_cbranch_execnz .LBB135_67
.LBB135_29:
	s_or_b32 exec_lo, exec_lo, s4
	s_and_saveexec_b32 s4, s1
	s_cbranch_execnz .LBB135_68
.LBB135_30:
	s_or_b32 exec_lo, exec_lo, s4
	s_and_saveexec_b32 s4, s2
	s_cbranch_execz .LBB135_32
.LBB135_31:
	v_add_nc_u32_e32 v22, v2, v27
	v_mov_b32_e32 v23, 0
	v_lshlrev_b64 v[22:23], 2, v[22:23]
	s_waitcnt lgkmcnt(0)
	v_add_co_u32 v22, s3, s12, v22
	v_add_co_ci_u32_e64 v23, null, s13, v23, s3
	global_store_dword v[22:23], v25, off
.LBB135_32:
	s_or_b32 exec_lo, exec_lo, s4
	v_add3_u32 v2, v1, s7, 24
	v_cmp_gt_u32_e64 s3, s8, v2
	s_and_b32 exec_lo, exec_lo, s3
	s_cbranch_execz .LBB135_62
; %bb.33:
	v_mul_lo_u32 v2, v2, s10
	s_and_saveexec_b32 s4, vcc_lo
	s_cbranch_execnz .LBB135_69
; %bb.34:
	s_or_b32 exec_lo, exec_lo, s4
	s_and_saveexec_b32 s4, s0
	s_cbranch_execnz .LBB135_70
.LBB135_35:
	s_or_b32 exec_lo, exec_lo, s4
	s_and_saveexec_b32 s4, s1
	s_cbranch_execnz .LBB135_71
.LBB135_36:
	s_or_b32 exec_lo, exec_lo, s4
	s_and_saveexec_b32 s4, s2
	s_cbranch_execz .LBB135_38
.LBB135_37:
	v_add_nc_u32_e32 v4, v2, v27
	v_mov_b32_e32 v5, 0
	v_lshlrev_b64 v[4:5], 2, v[4:5]
	s_waitcnt lgkmcnt(0)
	v_add_co_u32 v4, s3, s12, v4
	v_add_co_ci_u32_e64 v5, null, s13, v5, s3
	global_store_dword v[4:5], v24, off
.LBB135_38:
	s_or_b32 exec_lo, exec_lo, s4
	v_add3_u32 v2, v1, s7, 32
	v_cmp_gt_u32_e64 s3, s8, v2
	s_and_b32 exec_lo, exec_lo, s3
	s_cbranch_execz .LBB135_62
; %bb.39:
	v_mul_lo_u32 v2, v2, s10
	s_and_saveexec_b32 s4, vcc_lo
	s_cbranch_execnz .LBB135_72
; %bb.40:
	s_or_b32 exec_lo, exec_lo, s4
	s_and_saveexec_b32 s4, s0
	s_cbranch_execnz .LBB135_73
.LBB135_41:
	s_or_b32 exec_lo, exec_lo, s4
	s_and_saveexec_b32 s4, s1
	s_cbranch_execnz .LBB135_74
.LBB135_42:
	s_or_b32 exec_lo, exec_lo, s4
	s_and_saveexec_b32 s4, s2
	s_cbranch_execz .LBB135_44
.LBB135_43:
	v_add_nc_u32_e32 v4, v2, v27
	v_mov_b32_e32 v5, 0
	v_lshlrev_b64 v[4:5], 2, v[4:5]
	s_waitcnt lgkmcnt(0)
	v_add_co_u32 v4, s3, s12, v4
	v_add_co_ci_u32_e64 v5, null, s13, v5, s3
	global_store_dword v[4:5], v7, off
.LBB135_44:
	s_or_b32 exec_lo, exec_lo, s4
	v_add3_u32 v2, v1, s7, 40
	v_cmp_gt_u32_e64 s3, s8, v2
	s_and_b32 exec_lo, exec_lo, s3
	s_cbranch_execz .LBB135_62
; %bb.45:
	v_mul_lo_u32 v2, v2, s10
	s_and_saveexec_b32 s4, vcc_lo
	s_cbranch_execnz .LBB135_75
; %bb.46:
	s_or_b32 exec_lo, exec_lo, s4
	s_and_saveexec_b32 s4, s0
	s_cbranch_execnz .LBB135_76
.LBB135_47:
	s_or_b32 exec_lo, exec_lo, s4
	s_and_saveexec_b32 s4, s1
	s_cbranch_execnz .LBB135_77
.LBB135_48:
	s_or_b32 exec_lo, exec_lo, s4
	s_and_saveexec_b32 s4, s2
	s_cbranch_execz .LBB135_50
.LBB135_49:
	v_add_nc_u32_e32 v4, v2, v27
	v_mov_b32_e32 v5, 0
	v_lshlrev_b64 v[4:5], 2, v[4:5]
	s_waitcnt lgkmcnt(0)
	v_add_co_u32 v4, s3, s12, v4
	v_add_co_ci_u32_e64 v5, null, s13, v5, s3
	global_store_dword v[4:5], v6, off
.LBB135_50:
	s_or_b32 exec_lo, exec_lo, s4
	v_add3_u32 v2, v1, s7, 48
	v_cmp_gt_u32_e64 s3, s8, v2
	s_and_b32 exec_lo, exec_lo, s3
	s_cbranch_execz .LBB135_62
; %bb.51:
	v_mul_lo_u32 v2, v2, s10
	s_and_saveexec_b32 s4, vcc_lo
	s_cbranch_execnz .LBB135_78
; %bb.52:
	s_or_b32 exec_lo, exec_lo, s4
	s_and_saveexec_b32 s4, s0
	s_cbranch_execnz .LBB135_79
.LBB135_53:
	s_or_b32 exec_lo, exec_lo, s4
	s_and_saveexec_b32 s4, s1
	s_cbranch_execnz .LBB135_80
.LBB135_54:
	s_or_b32 exec_lo, exec_lo, s4
	s_and_saveexec_b32 s4, s2
	s_cbranch_execz .LBB135_56
.LBB135_55:
	v_add_nc_u32_e32 v4, v2, v27
	v_mov_b32_e32 v5, 0
	v_lshlrev_b64 v[4:5], 2, v[4:5]
	s_waitcnt lgkmcnt(0)
	v_add_co_u32 v4, s3, s12, v4
	v_add_co_ci_u32_e64 v5, null, s13, v5, s3
	global_store_dword v[4:5], v9, off
.LBB135_56:
	s_or_b32 exec_lo, exec_lo, s4
	v_add3_u32 v1, v1, s7, 56
	v_cmp_gt_u32_e64 s3, s8, v1
	s_and_b32 exec_lo, exec_lo, s3
	s_cbranch_execz .LBB135_62
; %bb.57:
	v_mul_lo_u32 v1, v1, s10
	s_and_saveexec_b32 s3, vcc_lo
	s_cbranch_execnz .LBB135_81
; %bb.58:
	s_or_b32 exec_lo, exec_lo, s3
	s_and_saveexec_b32 s3, s0
	s_cbranch_execnz .LBB135_82
.LBB135_59:
	s_or_b32 exec_lo, exec_lo, s3
	s_and_saveexec_b32 s0, s1
	s_cbranch_execnz .LBB135_83
.LBB135_60:
	s_or_b32 exec_lo, exec_lo, s0
	s_and_b32 exec_lo, exec_lo, s2
	s_cbranch_execz .LBB135_62
.LBB135_61:
	v_add_nc_u32_e32 v0, v1, v27
	v_mov_b32_e32 v1, 0
	v_lshlrev_b64 v[0:1], 2, v[0:1]
	s_waitcnt lgkmcnt(0)
	v_add_co_u32 v0, vcc_lo, s12, v0
	v_add_co_ci_u32_e64 v1, null, s13, v1, vcc_lo
	global_store_dword v[0:1], v8, off
.LBB135_62:
	s_endpgm
.LBB135_63:
	v_add_nc_u32_e32 v34, v23, v0
	v_mov_b32_e32 v35, 0
	v_lshlrev_b64 v[34:35], 2, v[34:35]
	s_waitcnt lgkmcnt(0)
	v_add_co_u32 v34, s3, s12, v34
	v_add_co_ci_u32_e64 v35, null, s13, v35, s3
	global_store_dword v[34:35], v2, off
	s_or_b32 exec_lo, exec_lo, s4
	s_and_saveexec_b32 s4, s0
	s_cbranch_execz .LBB135_23
.LBB135_64:
	v_add_nc_u32_e32 v34, v23, v3
	v_mov_b32_e32 v35, 0
	v_lshlrev_b64 v[34:35], 2, v[34:35]
	s_waitcnt lgkmcnt(0)
	v_add_co_u32 v34, s3, s12, v34
	v_add_co_ci_u32_e64 v35, null, s13, v35, s3
	global_store_dword v[34:35], v30, off
	s_or_b32 exec_lo, exec_lo, s4
	s_and_saveexec_b32 s4, s1
	s_cbranch_execz .LBB135_24
.LBB135_65:
	v_add_nc_u32_e32 v34, v23, v31
	v_mov_b32_e32 v35, 0
	v_lshlrev_b64 v[34:35], 2, v[34:35]
	s_waitcnt lgkmcnt(0)
	v_add_co_u32 v34, s3, s12, v34
	v_add_co_ci_u32_e64 v35, null, s13, v35, s3
	global_store_dword v[34:35], v26, off
	s_or_b32 exec_lo, exec_lo, s4
	s_and_saveexec_b32 s4, s2
	s_cbranch_execnz .LBB135_25
	s_branch .LBB135_26
.LBB135_66:
	v_add_nc_u32_e32 v22, v2, v0
	v_mov_b32_e32 v23, 0
	v_lshlrev_b64 v[22:23], 2, v[22:23]
	s_waitcnt lgkmcnt(0)
	v_add_co_u32 v22, s3, s12, v22
	v_add_co_ci_u32_e64 v23, null, s13, v23, s3
	global_store_dword v[22:23], v5, off
	s_or_b32 exec_lo, exec_lo, s4
	s_and_saveexec_b32 s4, s0
	s_cbranch_execz .LBB135_29
.LBB135_67:
	v_add_nc_u32_e32 v22, v2, v3
	v_mov_b32_e32 v23, 0
	v_lshlrev_b64 v[22:23], 2, v[22:23]
	s_waitcnt lgkmcnt(0)
	v_add_co_u32 v22, s3, s12, v22
	v_add_co_ci_u32_e64 v23, null, s13, v23, s3
	global_store_dword v[22:23], v33, off
	s_or_b32 exec_lo, exec_lo, s4
	s_and_saveexec_b32 s4, s1
	s_cbranch_execz .LBB135_30
.LBB135_68:
	v_add_nc_u32_e32 v22, v2, v31
	v_mov_b32_e32 v23, 0
	v_lshlrev_b64 v[22:23], 2, v[22:23]
	s_waitcnt lgkmcnt(0)
	v_add_co_u32 v22, s3, s12, v22
	v_add_co_ci_u32_e64 v23, null, s13, v23, s3
	global_store_dword v[22:23], v29, off
	s_or_b32 exec_lo, exec_lo, s4
	s_and_saveexec_b32 s4, s2
	s_cbranch_execnz .LBB135_31
	s_branch .LBB135_32
.LBB135_69:
	v_add_nc_u32_e32 v22, v2, v0
	v_mov_b32_e32 v23, 0
	v_lshlrev_b64 v[22:23], 2, v[22:23]
	s_waitcnt lgkmcnt(0)
	v_add_co_u32 v22, s3, s12, v22
	v_add_co_ci_u32_e64 v23, null, s13, v23, s3
	global_store_dword v[22:23], v4, off
	s_or_b32 exec_lo, exec_lo, s4
	s_and_saveexec_b32 s4, s0
	s_cbranch_execz .LBB135_35
.LBB135_70:
	v_add_nc_u32_e32 v4, v2, v3
	v_mov_b32_e32 v5, 0
	v_lshlrev_b64 v[4:5], 2, v[4:5]
	s_waitcnt lgkmcnt(0)
	v_add_co_u32 v4, s3, s12, v4
	v_add_co_ci_u32_e64 v5, null, s13, v5, s3
	global_store_dword v[4:5], v32, off
	s_or_b32 exec_lo, exec_lo, s4
	s_and_saveexec_b32 s4, s1
	s_cbranch_execz .LBB135_36
.LBB135_71:
	v_add_nc_u32_e32 v4, v2, v31
	v_mov_b32_e32 v5, 0
	v_lshlrev_b64 v[4:5], 2, v[4:5]
	s_waitcnt lgkmcnt(0)
	v_add_co_u32 v4, s3, s12, v4
	v_add_co_ci_u32_e64 v5, null, s13, v5, s3
	global_store_dword v[4:5], v28, off
	s_or_b32 exec_lo, exec_lo, s4
	s_and_saveexec_b32 s4, s2
	s_cbranch_execnz .LBB135_37
	s_branch .LBB135_38
.LBB135_72:
	v_add_nc_u32_e32 v4, v2, v0
	v_mov_b32_e32 v5, 0
	v_lshlrev_b64 v[4:5], 2, v[4:5]
	s_waitcnt lgkmcnt(0)
	v_add_co_u32 v4, s3, s12, v4
	v_add_co_ci_u32_e64 v5, null, s13, v5, s3
	global_store_dword v[4:5], v19, off
	s_or_b32 exec_lo, exec_lo, s4
	s_and_saveexec_b32 s4, s0
	s_cbranch_execz .LBB135_41
.LBB135_73:
	v_add_nc_u32_e32 v4, v2, v3
	v_mov_b32_e32 v5, 0
	v_lshlrev_b64 v[4:5], 2, v[4:5]
	s_waitcnt lgkmcnt(0)
	v_add_co_u32 v4, s3, s12, v4
	v_add_co_ci_u32_e64 v5, null, s13, v5, s3
	global_store_dword v[4:5], v15, off
	s_or_b32 exec_lo, exec_lo, s4
	s_and_saveexec_b32 s4, s1
	s_cbranch_execz .LBB135_42
.LBB135_74:
	v_add_nc_u32_e32 v4, v2, v31
	v_mov_b32_e32 v5, 0
	v_lshlrev_b64 v[4:5], 2, v[4:5]
	s_waitcnt lgkmcnt(0)
	v_add_co_u32 v4, s3, s12, v4
	v_add_co_ci_u32_e64 v5, null, s13, v5, s3
	global_store_dword v[4:5], v11, off
	s_or_b32 exec_lo, exec_lo, s4
	s_and_saveexec_b32 s4, s2
	s_cbranch_execnz .LBB135_43
	s_branch .LBB135_44
.LBB135_75:
	v_add_nc_u32_e32 v4, v2, v0
	v_mov_b32_e32 v5, 0
	v_lshlrev_b64 v[4:5], 2, v[4:5]
	s_waitcnt lgkmcnt(0)
	v_add_co_u32 v4, s3, s12, v4
	v_add_co_ci_u32_e64 v5, null, s13, v5, s3
	global_store_dword v[4:5], v18, off
	s_or_b32 exec_lo, exec_lo, s4
	s_and_saveexec_b32 s4, s0
	s_cbranch_execz .LBB135_47
.LBB135_76:
	v_add_nc_u32_e32 v4, v2, v3
	v_mov_b32_e32 v5, 0
	v_lshlrev_b64 v[4:5], 2, v[4:5]
	s_waitcnt lgkmcnt(0)
	v_add_co_u32 v4, s3, s12, v4
	v_add_co_ci_u32_e64 v5, null, s13, v5, s3
	global_store_dword v[4:5], v14, off
	s_or_b32 exec_lo, exec_lo, s4
	s_and_saveexec_b32 s4, s1
	s_cbranch_execz .LBB135_48
.LBB135_77:
	v_add_nc_u32_e32 v4, v2, v31
	v_mov_b32_e32 v5, 0
	v_lshlrev_b64 v[4:5], 2, v[4:5]
	s_waitcnt lgkmcnt(0)
	v_add_co_u32 v4, s3, s12, v4
	v_add_co_ci_u32_e64 v5, null, s13, v5, s3
	global_store_dword v[4:5], v10, off
	s_or_b32 exec_lo, exec_lo, s4
	s_and_saveexec_b32 s4, s2
	s_cbranch_execnz .LBB135_49
	s_branch .LBB135_50
.LBB135_78:
	v_add_nc_u32_e32 v4, v2, v0
	v_mov_b32_e32 v5, 0
	v_lshlrev_b64 v[4:5], 2, v[4:5]
	s_waitcnt lgkmcnt(0)
	v_add_co_u32 v4, s3, s12, v4
	v_add_co_ci_u32_e64 v5, null, s13, v5, s3
	global_store_dword v[4:5], v21, off
	s_or_b32 exec_lo, exec_lo, s4
	s_and_saveexec_b32 s4, s0
	s_cbranch_execz .LBB135_53
.LBB135_79:
	v_add_nc_u32_e32 v4, v2, v3
	v_mov_b32_e32 v5, 0
	v_lshlrev_b64 v[4:5], 2, v[4:5]
	s_waitcnt lgkmcnt(0)
	v_add_co_u32 v4, s3, s12, v4
	v_add_co_ci_u32_e64 v5, null, s13, v5, s3
	global_store_dword v[4:5], v17, off
	s_or_b32 exec_lo, exec_lo, s4
	s_and_saveexec_b32 s4, s1
	s_cbranch_execz .LBB135_54
.LBB135_80:
	v_add_nc_u32_e32 v4, v2, v31
	v_mov_b32_e32 v5, 0
	v_lshlrev_b64 v[4:5], 2, v[4:5]
	s_waitcnt lgkmcnt(0)
	v_add_co_u32 v4, s3, s12, v4
	v_add_co_ci_u32_e64 v5, null, s13, v5, s3
	global_store_dword v[4:5], v13, off
	s_or_b32 exec_lo, exec_lo, s4
	s_and_saveexec_b32 s4, s2
	s_cbranch_execnz .LBB135_55
	s_branch .LBB135_56
.LBB135_81:
	v_add_nc_u32_e32 v4, v1, v0
	v_mov_b32_e32 v5, 0
	v_lshlrev_b64 v[4:5], 2, v[4:5]
	s_waitcnt lgkmcnt(0)
	v_add_co_u32 v4, vcc_lo, s12, v4
	v_add_co_ci_u32_e64 v5, null, s13, v5, vcc_lo
	global_store_dword v[4:5], v20, off
	s_or_b32 exec_lo, exec_lo, s3
	s_and_saveexec_b32 s3, s0
	s_cbranch_execz .LBB135_59
.LBB135_82:
	v_add_nc_u32_e32 v2, v1, v3
	v_mov_b32_e32 v3, 0
	v_lshlrev_b64 v[2:3], 2, v[2:3]
	s_waitcnt lgkmcnt(0)
	v_add_co_u32 v2, vcc_lo, s12, v2
	v_add_co_ci_u32_e64 v3, null, s13, v3, vcc_lo
	global_store_dword v[2:3], v16, off
	s_or_b32 exec_lo, exec_lo, s3
	s_and_saveexec_b32 s0, s1
	s_cbranch_execz .LBB135_60
.LBB135_83:
	v_add_nc_u32_e32 v2, v1, v31
	v_mov_b32_e32 v3, 0
	v_lshlrev_b64 v[2:3], 2, v[2:3]
	s_waitcnt lgkmcnt(0)
	v_add_co_u32 v2, vcc_lo, s12, v2
	v_add_co_ci_u32_e64 v3, null, s13, v3, vcc_lo
	global_store_dword v[2:3], v12, off
	s_or_b32 exec_lo, exec_lo, s0
	s_and_b32 exec_lo, exec_lo, s2
	s_cbranch_execnz .LBB135_61
	s_branch .LBB135_62
	.section	.rodata,"a",@progbits
	.p2align	6, 0x0
	.amdhsa_kernel _ZL12mul_mat_q6_KIfLb0EEvPKvS1_PT_iiiii
		.amdhsa_group_segment_fixed_size 45136
		.amdhsa_private_segment_fixed_size 136
		.amdhsa_kernarg_size 44
		.amdhsa_user_sgpr_count 6
		.amdhsa_user_sgpr_private_segment_buffer 1
		.amdhsa_user_sgpr_dispatch_ptr 0
		.amdhsa_user_sgpr_queue_ptr 0
		.amdhsa_user_sgpr_kernarg_segment_ptr 1
		.amdhsa_user_sgpr_dispatch_id 0
		.amdhsa_user_sgpr_flat_scratch_init 0
		.amdhsa_user_sgpr_private_segment_size 0
		.amdhsa_wavefront_size32 1
		.amdhsa_uses_dynamic_stack 0
		.amdhsa_system_sgpr_private_segment_wavefront_offset 1
		.amdhsa_system_sgpr_workgroup_id_x 1
		.amdhsa_system_sgpr_workgroup_id_y 1
		.amdhsa_system_sgpr_workgroup_id_z 0
		.amdhsa_system_sgpr_workgroup_info 0
		.amdhsa_system_vgpr_workitem_id 1
		.amdhsa_next_free_vgpr 256
		.amdhsa_next_free_sgpr 24
		.amdhsa_reserve_vcc 1
		.amdhsa_reserve_flat_scratch 0
		.amdhsa_float_round_mode_32 0
		.amdhsa_float_round_mode_16_64 0
		.amdhsa_float_denorm_mode_32 3
		.amdhsa_float_denorm_mode_16_64 3
		.amdhsa_dx10_clamp 1
		.amdhsa_ieee_mode 1
		.amdhsa_fp16_overflow 0
		.amdhsa_workgroup_processor_mode 1
		.amdhsa_memory_ordered 1
		.amdhsa_forward_progress 1
		.amdhsa_shared_vgpr_count 0
		.amdhsa_exception_fp_ieee_invalid_op 0
		.amdhsa_exception_fp_denorm_src 0
		.amdhsa_exception_fp_ieee_div_zero 0
		.amdhsa_exception_fp_ieee_overflow 0
		.amdhsa_exception_fp_ieee_underflow 0
		.amdhsa_exception_fp_ieee_inexact 0
		.amdhsa_exception_int_div_zero 0
	.end_amdhsa_kernel
	.section	.text._ZL12mul_mat_q6_KIfLb0EEvPKvS1_PT_iiiii,"axG",@progbits,_ZL12mul_mat_q6_KIfLb0EEvPKvS1_PT_iiiii,comdat
.Lfunc_end135:
	.size	_ZL12mul_mat_q6_KIfLb0EEvPKvS1_PT_iiiii, .Lfunc_end135-_ZL12mul_mat_q6_KIfLb0EEvPKvS1_PT_iiiii
                                        ; -- End function
	.set _ZL12mul_mat_q6_KIfLb0EEvPKvS1_PT_iiiii.num_vgpr, 256
	.set _ZL12mul_mat_q6_KIfLb0EEvPKvS1_PT_iiiii.num_agpr, 0
	.set _ZL12mul_mat_q6_KIfLb0EEvPKvS1_PT_iiiii.numbered_sgpr, 24
	.set _ZL12mul_mat_q6_KIfLb0EEvPKvS1_PT_iiiii.num_named_barrier, 0
	.set _ZL12mul_mat_q6_KIfLb0EEvPKvS1_PT_iiiii.private_seg_size, 136
	.set _ZL12mul_mat_q6_KIfLb0EEvPKvS1_PT_iiiii.uses_vcc, 1
	.set _ZL12mul_mat_q6_KIfLb0EEvPKvS1_PT_iiiii.uses_flat_scratch, 0
	.set _ZL12mul_mat_q6_KIfLb0EEvPKvS1_PT_iiiii.has_dyn_sized_stack, 0
	.set _ZL12mul_mat_q6_KIfLb0EEvPKvS1_PT_iiiii.has_recursion, 0
	.set _ZL12mul_mat_q6_KIfLb0EEvPKvS1_PT_iiiii.has_indirect_call, 0
	.section	.AMDGPU.csdata,"",@progbits
; Kernel info:
; codeLenInByte = 22288
; TotalNumSgprs: 26
; NumVgprs: 256
; ScratchSize: 136
; MemoryBound: 0
; FloatMode: 240
; IeeeMode: 1
; LDSByteSize: 45136 bytes/workgroup (compile time only)
; SGPRBlocks: 0
; VGPRBlocks: 31
; NumSGPRsForWavesPerEU: 26
; NumVGPRsForWavesPerEU: 256
; Occupancy: 4
; WaveLimiterHint : 0
; COMPUTE_PGM_RSRC2:SCRATCH_EN: 1
; COMPUTE_PGM_RSRC2:USER_SGPR: 6
; COMPUTE_PGM_RSRC2:TRAP_HANDLER: 0
; COMPUTE_PGM_RSRC2:TGID_X_EN: 1
; COMPUTE_PGM_RSRC2:TGID_Y_EN: 1
; COMPUTE_PGM_RSRC2:TGID_Z_EN: 0
; COMPUTE_PGM_RSRC2:TIDIG_COMP_CNT: 1
	.section	.text._ZL12mul_mat_q6_KIfLb1EEvPKvS1_PT_iiiii,"axG",@progbits,_ZL12mul_mat_q6_KIfLb1EEvPKvS1_PT_iiiii,comdat
	.globl	_ZL12mul_mat_q6_KIfLb1EEvPKvS1_PT_iiiii ; -- Begin function _ZL12mul_mat_q6_KIfLb1EEvPKvS1_PT_iiiii
	.p2align	8
	.type	_ZL12mul_mat_q6_KIfLb1EEvPKvS1_PT_iiiii,@function
_ZL12mul_mat_q6_KIfLb1EEvPKvS1_PT_iiiii: ; @_ZL12mul_mat_q6_KIfLb1EEvPKvS1_PT_iiiii
; %bb.0:
	s_mov_b64 s[22:23], s[2:3]
	s_mov_b64 s[20:21], s[0:1]
	s_add_u32 s20, s20, s8
	s_clause 0x1
	s_load_dwordx4 s[8:11], s[4:5], 0x18
	s_load_dword s14, s[4:5], 0x28
	s_addc_u32 s21, s21, 0
	s_lshl_b32 s7, s7, 6
	v_add_nc_u32_e32 v37, s7, v1
	s_waitcnt lgkmcnt(0)
	s_cmpk_gt_i32 s8, 0xff
	s_cbranch_scc1 .LBB136_2
; %bb.1:
	v_add_nc_u32_e32 v34, s7, v1
	s_mov_b32 s0, 0
	s_branch .LBB136_3
.LBB136_2:
	s_mov_b32 s0, -1
                                        ; implicit-def: $vgpr34
.LBB136_3:
	s_load_dwordx2 s[12:13], s[4:5], 0x10
	v_mov_b32_e32 v5, 0
	v_mov_b32_e32 v4, 0
	;; [unrolled: 1-line block ×32, first 2 shown]
	s_andn2_b32 vcc_lo, exec_lo, s0
	s_lshl_b32 s6, s6, 7
	s_cbranch_vccnz .LBB136_11
; %bb.4:
	s_load_dwordx4 s[0:3], s[4:5], 0x0
	v_and_b32_e32 v7, 31, v0
	s_ashr_i32 s4, s8, 31
	s_ashr_i32 s5, s11, 31
	s_lshr_b32 s4, s4, 24
	v_lshrrev_b32_e32 v6, 1, v0
	v_lshlrev_b32_e32 v3, 1, v7
	v_cmp_gt_u32_e32 vcc_lo, 16, v7
	s_add_i32 s4, s8, s4
	v_and_b32_e32 v2, 7, v0
	s_ashr_i32 s4, s4, 8
	v_add_nc_u32_e32 v5, 0xe0, v3
	s_lshr_b32 s5, s5, 27
	s_mul_i32 s8, s4, s6
	s_add_i32 s5, s11, s5
	s_mul_hi_i32 s15, s8, 0xd2
	v_cndmask_b32_e32 v5, v5, v3, vcc_lo
	s_mulk_i32 s8, 0xd2
	s_ashr_i32 s11, s5, 5
	v_and_or_b32 v6, v6, 8, v2
	s_waitcnt lgkmcnt(0)
	s_add_u32 s5, s0, s8
	v_and_b32_e32 v2, 0xfe, v5
	s_addc_u32 s8, s1, s15
	s_not_b32 s0, s6
	v_add_nc_u16 v4, v7, -16
	s_add_i32 s0, s9, s0
	v_sub_nc_u32_e32 v5, v3, v2
	v_and_b32_e32 v3, 15, v0
	v_min_i32_e32 v2, s0, v1
	v_cndmask_b32_e32 v4, v4, v7, vcc_lo
	v_add_nc_u32_e32 v23, 8, v1
	v_lshlrev_b32_e32 v102, 2, v6
	v_add_lshl_u32 v3, v5, v3, 2
	v_mul_lo_u32 v5, v2, s4
	v_cmp_lt_u16_e32 vcc_lo, 7, v4
	v_min_i32_e32 v4, s0, v23
	v_add_nc_u32_e32 v35, 16, v1
	v_add_nc_u32_e32 v24, 24, v1
	;; [unrolled: 1-line block ×5, first 2 shown]
	buffer_store_dword v5, off, s[20:23], 0 offset:60 ; 4-byte Folded Spill
	v_mad_u64_u32 v[5:6], null, 0x104, v2, v[3:4]
	v_mul_lo_u32 v2, v4, s4
	v_add_nc_u32_e32 v27, 56, v1
	buffer_store_dword v5, off, s[20:23], 0 offset:64 ; 4-byte Folded Spill
	buffer_store_dword v6, off, s[20:23], 0 offset:68 ; 4-byte Folded Spill
	v_mad_u64_u32 v[4:5], null, 0x104, v4, v[3:4]
	buffer_store_dword v2, off, s[20:23], 0 offset:72 ; 4-byte Folded Spill
	v_min_i32_e32 v2, s0, v35
	buffer_store_dword v4, off, s[20:23], 0 offset:76 ; 4-byte Folded Spill
	buffer_store_dword v5, off, s[20:23], 0 offset:80 ; 4-byte Folded Spill
	v_mul_lo_u32 v4, v2, s4
	v_lshlrev_b32_e32 v101, 2, v7
	v_lshlrev_b32_e32 v115, 5, v1
	s_add_i32 s1, s10, -1
	v_add_nc_u32_e32 v11, 16, v37
	v_add_nc_u32_e32 v14, 24, v37
	;; [unrolled: 1-line block ×4, first 2 shown]
	buffer_store_dword v4, off, s[20:23], 0 offset:84 ; 4-byte Folded Spill
	v_min_i32_e32 v4, s0, v24
	v_cvt_f64_u32_e32 v[11:12], v11
	v_cvt_f64_u32_e32 v[15:16], v15
	v_add_nc_u32_e32 v20, 48, v37
	v_cvt_f64_u32_e32 v[17:18], v17
	v_mad_u64_u32 v[5:6], null, 0x104, v2, v[3:4]
	v_min_i32_e32 v2, s0, v36
	buffer_store_dword v5, off, s[20:23], 0 offset:88 ; 4-byte Folded Spill
	buffer_store_dword v6, off, s[20:23], 0 offset:92 ; 4-byte Folded Spill
	v_mul_lo_u32 v5, v4, s4
	v_add_nc_u32_e32 v22, 56, v37
	v_lshrrev_b32_e32 v38, 5, v0
	v_lshlrev_b32_e32 v126, 2, v0
	v_lshrrev_b32_e32 v128, 3, v0
	v_mul_u32_u24_e32 v151, 0x104, v0
	v_mov_b32_e32 v10, 0
	v_lshlrev_b32_e32 v144, 5, v23
	buffer_store_dword v5, off, s[20:23], 0 offset:96 ; 4-byte Folded Spill
	v_mad_u64_u32 v[4:5], null, 0x104, v4, v[3:4]
	buffer_store_dword v4, off, s[20:23], 0 offset:100 ; 4-byte Folded Spill
	buffer_store_dword v5, off, s[20:23], 0 offset:104 ; 4-byte Folded Spill
	v_mul_lo_u32 v4, v2, s4
	v_lshlrev_b32_e32 v146, 5, v24
	v_lshlrev_b32_e32 v148, 5, v25
	;; [unrolled: 1-line block ×4, first 2 shown]
	v_cndmask_b32_e64 v103, 0, 2, vcc_lo
	v_lshlrev_b32_e32 v145, 5, v35
	v_lshlrev_b32_e32 v147, 5, v36
	buffer_store_dword v4, off, s[20:23], 0 offset:108 ; 4-byte Folded Spill
	v_min_i32_e32 v4, s0, v25
	s_mov_b32 s9, 0
	v_mad_u64_u32 v[5:6], null, 0x104, v2, v[3:4]
	v_mul_lo_u32 v2, v4, s4
	buffer_store_dword v5, off, s[20:23], 0 offset:112 ; 4-byte Folded Spill
	buffer_store_dword v6, off, s[20:23], 0 offset:116 ; 4-byte Folded Spill
	v_mad_u64_u32 v[4:5], null, 0x104, v4, v[3:4]
	buffer_store_dword v2, off, s[20:23], 0 offset:120 ; 4-byte Folded Spill
	v_min_i32_e32 v2, s0, v26
	buffer_store_dword v4, off, s[20:23], 0 offset:124 ; 4-byte Folded Spill
	buffer_store_dword v5, off, s[20:23], 0 offset:128 ; 4-byte Folded Spill
	v_mul_lo_u32 v6, v2, s4
	v_min_i32_e32 v4, s0, v27
	v_add_nc_u32_e32 v5, 64, v1
	buffer_store_dword v6, off, s[20:23], 0 offset:132 ; 4-byte Folded Spill
	v_mad_u64_u32 v[6:7], null, 0x104, v2, v[3:4]
	v_mul_lo_u32 v2, v4, s4
	buffer_store_dword v6, off, s[20:23], 0 offset:136 ; 4-byte Folded Spill
	buffer_store_dword v7, off, s[20:23], 0 offset:140 ; 4-byte Folded Spill
	v_mad_u64_u32 v[6:7], null, 0x104, v4, v[3:4]
	buffer_store_dword v2, off, s[20:23], 0 offset:144 ; 4-byte Folded Spill
	v_min_i32_e32 v2, s0, v5
	buffer_store_dword v6, off, s[20:23], 0 offset:148 ; 4-byte Folded Spill
	buffer_store_dword v7, off, s[20:23], 0 offset:152 ; 4-byte Folded Spill
	v_mul_lo_u32 v6, v2, s4
	v_add_nc_u32_e32 v4, 0x50, v1
	v_add_nc_u32_e32 v5, 0x48, v1
	v_min_i32_e32 v5, s0, v5
	buffer_store_dword v6, off, s[20:23], 0 offset:156 ; 4-byte Folded Spill
	v_mad_u64_u32 v[6:7], null, 0x104, v2, v[3:4]
	buffer_store_dword v6, off, s[20:23], 0 offset:160 ; 4-byte Folded Spill
	buffer_store_dword v7, off, s[20:23], 0 offset:164 ; 4-byte Folded Spill
	v_mul_lo_u32 v6, v5, s4
	v_min_i32_e32 v2, s0, v4
	v_add_nc_u32_e32 v4, 0x58, v1
	buffer_store_dword v6, off, s[20:23], 0 offset:168 ; 4-byte Folded Spill
	v_mad_u64_u32 v[5:6], null, 0x104, v5, v[3:4]
	buffer_store_dword v5, off, s[20:23], 0 offset:172 ; 4-byte Folded Spill
	buffer_store_dword v6, off, s[20:23], 0 offset:176 ; 4-byte Folded Spill
	v_mul_lo_u32 v5, v2, s4
	v_min_i32_e32 v4, s0, v4
	v_mad_u64_u32 v[6:7], null, 0x104, v2, v[3:4]
	v_mul_lo_u32 v2, v4, s4
	buffer_store_dword v5, off, s[20:23], 0 offset:180 ; 4-byte Folded Spill
	v_add_nc_u32_e32 v5, 0x60, v1
	buffer_store_dword v6, off, s[20:23], 0 offset:184 ; 4-byte Folded Spill
	buffer_store_dword v7, off, s[20:23], 0 offset:188 ; 4-byte Folded Spill
	v_mad_u64_u32 v[7:8], null, 0x104, v4, v[3:4]
	buffer_store_dword v2, off, s[20:23], 0 offset:192 ; 4-byte Folded Spill
	v_min_i32_e32 v2, s0, v5
	v_add_nc_u32_e32 v5, v115, v0
	v_add_nc_u32_e32 v6, 0x68, v1
	buffer_store_dword v7, off, s[20:23], 0 offset:196 ; 4-byte Folded Spill
	buffer_store_dword v8, off, s[20:23], 0 offset:200 ; 4-byte Folded Spill
	v_mul_lo_u32 v4, v2, s4
	buffer_store_dword v4, off, s[20:23], 0 offset:204 ; 4-byte Folded Spill
	v_and_b32_e32 v4, 0x7f, v5
	v_min_i32_e32 v5, s0, v6
	v_add_nc_u32_e32 v6, 0x70, v1
	v_mad_u64_u32 v[7:8], null, 0x104, v2, v[3:4]
	v_min_i32_e32 v28, s0, v4
	v_mul_lo_u32 v4, v5, s4
	buffer_store_dword v7, off, s[20:23], 0 offset:208 ; 4-byte Folded Spill
	buffer_store_dword v8, off, s[20:23], 0 offset:212 ; 4-byte Folded Spill
	v_lshrrev_b32_e32 v2, 2, v0
	v_ashrrev_i32_e32 v7, 31, v28
	buffer_store_dword v4, off, s[20:23], 0 offset:216 ; 4-byte Folded Spill
	v_min_i32_e32 v4, s0, v6
	v_add_nc_u32_e32 v6, 0x78, v1
	v_lshl_add_u32 v29, v1, 3, v2
	v_mad_u64_u32 v[8:9], null, 0x104, v5, v[3:4]
	v_mul_lo_u32 v2, v4, s4
	buffer_store_dword v8, off, s[20:23], 0 offset:220 ; 4-byte Folded Spill
	buffer_store_dword v9, off, s[20:23], 0 offset:224 ; 4-byte Folded Spill
	v_lshrrev_b32_e32 v5, 27, v7
	buffer_store_dword v2, off, s[20:23], 0 offset:228 ; 4-byte Folded Spill
	v_min_i32_e32 v2, s0, v6
	v_mad_u64_u32 v[6:7], null, 0x104, v4, v[3:4]
	buffer_store_dword v6, off, s[20:23], 0 offset:232 ; 4-byte Folded Spill
	buffer_store_dword v7, off, s[20:23], 0 offset:236 ; 4-byte Folded Spill
	v_mul_lo_u32 v4, v2, s4
	v_add_nc_u32_e32 v19, v28, v5
	v_cvt_f64_u32_e32 v[6:7], v37
	v_and_b32_e32 v13, 0x7f, v29
	v_add_nc_u32_e32 v8, 8, v37
	buffer_store_dword v37, off, s[20:23], 0 offset:292 ; 4-byte Folded Spill
	v_ashrrev_i32_e32 v31, 5, v19
	v_cvt_f64_u32_e32 v[19:20], v20
	buffer_store_dword v4, off, s[20:23], 0 offset:240 ; 4-byte Folded Spill
	v_cvt_f64_i32_e32 v[4:5], s1
	v_min_i32_e32 v30, s0, v13
	v_cvt_f64_u32_e32 v[8:9], v8
	v_xor_b32_e32 v21, 64, v13
	v_cvt_f64_u32_e32 v[13:14], v14
	v_lshlrev_b32_e32 v31, 2, v31
	v_ashrrev_i32_e32 v32, 31, v30
	v_min_i32_e32 v33, s0, v21
	v_cvt_f64_u32_e32 v[21:22], v22
	s_movk_i32 s0, 0x2080
	v_lshrrev_b32_e32 v32, 29, v32
	v_mad_u32_u24 v152, 0x104, v0, s0
	v_ashrrev_i32_e32 v34, 31, v33
	s_movk_i32 s0, 0x4100
	v_add_nc_u32_e32 v32, v30, v32
	v_mad_u32_u24 v153, 0x104, v0, s0
	v_lshrrev_b32_e32 v34, 29, v34
	v_ashrrev_i32_e32 v32, 3, v32
	v_mad_u64_u32 v[2:3], null, 0x104, v2, v[3:4]
	buffer_store_dword v2, off, s[20:23], 0 offset:244 ; 4-byte Folded Spill
	buffer_store_dword v3, off, s[20:23], 0 offset:248 ; 4-byte Folded Spill
	v_mul_lo_u32 v2, v28, s4
	v_lshlrev_b32_e32 v28, 2, v28
	v_add_nc_u32_e32 v34, v33, v34
	buffer_store_dword v2, off, s[20:23], 0 offset:252 ; 4-byte Folded Spill
	v_min_f64 v[2:3], v[6:7], v[4:5]
	v_min_f64 v[6:7], v[8:9], v[4:5]
	;; [unrolled: 1-line block ×7, first 2 shown]
	v_and_b32_e32 v11, 3, v0
	v_min_f64 v[4:5], v[21:22], v[4:5]
	v_add3_u32 v21, v31, v28, 0xae40
	v_lshlrev_b32_e32 v20, 2, v32
	v_ashrrev_i32_e32 v32, 3, v34
	v_lshlrev_b32_e32 v122, 2, v11
	buffer_store_dword v21, off, s[20:23], 0 offset:256 ; 4-byte Folded Spill
	v_mul_lo_u32 v21, v30, s4
	v_lshlrev_b32_e32 v22, 2, v32
	v_add3_u32 v20, v20, v122, 0xa200
	v_cvt_i32_f64_e32 v2, v[2:3]
	v_mul_lo_u32 v3, v33, s4
	buffer_store_dword v21, off, s[20:23], 0 offset:260 ; 4-byte Folded Spill
	v_lshlrev_b32_e32 v21, 4, v30
	v_cvt_i32_f64_e32 v4, v[4:5]
	buffer_store_dword v3, off, s[20:23], 0 offset:264 ; 4-byte Folded Spill
	v_cvt_i32_f64_e32 v3, v[6:7]
	v_cvt_i32_f64_e32 v7, v[8:9]
	;; [unrolled: 1-line block ×4, first 2 shown]
	v_and_b32_e32 v6, 63, v29
	v_cvt_i32_f64_e32 v14, v[16:17]
	v_cvt_i32_f64_e32 v16, v[18:19]
	v_add3_u32 v8, v22, v122, 0xa200
	v_lshlrev_b32_e32 v15, 4, v33
	v_or_b32_e32 v13, s7, v6
	v_lshl_or_b32 v6, v6, 4, v122
	v_or_b32_e32 v5, 0x8200, v101
	v_mul_lo_u32 v2, s11, v2
	v_and_b32_e32 v17, 28, v126
	v_min_i32_e32 v13, s1, v13
	s_movk_i32 s1, 0x6180
	v_add_nc_u32_e32 v255, 0xaa40, v6
	v_mad_u32_u24 v154, 0x104, v0, s1
	v_lshlrev_b32_e32 v6, 7, v35
	v_add_co_u32 v67, s0, s2, v17
	v_add_co_ci_u32_e64 v68, null, s3, 0, s0
	v_add_nc_u32_e32 v159, v5, v6
	v_mad_u64_u32 v[18:19], null, v13, s11, v[11:12]
	buffer_store_dword v18, off, s[20:23], 0 offset:268 ; 4-byte Folded Spill
	buffer_store_dword v19, off, s[20:23], 0 offset:272 ; 4-byte Folded Spill
	buffer_store_dword v2, off, s[20:23], 0 ; 4-byte Folded Spill
	buffer_store_dword v1, off, s[20:23], 0 offset:284 ; 4-byte Folded Spill
	v_lshlrev_b32_e32 v2, 7, v1
	v_mul_lo_u32 v1, s11, v3
	v_add_nc_u32_e32 v11, 32, v0
	v_lshlrev_b32_e32 v13, 2, v38
	buffer_store_dword v0, off, s[20:23], 0 offset:288 ; 4-byte Folded Spill
	v_lshlrev_b32_e32 v3, 7, v23
	v_lshlrev_b32_e32 v18, 7, v27
	v_lshrrev_b32_e32 v137, 3, v11
	v_lshlrev_b32_e32 v22, 2, v11
	buffer_store_dword v1, off, s[20:23], 0 offset:4 ; 4-byte Folded Spill
	v_mul_lo_u32 v1, s11, v7
	v_lshlrev_b32_e32 v7, 7, v24
	v_and_b32_e32 v19, 60, v137
	v_add_nc_u32_e32 v164, v5, v18
	v_lshlrev_b32_e32 v165, 2, v22
	buffer_store_dword v38, off, s[20:23], 0 offset:56 ; 4-byte Folded Spill
	v_add_nc_u32_e32 v160, v5, v7
	buffer_store_dword v1, off, s[20:23], 0 offset:8 ; 4-byte Folded Spill
	v_mul_lo_u32 v1, s11, v9
	v_lshlrev_b32_e32 v9, 7, v36
	v_add_nc_u32_e32 v161, v5, v9
	buffer_store_dword v1, off, s[20:23], 0 offset:12 ; 4-byte Folded Spill
	v_mul_lo_u32 v1, s11, v12
	v_add_nc_u32_e32 v12, 64, v0
	v_lshrrev_b32_e32 v138, 3, v12
	buffer_store_dword v1, off, s[20:23], 0 offset:16 ; 4-byte Folded Spill
	v_mul_lo_u32 v1, s11, v14
	v_lshlrev_b32_e32 v14, 7, v25
	v_add_nc_u32_e32 v162, v5, v14
	buffer_store_dword v1, off, s[20:23], 0 offset:20 ; 4-byte Folded Spill
	v_mul_lo_u32 v1, s11, v16
	v_lshlrev_b32_e32 v16, 7, v26
	v_add_nc_u32_e32 v163, v5, v16
	buffer_store_dword v1, off, s[20:23], 0 offset:24 ; 4-byte Folded Spill
	v_mul_lo_u32 v1, s11, v4
	v_add_nc_u32_e32 v4, 0x60, v0
	v_add_nc_u32_e32 v0, v20, v21
	v_lshrrev_b32_e32 v139, 3, v4
	buffer_store_dword v0, off, s[20:23], 0 offset:276 ; 4-byte Folded Spill
	buffer_store_dword v1, off, s[20:23], 0 offset:28 ; 4-byte Folded Spill
	v_add3_u32 v1, v126, v13, 0xae40
	v_and_b32_e32 v13, 60, v138
	v_add_nc_u32_e32 v0, v8, v15
	v_and_b32_e32 v11, 60, v139
	v_lshlrev_b32_e32 v4, 2, v4
	buffer_store_dword v1, off, s[20:23], 0 offset:32 ; 4-byte Folded Spill
	v_add3_u32 v1, v126, v19, 0xae40
	v_lshlrev_b32_e32 v19, 2, v12
	buffer_store_dword v0, off, s[20:23], 0 offset:280 ; 4-byte Folded Spill
	v_add_nc_u32_e32 v0, v5, v2
	v_mov_b32_e32 v12, v10
	buffer_store_dword v1, off, s[20:23], 0 offset:36 ; 4-byte Folded Spill
	v_add3_u32 v1, v126, v13, 0xae40
	v_mov_b32_e32 v13, v10
	buffer_store_dword v0, off, s[20:23], 0 offset:48 ; 4-byte Folded Spill
	v_add_nc_u32_e32 v0, v5, v3
	v_lshlrev_b32_e32 v166, 2, v19
	buffer_store_dword v1, off, s[20:23], 0 offset:40 ; 4-byte Folded Spill
	v_add3_u32 v1, v126, v11, 0xae40
	v_mov_b32_e32 v11, v10
	v_lshlrev_b32_e32 v167, 2, v4
	v_mov_b32_e32 v21, v13
	v_mov_b32_e32 v33, v13
	;; [unrolled: 1-line block ×28, first 2 shown]
	buffer_store_dword v1, off, s[20:23], 0 offset:44 ; 4-byte Folded Spill
	buffer_store_dword v0, off, s[20:23], 0 offset:52 ; 4-byte Folded Spill
.LBB136_5:                              ; =>This Loop Header: Depth=1
                                        ;     Child Loop BB136_6 Depth 2
                                        ;     Child Loop BB136_8 Depth 2
	buffer_load_dword v0, off, s[20:23], 0 offset:56 ; 4-byte Folded Reload
	s_mul_i32 s0, s9, 0xd2
	s_mul_hi_u32 s1, s9, 0xd2
	s_add_u32 s0, s5, s0
	s_addc_u32 s1, s8, s1
	v_mov_b32_e32 v158, v255
	s_mov_b32 s15, 0
	s_waitcnt vmcnt(0)
	v_mad_u64_u32 v[34:35], null, 0xd2, v0, s[0:1]
	buffer_load_dword v0, off, s[20:23], 0 offset:60 ; 4-byte Folded Reload
	s_waitcnt vmcnt(0)
	v_mad_i64_i32 v[36:37], null, 0xd2, v0, v[34:35]
	buffer_load_dword v0, off, s[20:23], 0 offset:72 ; 4-byte Folded Reload
	v_add_co_u32 v42, vcc_lo, v36, v101
	v_add_co_ci_u32_e64 v43, null, 0, v37, vcc_lo
	v_add_co_u32 v36, vcc_lo, v36, v102
	v_add_co_ci_u32_e64 v37, null, 0, v37, vcc_lo
	s_waitcnt vmcnt(0)
	v_mad_i64_i32 v[38:39], null, 0xd2, v0, v[34:35]
	buffer_load_dword v0, off, s[20:23], 0 offset:84 ; 4-byte Folded Reload
	v_add_co_u32 v44, vcc_lo, v38, v101
	v_add_co_ci_u32_e64 v45, null, 0, v39, vcc_lo
	v_add_co_u32 v38, vcc_lo, v38, v102
	v_add_co_ci_u32_e64 v39, null, 0, v39, vcc_lo
	;; [unrolled: 7-line block ×4, first 2 shown]
	s_waitcnt vmcnt(0)
	v_mad_i64_i32 v[50:51], null, 0xd2, v0, v[34:35]
	v_add_co_u32 v76, vcc_lo, v50, v101
	v_add_co_ci_u32_e64 v77, null, 0, v51, vcc_lo
	s_clause 0x8
	global_load_dword v72, v[42:43], off
	global_load_dword v73, v[36:37], off offset:128
	global_load_dword v70, v[44:45], off
	global_load_dword v71, v[38:39], off offset:128
	;; [unrolled: 2-line block ×4, first 2 shown]
	global_load_dword v69, v[76:77], off
	buffer_load_dword v0, off, s[20:23], 0 offset:120 ; 4-byte Folded Reload
	v_add_co_u32 v38, vcc_lo, v50, v102
	v_add_co_ci_u32_e64 v39, null, 0, v51, vcc_lo
	s_waitcnt vmcnt(6)
	v_ashrrev_i32_e32 v71, v103, v71
	s_waitcnt vmcnt(4)
	v_ashrrev_i32_e32 v49, v103, v49
	;; [unrolled: 2-line block ×3, first 2 shown]
	s_waitcnt vmcnt(0)
	v_mad_i64_i32 v[36:37], null, 0xd2, v0, v[34:35]
	buffer_load_dword v0, off, s[20:23], 0 offset:132 ; 4-byte Folded Reload
	v_add_co_u32 v42, vcc_lo, v36, v101
	v_add_co_ci_u32_e64 v43, null, 0, v37, vcc_lo
	v_add_co_u32 v36, vcc_lo, v36, v102
	v_add_co_ci_u32_e64 v37, null, 0, v37, vcc_lo
	s_waitcnt vmcnt(0)
	v_mad_i64_i32 v[40:41], null, 0xd2, v0, v[34:35]
	v_add_co_u32 v44, vcc_lo, v40, v101
	v_add_co_ci_u32_e64 v45, null, 0, v41, vcc_lo
	v_add_co_u32 v40, vcc_lo, v40, v102
	v_add_co_ci_u32_e64 v41, null, 0, v41, vcc_lo
	s_clause 0x4
	global_load_dword v0, v[38:39], off offset:128
	global_load_dword v1, v[42:43], off
	global_load_dword v54, v[36:37], off offset:128
	global_load_dword v55, v[44:45], off
	global_load_dword v56, v[40:41], off offset:128
	buffer_load_dword v36, off, s[20:23], 0 offset:144 ; 4-byte Folded Reload
	s_waitcnt vmcnt(5)
	v_ashrrev_i32_e32 v0, v103, v0
	s_waitcnt vmcnt(3)
	v_ashrrev_i32_e32 v54, v103, v54
	;; [unrolled: 2-line block ×3, first 2 shown]
	s_waitcnt vmcnt(0)
	v_mad_i64_i32 v[36:37], null, 0xd2, v36, v[34:35]
	v_add_co_u32 v38, vcc_lo, v36, v101
	v_add_co_ci_u32_e64 v39, null, 0, v37, vcc_lo
	v_add_co_u32 v40, vcc_lo, v36, v102
	buffer_load_dword v36, off, s[20:23], 0 offset:156 ; 4-byte Folded Reload
	v_add_co_ci_u32_e64 v41, null, 0, v37, vcc_lo
	s_waitcnt vmcnt(0)
	v_mad_i64_i32 v[44:45], null, 0xd2, v36, v[34:35]
	buffer_load_dword v36, off, s[20:23], 0 offset:168 ; 4-byte Folded Reload
	v_add_co_u32 v76, vcc_lo, v44, v101
	v_add_co_ci_u32_e64 v77, null, 0, v45, vcc_lo
	v_add_co_u32 v44, vcc_lo, v44, v102
	v_add_co_ci_u32_e64 v45, null, 0, v45, vcc_lo
	s_waitcnt vmcnt(0)
	v_mad_i64_i32 v[50:51], null, 0xd2, v36, v[34:35]
	s_clause 0x1
	global_load_dword v36, v[38:39], off
	global_load_dword v43, v[40:41], off offset:128
	s_clause 0x4
	buffer_load_dword v37, off, s[20:23], 0 offset:180
	buffer_load_dword v39, off, s[20:23], 0 offset:192
	;; [unrolled: 1-line block ×5, first 2 shown]
	v_add_co_u32 v78, vcc_lo, v50, v101
	v_add_co_ci_u32_e64 v79, null, 0, v51, vcc_lo
	v_add_co_u32 v50, vcc_lo, v50, v102
	v_add_co_ci_u32_e64 v51, null, 0, v51, vcc_lo
	s_waitcnt vmcnt(5)
	v_ashrrev_i32_e32 v43, v103, v43
	s_waitcnt vmcnt(4)
	v_mad_i64_i32 v[37:38], null, 0xd2, v37, v[34:35]
	s_waitcnt vmcnt(3)
	v_mad_i64_i32 v[39:40], null, 0xd2, v39, v[34:35]
	;; [unrolled: 2-line block ×4, first 2 shown]
	v_add_co_u32 v80, vcc_lo, v37, v101
	v_add_co_ci_u32_e64 v81, null, 0, v38, vcc_lo
	v_add_co_u32 v37, vcc_lo, v37, v102
	v_add_co_ci_u32_e64 v38, null, 0, v38, vcc_lo
	;; [unrolled: 2-line block ×3, first 2 shown]
	v_add_co_u32 v39, vcc_lo, v39, v102
	s_waitcnt vmcnt(0)
	v_mad_i64_i32 v[74:75], null, 0xd2, v57, v[34:35]
	v_add_co_ci_u32_e64 v40, null, 0, v40, vcc_lo
	v_add_co_u32 v84, vcc_lo, v41, v101
	v_add_co_ci_u32_e64 v85, null, 0, v42, vcc_lo
	v_add_co_u32 v86, vcc_lo, v41, v102
	v_add_co_ci_u32_e64 v87, null, 0, v42, vcc_lo
	v_add_co_u32 v88, vcc_lo, v52, v101
	v_add_co_ci_u32_e64 v89, null, 0, v53, vcc_lo
	v_add_co_u32 v52, vcc_lo, v52, v102
	v_add_co_ci_u32_e64 v53, null, 0, v53, vcc_lo
	v_add_co_u32 v90, vcc_lo, v74, v101
	v_add_co_ci_u32_e64 v91, null, 0, v75, vcc_lo
	v_add_co_u32 v74, vcc_lo, v74, v102
	v_add_co_ci_u32_e64 v75, null, 0, v75, vcc_lo
	s_clause 0xd
	global_load_dword v57, v[76:77], off
	global_load_dword v58, v[44:45], off offset:128
	global_load_dword v59, v[78:79], off
	global_load_dword v60, v[50:51], off offset:128
	;; [unrolled: 2-line block ×7, first 2 shown]
	s_clause 0x1
	buffer_load_dword v62, off, s[20:23], 0 offset:64
	buffer_load_dword v63, off, s[20:23], 0 offset:68
	v_lshrrev_b32_e32 v51, 4, v72
	v_ashrrev_i32_e32 v52, v103, v73
	v_and_b32_e32 v50, 0xf0f0f0f, v72
	v_and_b32_e32 v53, 0xf0f0f0f, v70
	v_lshrrev_b32_e32 v70, 4, v70
	v_and_b32_e32 v72, 0xf0f0f0f, v48
	v_lshrrev_b32_e32 v48, 4, v48
	v_and_b32_e32 v51, 0xf0f0f0f, v51
	v_lshlrev_b32_e32 v77, 4, v52
	v_and_b32_e32 v73, 0xf0f0f0f, v46
	v_and_b32_e32 v70, 0xf0f0f0f, v70
	v_lshlrev_b32_e32 v79, 4, v71
	v_and_b32_e32 v48, 0xf0f0f0f, v48
	v_lshlrev_b32_e32 v80, 4, v49
	v_lshlrev_b32_e32 v81, 4, v47
	v_and_or_b32 v50, 0x30303030, v77, v50
	v_and_or_b32 v51, 0x30303030, v52, v51
	v_lshrrev_b32_e32 v46, 4, v46
	v_and_or_b32 v52, 0x30303030, v79, v53
	v_and_or_b32 v53, 0x30303030, v71, v70
	v_and_or_b32 v70, 0x30303030, v80, v72
	v_and_or_b32 v48, 0x30303030, v49, v48
	v_and_or_b32 v49, 0x30303030, v81, v73
	v_lshrrev_b32_e32 v71, 16, v50
	v_and_b32_e32 v72, 0x3f00, v50
	v_lshlrev_b16 v50, 8, v50
	v_lshrrev_b32_e32 v73, 16, v51
	v_and_b32_e32 v74, 0xf0f0f0f, v69
	v_and_b32_e32 v46, 0xf0f0f0f, v46
	v_lshlrev_b32_e32 v82, 4, v0
	v_add_nc_u16 v50, 0xe000, v50
	v_and_b32_e32 v98, 0x3f00, v71
	v_lshlrev_b16 v71, 8, v71
	v_and_b32_e32 v99, 0x3f00, v73
	v_lshlrev_b16 v73, 8, v73
	v_and_or_b32 v46, 0x30303030, v47, v46
	v_and_or_b32 v47, 0x30303030, v82, v74
	v_and_b32_e32 v74, 0x3f00, v51
	v_lshlrev_b16 v51, 8, v51
	v_or_b32_sdwa v50, v72, v50 dst_sel:DWORD dst_unused:UNUSED_PAD src0_sel:DWORD src1_sel:BYTE_1
	v_add_nc_u16 v71, 0xe000, v71
	v_add_nc_u16 v72, 0xe000, v73
	v_lshrrev_b32_e32 v69, 4, v69
	v_add_nc_u16 v51, 0xe000, v51
	v_add_nc_u16 v50, 0xe000, v50
	v_or_b32_sdwa v71, v98, v71 dst_sel:DWORD dst_unused:UNUSED_PAD src0_sel:DWORD src1_sel:BYTE_1
	v_or_b32_sdwa v72, v99, v72 dst_sel:DWORD dst_unused:UNUSED_PAD src0_sel:DWORD src1_sel:BYTE_1
	v_and_b32_e32 v75, 0xf0f0f0f, v1
	v_or_b32_sdwa v51, v74, v51 dst_sel:DWORD dst_unused:UNUSED_PAD src0_sel:DWORD src1_sel:BYTE_1
	v_and_b32_e32 v69, 0xf0f0f0f, v69
	v_add_nc_u16 v71, 0xe000, v71
	v_add_nc_u16 v72, 0xe000, v72
	v_lshlrev_b32_e32 v83, 4, v54
	v_add_nc_u16 v51, 0xe000, v51
	v_lshrrev_b32_e32 v1, 4, v1
	v_lshlrev_b32_e32 v71, 16, v71
	v_lshlrev_b32_e32 v72, 16, v72
	v_and_or_b32 v0, 0x30303030, v0, v69
	v_and_or_b32 v69, 0x30303030, v83, v75
	v_lshrrev_b32_e32 v75, 16, v52
	v_or_b32_sdwa v50, v50, v71 dst_sel:DWORD dst_unused:UNUSED_PAD src0_sel:WORD_0 src1_sel:DWORD
	v_or_b32_sdwa v51, v51, v72 dst_sel:DWORD dst_unused:UNUSED_PAD src0_sel:WORD_0 src1_sel:DWORD
	v_lshrrev_b32_e32 v77, 16, v53
	v_and_b32_e32 v76, 0xf0f0f0f, v55
	v_and_b32_e32 v1, 0xf0f0f0f, v1
	v_lshlrev_b32_e32 v84, 4, v56
	v_and_b32_e32 v100, 0x3f00, v75
	v_lshlrev_b16 v75, 8, v75
	v_and_b32_e32 v104, 0x3f00, v77
	v_lshlrev_b16 v77, 8, v77
	v_and_or_b32 v1, 0x30303030, v54, v1
	v_and_or_b32 v54, 0x30303030, v84, v76
	v_and_b32_e32 v76, 0x3f00, v52
	v_lshlrev_b16 v52, 8, v52
	v_and_b32_e32 v79, 0x3f00, v53
	v_lshlrev_b16 v53, 8, v53
	v_add_nc_u16 v73, 0xe000, v75
	v_add_nc_u16 v74, 0xe000, v77
	v_add_nc_u16 v52, 0xe000, v52
	v_lshrrev_b32_e32 v80, 16, v70
	v_add_nc_u16 v53, 0xe000, v53
	v_or_b32_sdwa v73, v100, v73 dst_sel:DWORD dst_unused:UNUSED_PAD src0_sel:DWORD src1_sel:BYTE_1
	v_or_b32_sdwa v74, v104, v74 dst_sel:DWORD dst_unused:UNUSED_PAD src0_sel:DWORD src1_sel:BYTE_1
	v_or_b32_sdwa v52, v76, v52 dst_sel:DWORD dst_unused:UNUSED_PAD src0_sel:DWORD src1_sel:BYTE_1
	v_lshrrev_b32_e32 v82, 16, v48
	v_or_b32_sdwa v53, v79, v53 dst_sel:DWORD dst_unused:UNUSED_PAD src0_sel:DWORD src1_sel:BYTE_1
	v_add_nc_u16 v73, 0xe000, v73
	v_add_nc_u16 v74, 0xe000, v74
	v_add_nc_u16 v52, 0xe000, v52
	v_and_b32_e32 v105, 0x3f00, v80
	v_add_nc_u16 v53, 0xe000, v53
	v_lshlrev_b32_e32 v73, 16, v73
	v_lshlrev_b32_e32 v74, 16, v74
	v_lshlrev_b16 v80, 8, v80
	v_and_b32_e32 v106, 0x3f00, v82
	v_lshlrev_b16 v82, 8, v82
	v_or_b32_sdwa v52, v52, v73 dst_sel:DWORD dst_unused:UNUSED_PAD src0_sel:WORD_0 src1_sel:DWORD
	v_or_b32_sdwa v53, v53, v74 dst_sel:DWORD dst_unused:UNUSED_PAD src0_sel:WORD_0 src1_sel:DWORD
	v_and_b32_e32 v81, 0x3f00, v70
	v_lshlrev_b16 v70, 8, v70
	v_and_b32_e32 v83, 0x3f00, v48
	v_lshlrev_b16 v48, 8, v48
	v_add_nc_u16 v75, 0xe000, v80
	v_add_nc_u16 v76, 0xe000, v82
	v_add_nc_u16 v70, 0xe000, v70
	v_lshrrev_b32_e32 v84, 16, v49
	v_add_nc_u16 v48, 0xe000, v48
	v_or_b32_sdwa v75, v105, v75 dst_sel:DWORD dst_unused:UNUSED_PAD src0_sel:DWORD src1_sel:BYTE_1
	v_or_b32_sdwa v76, v106, v76 dst_sel:DWORD dst_unused:UNUSED_PAD src0_sel:DWORD src1_sel:BYTE_1
	v_or_b32_sdwa v70, v81, v70 dst_sel:DWORD dst_unused:UNUSED_PAD src0_sel:DWORD src1_sel:BYTE_1
	v_lshrrev_b32_e32 v86, 16, v46
	v_or_b32_sdwa v48, v83, v48 dst_sel:DWORD dst_unused:UNUSED_PAD src0_sel:DWORD src1_sel:BYTE_1
	v_add_nc_u16 v75, 0xe000, v75
	v_add_nc_u16 v76, 0xe000, v76
	v_add_nc_u16 v70, 0xe000, v70
	v_and_b32_e32 v107, 0x3f00, v84
	v_add_nc_u16 v48, 0xe000, v48
	v_lshlrev_b32_e32 v75, 16, v75
	v_lshlrev_b32_e32 v76, 16, v76
	v_lshlrev_b16 v84, 8, v84
	v_and_b32_e32 v108, 0x3f00, v86
	v_lshlrev_b16 v86, 8, v86
	v_or_b32_sdwa v70, v70, v75 dst_sel:DWORD dst_unused:UNUSED_PAD src0_sel:WORD_0 src1_sel:DWORD
	v_or_b32_sdwa v48, v48, v76 dst_sel:DWORD dst_unused:UNUSED_PAD src0_sel:WORD_0 src1_sel:DWORD
	;; [unrolled: 26-line block ×4, first 2 shown]
	v_and_b32_e32 v93, 0x3f00, v69
	v_lshlrev_b16 v69, 8, v69
	v_and_b32_e32 v95, 0x3f00, v1
	v_lshlrev_b16 v1, 8, v1
	v_add_nc_u16 v82, 0xe000, v92
	v_add_nc_u16 v83, 0xe000, v94
	;; [unrolled: 1-line block ×3, first 2 shown]
	v_lshrrev_b32_e32 v96, 16, v54
	v_add_nc_u16 v1, 0xe000, v1
	v_or_b32_sdwa v82, v111, v82 dst_sel:DWORD dst_unused:UNUSED_PAD src0_sel:DWORD src1_sel:BYTE_1
	v_or_b32_sdwa v83, v112, v83 dst_sel:DWORD dst_unused:UNUSED_PAD src0_sel:DWORD src1_sel:BYTE_1
	v_lshrrev_b32_e32 v55, 4, v55
	v_or_b32_sdwa v69, v93, v69 dst_sel:DWORD dst_unused:UNUSED_PAD src0_sel:DWORD src1_sel:BYTE_1
	v_or_b32_sdwa v1, v95, v1 dst_sel:DWORD dst_unused:UNUSED_PAD src0_sel:DWORD src1_sel:BYTE_1
	v_add_nc_u16 v82, 0xe000, v82
	v_add_nc_u16 v83, 0xe000, v83
	v_and_b32_e32 v113, 0x3f00, v96
	v_lshlrev_b16 v96, 8, v96
	v_add_nc_u16 v69, 0xe000, v69
	v_add_nc_u16 v1, 0xe000, v1
	v_lshlrev_b32_e32 v82, 16, v82
	v_lshlrev_b32_e32 v83, 16, v83
	v_and_b32_e32 v97, 0x3f00, v54
	v_lshlrev_b16 v54, 8, v54
	v_or_b32_sdwa v1, v1, v83 dst_sel:DWORD dst_unused:UNUSED_PAD src0_sel:WORD_0 src1_sel:DWORD
	v_add_nc_u16 v54, 0xe000, v54
	s_waitcnt vmcnt(14)
	v_ashrrev_i32_e32 v58, v103, v58
	s_waitcnt vmcnt(8)
	v_ashrrev_i32_e32 v45, v103, v45
	;; [unrolled: 2-line block ×4, first 2 shown]
	s_waitcnt vmcnt(1)
	ds_write2_b32 v62, v50, v51 offset1:16
	s_clause 0x1
	buffer_load_dword v50, off, s[20:23], 0 offset:76
	buffer_load_dword v51, off, s[20:23], 0 offset:80
	v_ashrrev_i32_e32 v38, v103, v38
	s_waitcnt vmcnt(1)
	ds_write2_b32 v50, v52, v53 offset1:16
	s_clause 0x1
	buffer_load_dword v50, off, s[20:23], 0 offset:88
	buffer_load_dword v51, off, s[20:23], 0 offset:92
	s_waitcnt vmcnt(1)
	ds_write2_b32 v50, v70, v48 offset1:16
	s_clause 0x2
	buffer_load_dword v50, off, s[20:23], 0 offset:100
	buffer_load_dword v51, off, s[20:23], 0 offset:104
	;; [unrolled: 1-line block ×3, first 2 shown]
	v_and_b32_e32 v48, 0xf0f0f0f, v55
	v_and_or_b32 v48, 0x30303030, v56, v48
	s_waitcnt vmcnt(2)
	ds_write2_b32 v50, v49, v46 offset1:16
	v_add_nc_u16 v46, 0xe000, v96
	s_waitcnt vmcnt(0)
	v_mad_i64_i32 v[34:35], null, 0xd2, v51, v[34:35]
	s_clause 0x1
	buffer_load_dword v51, off, s[20:23], 0 offset:112
	buffer_load_dword v52, off, s[20:23], 0 offset:116
	v_or_b32_sdwa v49, v69, v82 dst_sel:DWORD dst_unused:UNUSED_PAD src0_sel:WORD_0 src1_sel:DWORD
	v_or_b32_sdwa v46, v113, v46 dst_sel:DWORD dst_unused:UNUSED_PAD src0_sel:DWORD src1_sel:BYTE_1
	v_or_b32_sdwa v50, v97, v54 dst_sel:DWORD dst_unused:UNUSED_PAD src0_sel:DWORD src1_sel:BYTE_1
	s_waitcnt vmcnt(1)
	ds_write2_b32 v51, v47, v0 offset1:16
	s_clause 0x1
	buffer_load_dword v51, off, s[20:23], 0 offset:124
	buffer_load_dword v52, off, s[20:23], 0 offset:128
	v_add_nc_u16 v0, 0xe000, v50
	v_lshlrev_b16 v50, 8, v48
	v_add_nc_u16 v50, 0xe000, v50
	s_waitcnt vmcnt(1)
	ds_write2_b32 v51, v49, v1 offset1:16
	v_lshrrev_b32_e32 v49, 16, v48
	v_add_nc_u16 v1, 0xe000, v46
	v_add_co_u32 v46, vcc_lo, v34, v101
	v_add_co_ci_u32_e64 v47, null, 0, v35, vcc_lo
	v_add_co_u32 v34, vcc_lo, v34, v102
	v_lshlrev_b16 v51, 8, v49
	v_add_co_ci_u32_e64 v35, null, 0, v35, vcc_lo
	s_clause 0x1
	global_load_dword v54, v[46:47], off
	global_load_dword v55, v[34:35], off offset:128
	v_and_b32_e32 v34, 0x3f00, v49
	v_add_nc_u16 v35, 0xe000, v51
	v_and_b32_e32 v48, 0x3f00, v48
	v_and_b32_e32 v46, 0xf0f0f0f, v36
	v_lshlrev_b32_e32 v47, 4, v43
	v_lshrrev_b32_e32 v36, 4, v36
	v_or_b32_sdwa v79, v34, v35 dst_sel:DWORD dst_unused:UNUSED_PAD src0_sel:DWORD src1_sel:BYTE_1
	buffer_load_dword v34, off, s[20:23], 0 offset:260 ; 4-byte Folded Reload
	v_or_b32_sdwa v56, v48, v50 dst_sel:DWORD dst_unused:UNUSED_PAD src0_sel:DWORD src1_sel:BYTE_1
	s_clause 0x1
	buffer_load_dword v48, off, s[20:23], 0 offset:264
	buffer_load_dword v50, off, s[20:23], 0
	v_and_or_b32 v80, 0x30303030, v47, v46
	buffer_load_dword v46, off, s[20:23], 0 offset:252 ; 4-byte Folded Reload
	v_and_b32_e32 v36, 0xf0f0f0f, v36
	v_lshlrev_b32_e32 v1, 16, v1
	v_lshrrev_b32_e32 v81, 16, v80
	v_and_or_b32 v36, 0x30303030, v43, v36
	v_or_b32_sdwa v0, v0, v1 dst_sel:DWORD dst_unused:UNUSED_PAD src0_sel:WORD_0 src1_sel:DWORD
	s_waitcnt vmcnt(3)
	v_mad_i64_i32 v[34:35], null, 0xd2, v34, s[0:1]
	s_waitcnt vmcnt(2)
	v_mad_i64_i32 v[48:49], null, 0xd2, v48, s[0:1]
	s_waitcnt vmcnt(0)
	v_mad_i64_i32 v[46:47], null, 0xd2, v46, s[0:1]
	s_lshl_b32 s0, s9, 3
	v_add_co_u32 v34, vcc_lo, v34, v122
	v_add_co_ci_u32_e64 v35, null, 0, v35, vcc_lo
	v_add_co_u32 v48, vcc_lo, v48, v122
	v_add_co_ci_u32_e64 v49, null, 0, v49, vcc_lo
	s_clause 0x2
	global_load_ushort v82, v[46:47], off offset:208
	global_load_dword v83, v[34:35], off offset:192
	global_load_dword v84, v[48:49], off offset:192
	s_clause 0x1
	buffer_load_dword v34, off, s[20:23], 0 offset:268
	buffer_load_dword v35, off, s[20:23], 0 offset:272
	v_add_nc_u32_e32 v72, s0, v128
	s_mov_b32 s1, -1
	s_clause 0x3
	buffer_load_dword v47, off, s[20:23], 0 offset:8
	buffer_load_dword v49, off, s[20:23], 0 offset:12
	;; [unrolled: 1-line block ×4, first 2 shown]
	v_add_nc_u32_e32 v50, v72, v50
	s_waitcnt vmcnt(5)
	v_add_nc_u32_e32 v71, s0, v34
	buffer_load_dword v34, off, s[20:23], 0 offset:4 ; 4-byte Folded Reload
	s_waitcnt vmcnt(4)
	v_add_nc_u32_e32 v48, v72, v47
	s_waitcnt vmcnt(2)
	v_add_nc_u32_e32 v52, v72, v51
	buffer_load_dword v51, off, s[20:23], 0 offset:20 ; 4-byte Folded Reload
	s_waitcnt vmcnt(2)
	v_add_nc_u32_e32 v74, v72, v62
	buffer_load_dword v62, off, s[20:23], 0 offset:28 ; 4-byte Folded Reload
	v_mad_i64_i32 v[52:53], null, v52, 36, v[67:68]
	v_mad_i64_i32 v[74:75], null, v74, 36, v[67:68]
	s_waitcnt vmcnt(2)
	v_add_nc_u32_e32 v46, v72, v34
	v_mad_i64_i32 v[34:35], null, v50, 36, v[67:68]
	v_add_nc_u32_e32 v50, v72, v49
	v_mad_i64_i32 v[48:49], null, v48, 36, v[67:68]
	v_mad_i64_i32 v[46:47], null, v46, 36, v[67:68]
	s_waitcnt vmcnt(1)
	v_add_nc_u32_e32 v69, v72, v51
	v_mad_i64_i32 v[50:51], null, v50, 36, v[67:68]
	s_waitcnt vmcnt(0)
	v_add_nc_u32_e32 v76, v72, v62
	v_mad_u64_u32 v[72:73], null, v71, 36, s[2:3]
	v_mad_i64_i32 v[69:70], null, v69, 36, v[67:68]
	v_mad_i64_i32 v[76:77], null, v76, 36, v[67:68]
	s_clause 0x8
	global_load_dword v34, v[34:35], off offset:4
	global_load_dword v35, v[46:47], off offset:4
	;; [unrolled: 1-line block ×4, first 2 shown]
	global_load_dword v48, v[72:73], off
	global_load_dword v49, v[52:53], off offset:4
	global_load_dword v50, v[69:70], off offset:4
	;; [unrolled: 1-line block ×4, first 2 shown]
	s_clause 0x1
	buffer_load_dword v62, off, s[20:23], 0 offset:136
	buffer_load_dword v63, off, s[20:23], 0 offset:140
	v_add_nc_u16 v69, 0xe000, v79
	v_add_nc_u16 v53, 0xe000, v56
	v_lshlrev_b16 v56, 8, v80
	v_lshlrev_b16 v70, 8, v81
	v_and_b32_e32 v72, 0x3f00, v80
	v_and_b32_e32 v73, 0x3f00, v81
	v_lshlrev_b32_e32 v43, 16, v69
	v_add_nc_u16 v56, 0xe000, v56
	v_add_nc_u16 v70, 0xe000, v70
	v_lshrrev_b32_e32 v69, 16, v36
	v_or_b32_sdwa v43, v53, v43 dst_sel:DWORD dst_unused:UNUSED_PAD src0_sel:WORD_0 src1_sel:DWORD
	v_or_b32_sdwa v56, v72, v56 dst_sel:DWORD dst_unused:UNUSED_PAD src0_sel:DWORD src1_sel:BYTE_1
	v_or_b32_sdwa v1, v73, v70 dst_sel:DWORD dst_unused:UNUSED_PAD src0_sel:DWORD src1_sel:BYTE_1
	v_lshlrev_b16 v70, 8, v69
	v_and_b32_e32 v69, 0x3f00, v69
	v_and_b32_e32 v72, 0xf0f0f0f, v57
	v_lshlrev_b32_e32 v73, 4, v58
	v_add_nc_u16 v53, 0xe000, v56
	v_lshlrev_b16 v56, 8, v36
	v_add_nc_u16 v1, 0xe000, v1
	v_add_nc_u16 v70, 0xe000, v70
	v_and_b32_e32 v36, 0x3f00, v36
	v_add_nc_u16 v56, 0xe000, v56
	v_lshlrev_b32_e32 v1, 16, v1
	v_or_b32_sdwa v36, v36, v56 dst_sel:DWORD dst_unused:UNUSED_PAD src0_sel:DWORD src1_sel:BYTE_1
	v_or_b32_sdwa v1, v53, v1 dst_sel:DWORD dst_unused:UNUSED_PAD src0_sel:WORD_0 src1_sel:DWORD
	v_lshrrev_b32_e32 v53, 4, v57
	v_add_nc_u16 v36, 0xe000, v36
	v_and_b32_e32 v53, 0xf0f0f0f, v53
	v_and_or_b32 v53, 0x30303030, v58, v53
	s_waitcnt vmcnt(1)
	ds_write2_b32 v62, v0, v43 offset1:16
	v_or_b32_sdwa v0, v69, v70 dst_sel:DWORD dst_unused:UNUSED_PAD src0_sel:DWORD src1_sel:BYTE_1
	v_and_or_b32 v43, 0x30303030, v73, v72
	s_clause 0x1
	buffer_load_dword v62, off, s[20:23], 0 offset:148
	buffer_load_dword v63, off, s[20:23], 0 offset:152
	v_add_nc_u16 v0, 0xe000, v0
	v_lshrrev_b32_e32 v56, 16, v43
	v_lshlrev_b16 v57, 8, v43
	v_and_b32_e32 v43, 0x3f00, v43
	v_lshlrev_b32_e32 v0, 16, v0
	v_lshlrev_b16 v69, 8, v56
	v_add_nc_u16 v57, 0xe000, v57
	v_or_b32_sdwa v0, v36, v0 dst_sel:DWORD dst_unused:UNUSED_PAD src0_sel:WORD_0 src1_sel:DWORD
	v_and_b32_e32 v36, 0x3f00, v56
	v_add_nc_u16 v56, 0xe000, v69
	v_or_b32_sdwa v43, v43, v57 dst_sel:DWORD dst_unused:UNUSED_PAD src0_sel:DWORD src1_sel:BYTE_1
	v_lshrrev_b32_e32 v57, 16, v53
	s_waitcnt vmcnt(1)
	ds_write2_b32 v62, v1, v0 offset1:16
	v_ashrrev_i32_e32 v0, v103, v60
	v_or_b32_sdwa v1, v36, v56 dst_sel:DWORD dst_unused:UNUSED_PAD src0_sel:DWORD src1_sel:BYTE_1
	v_add_nc_u16 v36, 0xe000, v43
	v_lshlrev_b16 v43, 8, v57
	v_and_b32_e32 v56, 0xf0f0f0f, v59
	v_lshlrev_b16 v60, 8, v53
	v_and_b32_e32 v57, 0x3f00, v57
	v_and_b32_e32 v53, 0x3f00, v53
	v_lshrrev_b32_e32 v59, 4, v59
	v_lshlrev_b32_e32 v58, 4, v0
	v_add_nc_u16 v43, 0xe000, v43
	v_add_nc_u16 v1, 0xe000, v1
	v_and_b32_e32 v59, 0xf0f0f0f, v59
	v_and_or_b32 v56, 0x30303030, v58, v56
	v_add_nc_u16 v58, 0xe000, v60
	v_or_b32_sdwa v43, v57, v43 dst_sel:DWORD dst_unused:UNUSED_PAD src0_sel:DWORD src1_sel:BYTE_1
	v_lshlrev_b32_e32 v1, 16, v1
	v_and_or_b32 v0, 0x30303030, v0, v59
	v_ashrrev_i32_e32 v59, v103, v78
	v_lshrrev_b32_e32 v57, 16, v56
	v_or_b32_sdwa v53, v53, v58 dst_sel:DWORD dst_unused:UNUSED_PAD src0_sel:DWORD src1_sel:BYTE_1
	v_lshlrev_b16 v58, 8, v56
	v_add_nc_u16 v43, 0xe000, v43
	v_and_b32_e32 v56, 0x3f00, v56
	v_or_b32_sdwa v1, v36, v1 dst_sel:DWORD dst_unused:UNUSED_PAD src0_sel:WORD_0 src1_sel:DWORD
	v_lshlrev_b32_e32 v69, 4, v59
	v_lshlrev_b16 v60, 8, v57
	v_add_nc_u16 v58, 0xe000, v58
	v_and_b32_e32 v57, 0x3f00, v57
	v_add_nc_u16 v53, 0xe000, v53
	v_lshlrev_b32_e32 v43, 16, v43
	v_add_nc_u16 v60, 0xe000, v60
	v_or_b32_sdwa v56, v56, v58 dst_sel:DWORD dst_unused:UNUSED_PAD src0_sel:DWORD src1_sel:BYTE_1
	v_lshrrev_b32_e32 v58, 16, v0
	v_or_b32_sdwa v36, v53, v43 dst_sel:DWORD dst_unused:UNUSED_PAD src0_sel:WORD_0 src1_sel:DWORD
	v_or_b32_sdwa v57, v57, v60 dst_sel:DWORD dst_unused:UNUSED_PAD src0_sel:DWORD src1_sel:BYTE_1
	v_add_nc_u16 v43, 0xe000, v56
	v_lshlrev_b16 v56, 8, v58
	v_and_b32_e32 v58, 0x3f00, v58
	v_and_b32_e32 v60, 0xf0f0f0f, v61
	v_add_nc_u16 v53, 0xe000, v57
	v_lshlrev_b16 v57, 8, v0
	v_add_nc_u16 v56, 0xe000, v56
	v_and_b32_e32 v0, 0x3f00, v0
	v_lshlrev_b32_e32 v53, 16, v53
	v_add_nc_u16 v57, 0xe000, v57
	v_or_b32_sdwa v56, v58, v56 dst_sel:DWORD dst_unused:UNUSED_PAD src0_sel:DWORD src1_sel:BYTE_1
	v_and_or_b32 v58, 0x30303030, v69, v60
	v_or_b32_sdwa v43, v43, v53 dst_sel:DWORD dst_unused:UNUSED_PAD src0_sel:WORD_0 src1_sel:DWORD
	v_or_b32_sdwa v0, v0, v57 dst_sel:DWORD dst_unused:UNUSED_PAD src0_sel:DWORD src1_sel:BYTE_1
	v_lshrrev_b32_e32 v57, 4, v61
	v_lshlrev_b16 v60, 8, v58
	v_add_nc_u16 v53, 0xe000, v56
	v_add_nc_u16 v0, 0xe000, v0
	v_and_b32_e32 v56, 0xf0f0f0f, v57
	v_lshrrev_b32_e32 v57, 16, v58
	v_and_b32_e32 v58, 0x3f00, v58
	v_add_nc_u16 v60, 0xe000, v60
	v_lshlrev_b32_e32 v53, 16, v53
	v_and_or_b32 v56, 0x30303030, v59, v56
	v_lshlrev_b16 v59, 8, v57
	v_or_b32_sdwa v58, v58, v60 dst_sel:DWORD dst_unused:UNUSED_PAD src0_sel:DWORD src1_sel:BYTE_1
	s_clause 0x1
	buffer_load_dword v60, off, s[20:23], 0 offset:160
	buffer_load_dword v61, off, s[20:23], 0 offset:164
	v_or_b32_sdwa v0, v0, v53 dst_sel:DWORD dst_unused:UNUSED_PAD src0_sel:WORD_0 src1_sel:DWORD
	v_and_b32_e32 v53, 0x3f00, v57
	v_lshrrev_b32_e32 v57, 16, v56
	v_add_nc_u16 v59, 0xe000, v59
	s_waitcnt vmcnt(1)
	ds_write2_b32 v60, v1, v36 offset1:16
	v_or_b32_sdwa v1, v53, v59 dst_sel:DWORD dst_unused:UNUSED_PAD src0_sel:DWORD src1_sel:BYTE_1
	v_and_b32_e32 v53, 0x3f00, v57
	v_add_nc_u16 v36, 0xe000, v58
	s_clause 0x1
	buffer_load_dword v60, off, s[20:23], 0 offset:172
	buffer_load_dword v61, off, s[20:23], 0 offset:176
	v_add_nc_u16 v1, 0xe000, v1
	v_lshlrev_b32_e32 v1, 16, v1
	v_or_b32_sdwa v1, v36, v1 dst_sel:DWORD dst_unused:UNUSED_PAD src0_sel:WORD_0 src1_sel:DWORD
	s_waitcnt vmcnt(1)
	ds_write2_b32 v60, v43, v0 offset1:16
	v_lshlrev_b16 v0, 8, v57
	v_lshlrev_b32_e32 v57, 4, v45
	v_lshlrev_b16 v43, 8, v56
	v_and_b32_e32 v56, 0x3f00, v56
	v_add_nc_u16 v0, 0xe000, v0
	v_add_nc_u16 v43, 0xe000, v43
	v_or_b32_sdwa v0, v53, v0 dst_sel:DWORD dst_unused:UNUSED_PAD src0_sel:DWORD src1_sel:BYTE_1
	v_and_b32_e32 v53, 0xf0f0f0f, v44
	v_lshrrev_b32_e32 v44, 4, v44
	v_or_b32_sdwa v43, v56, v43 dst_sel:DWORD dst_unused:UNUSED_PAD src0_sel:DWORD src1_sel:BYTE_1
	v_add_nc_u16 v0, 0xe000, v0
	v_and_or_b32 v53, 0x30303030, v57, v53
	s_clause 0x1
	buffer_load_dword v57, off, s[20:23], 0 offset:184
	buffer_load_dword v58, off, s[20:23], 0 offset:188
	v_and_b32_e32 v44, 0xf0f0f0f, v44
	v_add_nc_u16 v43, 0xe000, v43
	v_lshlrev_b32_e32 v0, 16, v0
	v_and_or_b32 v36, 0x30303030, v45, v44
	v_lshrrev_b32_e32 v44, 16, v53
	v_lshlrev_b16 v45, 8, v53
	v_or_b32_sdwa v0, v43, v0 dst_sel:DWORD dst_unused:UNUSED_PAD src0_sel:WORD_0 src1_sel:DWORD
	v_and_b32_e32 v43, 0x3f00, v53
	v_lshrrev_b32_e32 v53, 16, v36
	v_lshlrev_b16 v56, 8, v44
	v_add_nc_u16 v45, 0xe000, v45
	v_or_b32_sdwa v43, v43, v45 dst_sel:DWORD dst_unused:UNUSED_PAD src0_sel:DWORD src1_sel:BYTE_1
	v_lshlrev_b16 v45, 8, v36
	v_and_b32_e32 v36, 0x3f00, v36
	v_add_nc_u16 v43, 0xe000, v43
	s_waitcnt vmcnt(1)
	ds_write2_b32 v57, v1, v0 offset1:16
	v_and_b32_e32 v0, 0x3f00, v44
	v_add_nc_u16 v44, 0xe000, v56
	v_lshlrev_b16 v1, 8, v53
	v_and_b32_e32 v53, 0x3f00, v53
	s_clause 0x1
	buffer_load_dword v56, off, s[20:23], 0 offset:196
	buffer_load_dword v57, off, s[20:23], 0 offset:200
	v_or_b32_sdwa v0, v0, v44 dst_sel:DWORD dst_unused:UNUSED_PAD src0_sel:DWORD src1_sel:BYTE_1
	v_add_nc_u16 v1, 0xe000, v1
	v_add_nc_u16 v44, 0xe000, v45
	v_and_b32_e32 v45, 0xf0f0f0f, v41
	v_lshrrev_b32_e32 v41, 4, v41
	v_add_nc_u16 v0, 0xe000, v0
	v_or_b32_sdwa v1, v53, v1 dst_sel:DWORD dst_unused:UNUSED_PAD src0_sel:DWORD src1_sel:BYTE_1
	v_lshlrev_b32_e32 v53, 4, v42
	v_or_b32_sdwa v36, v36, v44 dst_sel:DWORD dst_unused:UNUSED_PAD src0_sel:DWORD src1_sel:BYTE_1
	v_and_b32_e32 v41, 0xf0f0f0f, v41
	v_lshlrev_b32_e32 v0, 16, v0
	v_add_nc_u16 v1, 0xe000, v1
	v_and_or_b32 v44, 0x30303030, v53, v45
	v_add_nc_u16 v36, 0xe000, v36
	v_and_or_b32 v41, 0x30303030, v42, v41
	v_and_b32_e32 v53, 0xf0f0f0f, v54
	v_lshlrev_b32_e32 v1, 16, v1
	v_lshrrev_b32_e32 v45, 16, v44
	v_or_b32_sdwa v0, v43, v0 dst_sel:DWORD dst_unused:UNUSED_PAD src0_sel:WORD_0 src1_sel:DWORD
	v_lshlrev_b16 v43, 8, v44
	v_and_b32_e32 v44, 0x3f00, v44
	v_or_b32_sdwa v1, v36, v1 dst_sel:DWORD dst_unused:UNUSED_PAD src0_sel:WORD_0 src1_sel:DWORD
	v_lshlrev_b16 v36, 8, v45
	v_add_nc_u16 v42, 0xe000, v43
	v_and_b32_e32 v43, 0x3f00, v45
	v_lshlrev_b32_e32 v45, 4, v40
	v_add_nc_u16 v36, 0xe000, v36
	v_or_b32_sdwa v36, v43, v36 dst_sel:DWORD dst_unused:UNUSED_PAD src0_sel:DWORD src1_sel:BYTE_1
	v_add_nc_u16 v36, 0xe000, v36
	v_lshlrev_b32_e32 v36, 16, v36
	s_waitcnt vmcnt(1)
	ds_write2_b32 v56, v0, v1 offset1:16
	v_lshrrev_b32_e32 v0, 16, v41
	v_or_b32_sdwa v1, v44, v42 dst_sel:DWORD dst_unused:UNUSED_PAD src0_sel:DWORD src1_sel:BYTE_1
	v_lshlrev_b16 v42, 8, v41
	v_and_b32_e32 v44, 0xf0f0f0f, v39
	v_and_b32_e32 v41, 0x3f00, v41
	v_lshrrev_b32_e32 v39, 4, v39
	v_lshlrev_b16 v43, 8, v0
	v_add_nc_u16 v42, 0xe000, v42
	v_and_b32_e32 v0, 0x3f00, v0
	v_and_or_b32 v44, 0x30303030, v45, v44
	v_add_nc_u16 v1, 0xe000, v1
	v_and_b32_e32 v39, 0xf0f0f0f, v39
	v_add_nc_u16 v43, 0xe000, v43
	v_or_b32_sdwa v41, v41, v42 dst_sel:DWORD dst_unused:UNUSED_PAD src0_sel:DWORD src1_sel:BYTE_1
	v_lshrrev_b32_e32 v42, 16, v44
	v_lshlrev_b16 v45, 8, v44
	v_or_b32_sdwa v1, v1, v36 dst_sel:DWORD dst_unused:UNUSED_PAD src0_sel:WORD_0 src1_sel:DWORD
	v_and_or_b32 v36, 0x30303030, v40, v39
	v_and_b32_e32 v44, 0x3f00, v44
	v_or_b32_sdwa v0, v0, v43 dst_sel:DWORD dst_unused:UNUSED_PAD src0_sel:DWORD src1_sel:BYTE_1
	v_lshlrev_b16 v43, 8, v42
	v_add_nc_u16 v41, 0xe000, v41
	v_and_b32_e32 v42, 0x3f00, v42
	v_add_nc_u16 v45, 0xe000, v45
	v_add_nc_u16 v0, 0xe000, v0
	;; [unrolled: 1-line block ×3, first 2 shown]
	v_or_b32_sdwa v40, v44, v45 dst_sel:DWORD dst_unused:UNUSED_PAD src0_sel:DWORD src1_sel:BYTE_1
	v_lshlrev_b16 v45, 8, v36
	v_lshlrev_b32_e32 v0, 16, v0
	v_or_b32_sdwa v39, v42, v43 dst_sel:DWORD dst_unused:UNUSED_PAD src0_sel:DWORD src1_sel:BYTE_1
	v_and_b32_e32 v42, 0xf0f0f0f, v37
	v_lshlrev_b32_e32 v43, 4, v38
	v_add_nc_u16 v40, 0xe000, v40
	v_lshrrev_b32_e32 v37, 4, v37
	v_or_b32_sdwa v0, v41, v0 dst_sel:DWORD dst_unused:UNUSED_PAD src0_sel:WORD_0 src1_sel:DWORD
	v_lshrrev_b32_e32 v41, 16, v36
	v_add_nc_u16 v39, 0xe000, v39
	v_and_or_b32 v42, 0x30303030, v43, v42
	v_and_b32_e32 v36, 0x3f00, v36
	v_and_b32_e32 v37, 0xf0f0f0f, v37
	v_lshlrev_b16 v44, 8, v41
	v_lshlrev_b32_e32 v39, 16, v39
	v_and_b32_e32 v41, 0x3f00, v41
	v_and_or_b32 v37, 0x30303030, v38, v37
	v_add_nc_u16 v43, 0xe000, v44
	v_or_b32_sdwa v39, v40, v39 dst_sel:DWORD dst_unused:UNUSED_PAD src0_sel:WORD_0 src1_sel:DWORD
	v_add_nc_u16 v40, 0xe000, v45
	v_lshlrev_b16 v44, 8, v42
	v_lshrrev_b32_e32 v45, 4, v54
	v_or_b32_sdwa v41, v41, v43 dst_sel:DWORD dst_unused:UNUSED_PAD src0_sel:DWORD src1_sel:BYTE_1
	v_lshrrev_b32_e32 v43, 16, v42
	v_or_b32_sdwa v36, v36, v40 dst_sel:DWORD dst_unused:UNUSED_PAD src0_sel:DWORD src1_sel:BYTE_1
	v_and_b32_e32 v42, 0x3f00, v42
	v_add_nc_u16 v44, 0xe000, v44
	v_and_b32_e32 v45, 0xf0f0f0f, v45
	v_lshlrev_b16 v40, 8, v43
	v_and_b32_e32 v43, 0x3f00, v43
	v_add_nc_u16 v41, 0xe000, v41
	v_or_b32_sdwa v42, v42, v44 dst_sel:DWORD dst_unused:UNUSED_PAD src0_sel:DWORD src1_sel:BYTE_1
	v_lshlrev_b16 v44, 8, v37
	v_add_nc_u16 v36, 0xe000, v36
	v_add_nc_u16 v40, 0xe000, v40
	v_lshlrev_b32_e32 v38, 16, v41
	v_add_nc_u16 v41, 0xe000, v42
	v_lshrrev_b32_e32 v42, 16, v37
	v_and_b32_e32 v37, 0x3f00, v37
	v_add_nc_u16 v44, 0xe000, v44
	v_or_b32_sdwa v40, v43, v40 dst_sel:DWORD dst_unused:UNUSED_PAD src0_sel:DWORD src1_sel:BYTE_1
	v_ashrrev_i32_e32 v43, v103, v55
	v_lshlrev_b16 v55, 8, v42
	v_and_b32_e32 v42, 0x3f00, v42
	v_or_b32_sdwa v37, v37, v44 dst_sel:DWORD dst_unused:UNUSED_PAD src0_sel:DWORD src1_sel:BYTE_1
	v_or_b32_sdwa v36, v36, v38 dst_sel:DWORD dst_unused:UNUSED_PAD src0_sel:WORD_0 src1_sel:DWORD
	v_lshlrev_b32_e32 v54, 4, v43
	v_and_or_b32 v43, 0x30303030, v43, v45
	v_add_nc_u16 v44, 0xe000, v55
	v_add_nc_u16 v40, 0xe000, v40
	;; [unrolled: 1-line block ×3, first 2 shown]
	v_and_or_b32 v53, 0x30303030, v54, v53
	v_lshrrev_b32_e32 v54, 16, v43
	v_or_b32_sdwa v42, v42, v44 dst_sel:DWORD dst_unused:UNUSED_PAD src0_sel:DWORD src1_sel:BYTE_1
	s_waitcnt vmcnt(0)
	v_lshlrev_b16 v57, 8, v43
	v_and_b32_e32 v43, 0x3f00, v43
	v_lshlrev_b32_e32 v40, 16, v40
	v_lshrrev_b32_e32 v45, 16, v53
	v_lshlrev_b16 v56, 8, v54
	v_and_b32_e32 v55, 0x3f00, v53
	v_lshlrev_b16 v53, 8, v53
	v_and_b32_e32 v54, 0x3f00, v54
	v_or_b32_sdwa v38, v41, v40 dst_sel:DWORD dst_unused:UNUSED_PAD src0_sel:WORD_0 src1_sel:DWORD
	v_add_nc_u16 v42, 0xe000, v42
	v_lshlrev_b16 v44, 8, v45
	v_and_b32_e32 v45, 0x3f00, v45
	v_add_nc_u16 v56, 0xe000, v56
	v_add_nc_u16 v53, 0xe000, v53
	v_lshlrev_b32_e32 v42, 16, v42
	v_add_nc_u16 v44, 0xe000, v44
	v_or_b32_sdwa v54, v54, v56 dst_sel:DWORD dst_unused:UNUSED_PAD src0_sel:DWORD src1_sel:BYTE_1
	v_or_b32_sdwa v53, v55, v53 dst_sel:DWORD dst_unused:UNUSED_PAD src0_sel:DWORD src1_sel:BYTE_1
	v_or_b32_sdwa v37, v37, v42 dst_sel:DWORD dst_unused:UNUSED_PAD src0_sel:WORD_0 src1_sel:DWORD
	v_cvt_f32_f16_e32 v42, v82
	v_or_b32_sdwa v44, v45, v44 dst_sel:DWORD dst_unused:UNUSED_PAD src0_sel:DWORD src1_sel:BYTE_1
	v_add_nc_u16 v45, 0xe000, v57
	v_add_nc_u16 v53, 0xe000, v53
	;; [unrolled: 1-line block ×3, first 2 shown]
	v_or_b32_sdwa v43, v43, v45 dst_sel:DWORD dst_unused:UNUSED_PAD src0_sel:DWORD src1_sel:BYTE_1
	v_add_nc_u16 v45, 0xe000, v54
	v_lshlrev_b32_e32 v44, 16, v44
	v_add_nc_u16 v43, 0xe000, v43
	v_lshlrev_b32_e32 v45, 16, v45
	v_or_b32_sdwa v40, v53, v44 dst_sel:DWORD dst_unused:UNUSED_PAD src0_sel:WORD_0 src1_sel:DWORD
	v_or_b32_sdwa v41, v43, v45 dst_sel:DWORD dst_unused:UNUSED_PAD src0_sel:WORD_0 src1_sel:DWORD
	s_clause 0x1
	buffer_load_dword v43, off, s[20:23], 0 offset:208
	buffer_load_dword v44, off, s[20:23], 0 offset:212
	s_waitcnt vmcnt(1)
	ds_write2_b32 v43, v1, v0 offset1:16
	s_clause 0x1
	buffer_load_dword v0, off, s[20:23], 0 offset:220
	buffer_load_dword v1, off, s[20:23], 0 offset:224
	s_waitcnt vmcnt(1)
	ds_write2_b32 v0, v39, v36 offset1:16
	;; [unrolled: 5-line block ×4, first 2 shown]
	buffer_load_dword v0, off, s[20:23], 0 offset:256 ; 4-byte Folded Reload
	s_waitcnt vmcnt(0)
	ds_write_b32 v0, v42
	buffer_load_dword v0, off, s[20:23], 0 offset:276 ; 4-byte Folded Reload
	s_waitcnt vmcnt(0)
	ds_write_b32 v0, v83
	;; [unrolled: 3-line block ×5, first 2 shown]
	ds_write_b32 v159, v46
	ds_write_b32 v160, v47
	v_cvt_f32_f16_e32 v0, v48
	ds_write_b32 v161, v49
	ds_write_b32 v162, v50
	;; [unrolled: 1-line block ×5, first 2 shown]
	s_waitcnt lgkmcnt(0)
	s_waitcnt_vscnt null, 0x0
	s_barrier
	buffer_gl0_inv
	buffer_load_dword v0, off, s[20:23], 0 offset:32 ; 4-byte Folded Reload
	s_waitcnt vmcnt(0)
	ds_read_b32 v72, v0
	buffer_load_dword v0, off, s[20:23], 0 offset:36 ; 4-byte Folded Reload
	s_waitcnt lgkmcnt(0)
	v_mov_b32_e32 v76, v72
	v_mov_b32_e32 v77, v72
	v_mov_b32_e32 v78, v72
	s_waitcnt vmcnt(0)
	ds_read_b32 v73, v0 offset:128
	buffer_load_dword v0, off, s[20:23], 0 offset:40 ; 4-byte Folded Reload
	s_waitcnt lgkmcnt(0)
	v_mov_b32_e32 v79, v73
	v_mov_b32_e32 v80, v73
	v_mov_b32_e32 v81, v73
	s_waitcnt vmcnt(0)
	ds_read_b32 v74, v0 offset:256
	;; [unrolled: 7-line block ×3, first 2 shown]
	s_waitcnt lgkmcnt(0)
	v_mov_b32_e32 v85, v75
	v_mov_b32_e32 v86, v75
	;; [unrolled: 1-line block ×3, first 2 shown]
.LBB136_6:                              ;   Parent Loop BB136_5 Depth=1
                                        ; =>  This Inner Loop Header: Depth=2
	v_lshlrev_b32_e32 v168, 2, v138
	s_lshl_b32 s11, s15, 1
	s_lshl_b32 s16, s15, 3
	s_lshr_b32 s15, s15, 1
	v_lshlrev_b32_e32 v169, 2, v137
	s_add_i32 s15, s15, 0xa200
	v_or_b32_e32 v98, s11, v115
	v_add3_u32 v0, s15, v168, v166
	v_add_nc_u32_e32 v194, s16, v152
	v_add_nc_u32_e32 v195, s16, v153
	;; [unrolled: 1-line block ×3, first 2 shown]
	v_add3_u32 v1, s15, v169, v165
	v_add_nc_u32_e32 v193, s16, v151
	v_lshlrev_b32_e32 v170, 2, v98
	ds_read_b32 v96, v0
	ds_read_b32 v97, v1
	ds_read2_b32 v[50:51], v193 offset0:12 offset1:13
	ds_read2_b32 v[52:53], v193 offset0:14 offset1:15
	ds_read_b128 v[36:39], v170 offset:33328
	ds_read_b128 v[204:207], v170 offset:33312
	ds_read2_b32 v[104:105], v194 offset0:12 offset1:13
	ds_read2_b32 v[106:107], v194 offset0:14 offset1:15
	;; [unrolled: 1-line block ×8, first 2 shown]
	v_mov_b32_e32 v88, 0
	v_mov_b32_e32 v89, 0
	;; [unrolled: 1-line block ×4, first 2 shown]
	v_or_b32_e32 v0, s11, v144
	v_mov_b32_e32 v180, 0
	v_mov_b32_e32 v179, 0
	;; [unrolled: 1-line block ×4, first 2 shown]
	v_lshlrev_b32_e32 v58, 2, v0
	v_lshrrev_b32_e32 v0, 1, v0
	v_or_b32_e32 v201, s11, v145
	v_mov_b32_e32 v93, 0
	v_mov_b32_e32 v95, 0
	v_mov_b32_e32 v94, 0
	s_waitcnt lgkmcnt(9)
	v_dot4c_i32_i8 v88, v50, v36
	s_waitcnt lgkmcnt(7)
	v_dot4c_i32_i8 v89, v104, v36
	;; [unrolled: 2-line block ×4, first 2 shown]
	v_lshlrev_b32_e32 v171, 2, v201
	v_dot4c_i32_i8 v88, v51, v37
	v_dot4c_i32_i8 v89, v105, v37
	;; [unrolled: 1-line block ×4, first 2 shown]
	ds_read2_b32 v[223:224], v196 offset0:14 offset1:15
	ds_read_b128 v[34:37], v58 offset:33280
	v_dot4c_i32_i8 v88, v52, v38
	v_dot4c_i32_i8 v89, v106, v38
	;; [unrolled: 1-line block ×3, first 2 shown]
	v_mov_b32_e32 v92, 0
	v_mov_b32_e32 v186, 0
	v_dot4c_i32_i8 v88, v53, v39
	v_dot4c_i32_i8 v89, v107, v39
	;; [unrolled: 1-line block ×3, first 2 shown]
	v_mov_b32_e32 v187, 0
	v_mov_b32_e32 v183, 0
	;; [unrolled: 1-line block ×3, first 2 shown]
	v_or_b32_e32 v202, s11, v147
	v_mov_b32_e32 v174, 0
	v_mov_b32_e32 v176, 0
	;; [unrolled: 1-line block ×4, first 2 shown]
	v_lshlrev_b32_e32 v172, 2, v202
	v_mov_b32_e32 v191, 0
	s_waitcnt lgkmcnt(1)
	v_dot4c_i32_i8 v91, v223, v38
	v_mov_b32_e32 v192, 0
	v_mov_b32_e32 v190, 0
	;; [unrolled: 1-line block ×3, first 2 shown]
	v_or_b32_e32 v210, s11, v149
	v_dot4c_i32_i8 v91, v224, v39
	ds_read_b64 v[38:39], v0 offset:43584
	ds_read_b128 v[40:43], v58 offset:33328
	v_or_b32_e32 v0, s11, v146
	v_mov_b32_e32 v184, 0
	v_lshlrev_b32_e32 v60, 2, v210
	v_mov_b32_e32 v188, 0
	v_mov_b32_e32 v185, 0
	v_lshrrev_b32_e32 v1, 1, v0
	v_lshlrev_b32_e32 v203, 2, v0
	v_or_b32_e32 v0, s11, v148
	v_mov_b32_e32 v182, 0
	v_mov_b32_e32 v238, 0
	;; [unrolled: 1-line block ×4, first 2 shown]
	v_lshlrev_b32_e32 v225, 2, v0
	v_mov_b32_e32 v235, 0
	v_mov_b32_e32 v232, 0
	;; [unrolled: 1-line block ×6, first 2 shown]
	s_waitcnt lgkmcnt(0)
	v_dot4c_i32_i8 v180, v50, v40
	v_dot4c_i32_i8 v179, v104, v40
	v_dot4c_i32_i8 v178, v208, v40
	v_dot4c_i32_i8 v177, v221, v40
	v_mov_b32_e32 v255, 0
	v_dot4c_i32_i8 v180, v51, v41
	v_dot4c_i32_i8 v179, v105, v41
	v_dot4c_i32_i8 v178, v209, v41
	v_dot4c_i32_i8 v177, v222, v41
	v_mov_b32_e32 v114, 0
	;; [unrolled: 5-line block ×3, first 2 shown]
	v_dot4c_i32_i8 v180, v53, v43
	v_dot4c_i32_i8 v179, v107, v43
	;; [unrolled: 1-line block ×4, first 2 shown]
	ds_read_b128 v[40:43], v171 offset:33328
	ds_read_b128 v[217:220], v171 offset:33312
	v_mov_b32_e32 v117, 0
	v_mov_b32_e32 v62, 0
	;; [unrolled: 1-line block ×18, first 2 shown]
	s_waitcnt lgkmcnt(1)
	v_dot4c_i32_i8 v93, v50, v40
	v_dot4c_i32_i8 v95, v104, v40
	v_dot4c_i32_i8 v94, v208, v40
	v_dot4c_i32_i8 v92, v221, v40
	v_mov_b32_e32 v131, 0
	v_dot4c_i32_i8 v93, v51, v41
	v_dot4c_i32_i8 v95, v105, v41
	v_dot4c_i32_i8 v94, v209, v41
	v_dot4c_i32_i8 v92, v222, v41
	v_mov_b32_e32 v132, 0
	;; [unrolled: 5-line block ×3, first 2 shown]
	v_dot4c_i32_i8 v93, v53, v43
	v_dot4c_i32_i8 v95, v107, v43
	;; [unrolled: 1-line block ×4, first 2 shown]
	ds_read_b64 v[40:41], v1 offset:43584
	ds_read_b128 v[42:45], v203 offset:33328
	v_lshrrev_b32_e32 v1, 1, v0
	v_or_b32_e32 v0, s11, v150
	v_mov_b32_e32 v136, 0
	v_mov_b32_e32 v134, 0
	;; [unrolled: 1-line block ×4, first 2 shown]
	v_lshlrev_b32_e32 v234, 2, v0
	v_mov_b32_e32 v141, 0
	v_mov_b32_e32 v142, 0
	;; [unrolled: 1-line block ×4, first 2 shown]
	s_and_b32 vcc_lo, exec_lo, s1
	s_mov_b32 s1, 0
	s_waitcnt lgkmcnt(0)
	v_dot4c_i32_i8 v186, v50, v42
	v_dot4c_i32_i8 v187, v104, v42
	;; [unrolled: 1-line block ×16, first 2 shown]
	ds_read_b128 v[42:45], v172 offset:33328
	ds_read_b128 v[226:229], v172 offset:33312
	s_waitcnt lgkmcnt(1)
	v_dot4c_i32_i8 v174, v50, v42
	v_dot4c_i32_i8 v176, v104, v42
	;; [unrolled: 1-line block ×8, first 2 shown]
	ds_read_b64 v[42:43], v1 offset:43584
	ds_read_b128 v[197:200], v225 offset:33328
	v_dot4c_i32_i8 v174, v52, v44
	v_dot4c_i32_i8 v176, v106, v44
	v_dot4c_i32_i8 v175, v215, v44
	v_dot4c_i32_i8 v173, v223, v44
	v_lshrrev_b32_e32 v1, 1, v0
	v_dot4c_i32_i8 v174, v53, v45
	v_dot4c_i32_i8 v176, v107, v45
	;; [unrolled: 1-line block ×4, first 2 shown]
	s_waitcnt lgkmcnt(0)
	v_dot4c_i32_i8 v191, v50, v197
	v_dot4c_i32_i8 v192, v104, v197
	;; [unrolled: 1-line block ×16, first 2 shown]
	ds_read_b128 v[197:200], v60 offset:33328
	ds_read_b128 v[239:242], v60 offset:33312
	ds_read_b64 v[44:45], v1 offset:43584
	ds_read_b128 v[211:214], v234 offset:33328
	s_waitcnt lgkmcnt(3)
	v_dot4c_i32_i8 v184, v50, v197
	v_dot4c_i32_i8 v188, v104, v197
	;; [unrolled: 1-line block ×4, first 2 shown]
	v_mov_b32_e32 v197, 0
	v_dot4c_i32_i8 v184, v51, v198
	v_dot4c_i32_i8 v188, v105, v198
	;; [unrolled: 1-line block ×4, first 2 shown]
	v_mov_b32_e32 v198, 0
	v_dot4c_i32_i8 v184, v52, v199
	s_waitcnt lgkmcnt(0)
	v_dot4c_i32_i8 v197, v221, v211
	v_mov_b32_e32 v221, 0
	v_dot4c_i32_i8 v182, v223, v199
	v_dot4c_i32_i8 v198, v50, v211
	v_dot4c_i32_i8 v184, v53, v200
	v_dot4c_i32_i8 v197, v222, v212
	v_mov_b32_e32 v222, 0
	v_dot4c_i32_i8 v182, v224, v200
	v_dot4c_i32_i8 v198, v51, v212
	v_dot4c_i32_i8 v188, v106, v199
	;; [unrolled: 5-line block ×3, first 2 shown]
	v_dot4c_i32_i8 v197, v224, v214
	v_mov_b32_e32 v224, 0
	v_dot4c_i32_i8 v185, v216, v200
	v_dot4c_i32_i8 v198, v53, v214
	ds_read2_b32 v[50:51], v193 offset0:8 offset1:9
	ds_read2_b32 v[52:53], v193 offset0:10 offset1:11
	;; [unrolled: 1-line block ×8, first 2 shown]
	v_mov_b32_e32 v200, 0
	v_mov_b32_e32 v199, 0
	v_dot4c_i32_i8 v200, v104, v211
	v_dot4c_i32_i8 v199, v208, v211
	v_mov_b32_e32 v211, 0
	v_mov_b32_e32 v208, 0
	v_dot4c_i32_i8 v200, v105, v212
	v_dot4c_i32_i8 v199, v209, v212
	v_mov_b32_e32 v212, 0
	v_mov_b32_e32 v209, 0
	s_waitcnt lgkmcnt(7)
	v_dot4c_i32_i8 v221, v50, v204
	v_dot4c_i32_i8 v200, v106, v213
	s_waitcnt lgkmcnt(4)
	v_dot4c_i32_i8 v223, v99, v204
	v_dot4c_i32_i8 v212, v50, v226
	s_waitcnt lgkmcnt(2)
	v_dot4c_i32_i8 v224, v54, v204
	s_waitcnt lgkmcnt(1)
	v_dot4c_i32_i8 v222, v110, v204
	v_dot4c_i32_i8 v221, v51, v205
	;; [unrolled: 1-line block ×16, first 2 shown]
	ds_read_b128 v[204:207], v58 offset:33312
	ds_read_b128 v[243:246], v58 offset:33296
	v_dot4c_i32_i8 v212, v51, v227
	v_dot4c_i32_i8 v211, v100, v227
	v_dot4c_i32_i8 v209, v55, v227
	v_dot4c_i32_i8 v208, v111, v227
	v_mov_b32_e32 v227, 0
	v_dot4c_i32_i8 v212, v52, v228
	v_dot4c_i32_i8 v211, v46, v228
	v_dot4c_i32_i8 v209, v48, v228
	v_dot4c_i32_i8 v208, v69, v228
	v_mov_b32_e32 v228, 0
	;; [unrolled: 5-line block ×3, first 2 shown]
	v_mov_b32_e32 v226, 0
	v_dot4c_i32_i8 v199, v215, v213
	v_dot4c_i32_i8 v200, v107, v214
	s_waitcnt lgkmcnt(1)
	v_dot4c_i32_i8 v238, v50, v204
	v_dot4c_i32_i8 v237, v99, v204
	;; [unrolled: 1-line block ×9, first 2 shown]
	v_mov_b32_e32 v216, 0
	v_dot4c_i32_i8 v238, v52, v206
	v_dot4c_i32_i8 v237, v46, v206
	;; [unrolled: 1-line block ×4, first 2 shown]
	v_mov_b32_e32 v215, 0
	v_dot4c_i32_i8 v238, v53, v207
	v_dot4c_i32_i8 v237, v47, v207
	;; [unrolled: 1-line block ×4, first 2 shown]
	ds_read_b128 v[204:207], v203 offset:33312
	ds_read_b128 v[247:250], v203 offset:33296
	v_mov_b32_e32 v214, 0
	v_mov_b32_e32 v213, 0
	v_dot4c_i32_i8 v216, v50, v217
	v_dot4c_i32_i8 v215, v99, v217
	;; [unrolled: 1-line block ×6, first 2 shown]
	v_mov_b32_e32 v217, 0
	v_dot4c_i32_i8 v214, v55, v218
	v_dot4c_i32_i8 v213, v111, v218
	;; [unrolled: 1-line block ×4, first 2 shown]
	v_mov_b32_e32 v218, 0
	v_dot4c_i32_i8 v214, v48, v219
	v_dot4c_i32_i8 v213, v69, v219
	;; [unrolled: 1-line block ×3, first 2 shown]
	s_waitcnt lgkmcnt(1)
	v_dot4c_i32_i8 v232, v50, v204
	v_dot4c_i32_i8 v233, v99, v204
	;; [unrolled: 1-line block ×19, first 2 shown]
	ds_read_b128 v[204:207], v225 offset:33312
	ds_read_b128 v[251:254], v225 offset:33296
	v_mov_b32_e32 v220, 0
	v_mov_b32_e32 v219, 0
	s_waitcnt lgkmcnt(1)
	v_dot4c_i32_i8 v228, v50, v204
	v_dot4c_i32_i8 v229, v99, v204
	v_dot4c_i32_i8 v227, v54, v204
	v_dot4c_i32_i8 v226, v110, v204
	v_mov_b32_e32 v204, 0
	v_dot4c_i32_i8 v228, v51, v205
	v_dot4c_i32_i8 v229, v100, v205
	v_dot4c_i32_i8 v227, v55, v205
	v_dot4c_i32_i8 v226, v111, v205
	v_mov_b32_e32 v205, 0
	;; [unrolled: 5-line block ×4, first 2 shown]
	v_dot4c_i32_i8 v206, v99, v239
	v_dot4c_i32_i8 v205, v54, v239
	;; [unrolled: 1-line block ×16, first 2 shown]
	ds_read_b128 v[239:242], v234 offset:33312
	ds_read_b128 v[104:107], v234 offset:33296
	s_waitcnt lgkmcnt(1)
	v_dot4c_i32_i8 v218, v50, v239
	v_dot4c_i32_i8 v220, v99, v239
	v_dot4c_i32_i8 v219, v54, v239
	v_dot4c_i32_i8 v217, v110, v239
	v_dot4c_i32_i8 v218, v51, v240
	v_dot4c_i32_i8 v220, v100, v240
	v_dot4c_i32_i8 v219, v55, v240
	v_dot4c_i32_i8 v217, v111, v240
	v_dot4c_i32_i8 v218, v52, v241
	v_dot4c_i32_i8 v220, v46, v241
	v_dot4c_i32_i8 v219, v48, v241
	v_dot4c_i32_i8 v217, v69, v241
	v_dot4c_i32_i8 v218, v53, v242
	v_dot4c_i32_i8 v220, v47, v242
	v_dot4c_i32_i8 v219, v49, v242
	v_dot4c_i32_i8 v217, v70, v242
	ds_read2_b32 v[50:51], v193 offset0:4 offset1:5
	ds_read_b128 v[46:49], v170 offset:33296
	ds_read_b128 v[239:242], v170 offset:33280
	ds_read2_b32 v[52:53], v194 offset0:4 offset1:5
	ds_read2_b32 v[54:55], v194 offset0:2 offset1:3
	;; [unrolled: 1-line block ×7, first 2 shown]
	v_lshlrev_b32_e32 v170, 2, v128
	s_waitcnt lgkmcnt(9)
	v_dot4c_i32_i8 v117, v50, v243
	s_waitcnt lgkmcnt(8)
	v_dot4c_i32_i8 v61, v50, v46
	;; [unrolled: 2-line block ×5, first 2 shown]
	v_dot4c_i32_i8 v62, v52, v243
	v_dot4c_i32_i8 v118, v69, v243
	;; [unrolled: 1-line block ×27, first 2 shown]
	ds_read_b128 v[46:49], v171 offset:33296
	ds_read_b128 v[243:246], v171 offset:33280
	v_dot4c_i32_i8 v121, v50, v247
	v_dot4c_i32_i8 v123, v52, v247
	;; [unrolled: 1-line block ×18, first 2 shown]
	s_waitcnt lgkmcnt(1)
	v_dot4c_i32_i8 v119, v50, v46
	v_dot4c_i32_i8 v64, v52, v46
	;; [unrolled: 1-line block ×19, first 2 shown]
	ds_read_b128 v[46:49], v172 offset:33296
	ds_read_b128 v[247:250], v172 offset:33280
	v_dot4c_i32_i8 v130, v53, v252
	v_dot4c_i32_i8 v131, v70, v252
	;; [unrolled: 1-line block ×13, first 2 shown]
	v_lshlrev_b32_e32 v171, 2, v126
	v_dot4c_i32_i8 v136, v0, v106
	v_lshlrev_b32_e32 v172, 2, v139
	v_dot4c_i32_i8 v140, v52, v104
	v_dot4c_i32_i8 v141, v69, v104
	s_waitcnt lgkmcnt(1)
	v_dot4c_i32_i8 v66, v50, v46
	v_dot4c_i32_i8 v155, v52, v46
	;; [unrolled: 1-line block ×19, first 2 shown]
	ds_read_b128 v[46:49], v60 offset:33296
	ds_read_b128 v[251:254], v60 offset:33280
	v_mov_b32_e32 v60, 0
	v_dot4c_i32_i8 v141, v70, v105
	v_dot4c_i32_i8 v142, v113, v105
	;; [unrolled: 1-line block ×6, first 2 shown]
	v_mov_b32_e32 v106, 0
	v_dot4c_i32_i8 v141, v100, v107
	v_dot4c_i32_i8 v142, v57, v107
	v_mov_b32_e32 v107, 0
	s_waitcnt lgkmcnt(1)
	v_dot4c_i32_i8 v133, v50, v46
	v_dot4c_i32_i8 v60, v52, v46
	;; [unrolled: 1-line block ×4, first 2 shown]
	v_add3_u32 v46, s15, v170, v171
	v_dot4c_i32_i8 v133, v51, v47
	v_dot4c_i32_i8 v60, v53, v47
	;; [unrolled: 1-line block ×4, first 2 shown]
	v_mov_b32_e32 v112, 0
	v_dot4c_i32_i8 v133, v0, v48
	v_dot4c_i32_i8 v60, v108, v48
	;; [unrolled: 1-line block ×4, first 2 shown]
	v_mov_b32_e32 v113, 0
	v_dot4c_i32_i8 v133, v1, v49
	ds_read2_b32 v[0:1], v193 offset0:2 offset1:3
	ds_read_b32 v104, v46
	v_add3_u32 v46, s15, v172, v167
	v_dot4c_i32_i8 v60, v109, v49
	v_dot4c_i32_i8 v134, v100, v49
	v_dot4c_i32_i8 v135, v57, v49
	ds_read2_b32 v[48:49], v194 offset1:1
	ds_read_b32 v105, v46
	ds_read2_b32 v[52:53], v196 offset1:1
	ds_read2_b32 v[46:47], v193 offset1:1
	;; [unrolled: 1-line block ×3, first 2 shown]
	v_mov_b32_e32 v193, 0
	v_mov_b32_e32 v194, 0
	;; [unrolled: 1-line block ×6, first 2 shown]
	s_mov_b32 s15, 8
	s_waitcnt lgkmcnt(4)
	v_dot4c_i32_i8 v113, v48, v34
	v_dot4c_i32_i8 v107, v48, v239
	s_waitcnt lgkmcnt(2)
	v_dot4c_i32_i8 v194, v52, v34
	s_waitcnt lgkmcnt(1)
	;; [unrolled: 2-line block ×3, first 2 shown]
	v_dot4c_i32_i8 v193, v50, v34
	v_dot4c_i32_i8 v113, v49, v35
	v_lshrrev_b32_e32 v34, 1, v201
	v_dot4c_i32_i8 v194, v53, v35
	v_dot4c_i32_i8 v112, v47, v35
	;; [unrolled: 1-line block ×14, first 2 shown]
	ds_read_b64 v[56:57], v34 offset:43584
	ds_read_b128 v[34:37], v203 offset:33280
	v_dot4c_i32_i8 v106, v47, v240
	v_dot4c_i32_i8 v107, v49, v240
	v_dot4c_i32_i8 v108, v51, v240
	v_dot4c_i32_i8 v109, v53, v240
	v_mov_b32_e32 v201, 0
	v_dot4c_i32_i8 v106, v0, v241
	v_dot4c_i32_i8 v107, v54, v241
	v_dot4c_i32_i8 v108, v110, v241
	v_dot4c_i32_i8 v109, v58, v241
	v_mov_b32_e32 v203, 0
	;; [unrolled: 5-line block ×3, first 2 shown]
	v_mov_b32_e32 v242, 0
	v_mov_b32_e32 v239, 0
	;; [unrolled: 1-line block ×3, first 2 shown]
	v_dot4c_i32_i8 v195, v46, v243
	s_waitcnt lgkmcnt(0)
	v_dot4c_i32_i8 v201, v46, v34
	v_dot4c_i32_i8 v203, v48, v34
	;; [unrolled: 1-line block ×19, first 2 shown]
	v_lshrrev_b32_e32 v34, 1, v202
	v_dot4c_i32_i8 v195, v0, v245
	v_dot4c_i32_i8 v196, v54, v245
	;; [unrolled: 1-line block ×8, first 2 shown]
	ds_read_b64 v[69:70], v34 offset:43584
	ds_read_b128 v[34:37], v225 offset:33280
	v_dot4c_i32_i8 v195, v1, v246
	v_dot4c_i32_i8 v196, v55, v246
	;; [unrolled: 1-line block ×4, first 2 shown]
	v_mov_b32_e32 v243, 0
	v_mov_b32_e32 v244, 0
	;; [unrolled: 1-line block ×5, first 2 shown]
	v_dot4c_i32_i8 v243, v46, v247
	v_dot4c_i32_i8 v244, v48, v247
	;; [unrolled: 1-line block ×4, first 2 shown]
	v_mov_b32_e32 v225, 0
	v_dot4c_i32_i8 v243, v47, v248
	v_dot4c_i32_i8 v244, v49, v248
	;; [unrolled: 1-line block ×4, first 2 shown]
	v_mov_b32_e32 v247, 0
	v_mov_b32_e32 v248, 0
	s_waitcnt lgkmcnt(0)
	v_dot4c_i32_i8 v202, v46, v34
	v_dot4c_i32_i8 v225, v48, v34
	;; [unrolled: 1-line block ×7, first 2 shown]
	v_lshrrev_b32_e32 v34, 1, v210
	v_dot4c_i32_i8 v247, v51, v35
	v_dot4c_i32_i8 v248, v53, v35
	;; [unrolled: 1-line block ×12, first 2 shown]
	ds_read_b64 v[99:100], v34 offset:43584
	ds_read_b128 v[34:37], v234 offset:33280
	v_dot4c_i32_i8 v246, v58, v249
	v_dot4c_i32_i8 v243, v1, v250
	;; [unrolled: 1-line block ×4, first 2 shown]
	v_mov_b32_e32 v249, 0
	v_dot4c_i32_i8 v246, v59, v250
	v_mov_b32_e32 v250, 0
	v_dot4c_i32_i8 v143, v50, v251
	v_dot4c_i32_i8 v157, v52, v251
	;; [unrolled: 1-line block ×3, first 2 shown]
	v_mov_b32_e32 v234, 0
	v_dot4c_i32_i8 v250, v48, v251
	v_dot4c_i32_i8 v143, v51, v252
	;; [unrolled: 1-line block ×4, first 2 shown]
	v_mov_b32_e32 v210, 0
	v_dot4c_i32_i8 v250, v49, v252
	v_mov_b32_e32 v252, 0
	v_mov_b32_e32 v251, 0
	s_waitcnt lgkmcnt(0)
	v_dot4c_i32_i8 v234, v48, v34
	v_dot4c_i32_i8 v210, v46, v34
	;; [unrolled: 1-line block ×4, first 2 shown]
	v_bfe_i32 v52, v104, 8, 8
	v_dot4c_i32_i8 v234, v49, v35
	v_dot4c_i32_i8 v251, v50, v34
	;; [unrolled: 1-line block ×4, first 2 shown]
	v_mul_lo_u32 v34, v117, v52
	v_bfe_i32 v53, v104, 0, 8
	v_dot4c_i32_i8 v234, v54, v36
	v_ashrrev_i32_e32 v54, 24, v104
	v_dot4c_i32_i8 v251, v51, v35
	v_dot4c_i32_i8 v250, v55, v254
	;; [unrolled: 1-line block ×4, first 2 shown]
	v_mad_u64_u32 v[34:35], null, v112, v53, v[34:35]
	v_mul_lo_u32 v35, v180, v54
	v_bfe_i32 v55, v104, 16, 8
	v_dot4c_i32_i8 v252, v58, v36
	v_bfe_i32 v58, v97, 8, 8
	v_dot4c_i32_i8 v210, v0, v36
	v_dot4c_i32_i8 v251, v110, v36
	;; [unrolled: 1-line block ×4, first 2 shown]
	v_mad_u64_u32 v[35:36], null, v238, v55, v[35:36]
	v_mul_lo_u32 v36, v62, v58
	v_bfe_i32 v59, v97, 0, 8
	v_ashrrev_i32_e32 v62, 24, v97
	v_dot4c_i32_i8 v210, v1, v37
	v_dot4c_i32_i8 v251, v111, v37
	;; [unrolled: 1-line block ×3, first 2 shown]
	v_lshrrev_b32_e32 v0, 1, v98
	v_bfe_i32 v97, v97, 16, 8
	v_mad_u64_u32 v[36:37], null, v113, v59, v[36:37]
	v_mul_lo_u32 v37, v179, v62
	v_bfe_i32 v98, v96, 8, 8
	v_dot4c_i32_i8 v143, v110, v253
	v_bfe_i32 v104, v96, 0, 8
	v_ashrrev_i32_e32 v110, 24, v96
	v_bfe_i32 v96, v96, 16, 8
	v_bfe_i32 v112, v105, 0, 8
	v_dot4c_i32_i8 v143, v111, v254
	v_mad_u64_u32 v[46:47], null, v237, v97, v[37:38]
	v_mul_lo_u32 v37, v118, v98
	v_bfe_i32 v111, v105, 8, 8
	v_cvt_f32_i32_e32 v34, v34
	v_cvt_f32_i32_e32 v35, v35
	v_cvt_f32_i32_e32 v36, v36
	v_dot4c_i32_i8 v249, v1, v254
	ds_read_b64 v[0:1], v0 offset:43584
	v_mad_u64_u32 v[47:48], null, v193, v104, v[37:38]
	v_mul_lo_u32 v37, v178, v110
	v_mad_u64_u32 v[48:49], null, v236, v96, v[37:38]
	v_mul_lo_u32 v37, v63, v111
	v_ashrrev_i32_e32 v63, 24, v105
	v_bfe_i32 v105, v105, 16, 8
	v_mad_u64_u32 v[49:50], null, v194, v112, v[37:38]
	v_mul_lo_u32 v37, v177, v63
	v_mad_u64_u32 v[50:51], null, v235, v105, v[37:38]
	v_cvt_f32_i32_e32 v37, v46
	v_cvt_f32_i32_e32 v46, v47
	;; [unrolled: 1-line block ×4, first 2 shown]
	v_fma_f32 v51, v38, v36, 0
	v_cvt_f32_i32_e32 v49, v50
	v_fma_f32 v50, v38, v34, 0
	v_mul_lo_u32 v34, v106, v53
	v_fmac_f32_e32 v51, v39, v37
	v_fma_f32 v113, v38, v46, 0
	v_fma_f32 v117, v38, v48, 0
	v_fmac_f32_e32 v50, v39, v35
	v_fmac_f32_e32 v30, v73, v51
	;; [unrolled: 1-line block ×3, first 2 shown]
	v_mad_u64_u32 v[34:35], null, v61, v52, v[34:35]
	v_mul_lo_u32 v35, v221, v55
	v_fmac_f32_e32 v117, v39, v49
	v_fmac_f32_e32 v10, v72, v50
	;; [unrolled: 1-line block ×3, first 2 shown]
	v_cvt_f32_i32_e32 v34, v34
	v_fmac_f32_e32 v22, v75, v117
	v_mad_u64_u32 v[35:36], null, v88, v54, v[35:36]
	v_mul_lo_u32 v36, v107, v59
	v_cvt_f32_i32_e32 v35, v35
	v_mad_u64_u32 v[36:37], null, v255, v58, v[36:37]
	v_mul_lo_u32 v37, v223, v97
	v_cvt_f32_i32_e32 v36, v36
	v_mad_u64_u32 v[37:38], null, v89, v62, v[37:38]
	v_mul_lo_u32 v38, v108, v104
	s_waitcnt lgkmcnt(0)
	v_fma_f32 v61, v0, v36, 0
	v_cvt_f32_i32_e32 v37, v37
	v_mad_u64_u32 v[38:39], null, v114, v98, v[38:39]
	v_mul_lo_u32 v39, v224, v96
	v_fmac_f32_e32 v61, v1, v37
	v_cvt_f32_i32_e32 v38, v38
	v_fma_f32 v31, v79, v61, v31
	v_mad_u64_u32 v[46:47], null, v90, v110, v[39:40]
	v_mul_lo_u32 v39, v109, v112
	v_fma_f32 v88, v0, v38, 0
	v_mad_u64_u32 v[47:48], null, v116, v111, v[39:40]
	v_mul_lo_u32 v39, v222, v105
	v_mad_u64_u32 v[48:49], null, v91, v63, v[39:40]
	v_cvt_f32_i32_e32 v39, v46
	v_cvt_f32_i32_e32 v46, v47
	v_fma_f32 v49, v0, v34, 0
	v_fmac_f32_e32 v88, v1, v39
	v_fma_f32 v89, v0, v46, 0
	v_mul_lo_u32 v0, v121, v52
	v_cvt_f32_i32_e32 v47, v48
	v_fmac_f32_e32 v49, v1, v35
	v_fma_f32 v27, v82, v88, v27
	v_fmac_f32_e32 v89, v1, v47
	v_fma_f32 v11, v76, v49, v11
	v_mad_u64_u32 v[0:1], null, v201, v53, v[0:1]
	v_mul_lo_u32 v1, v186, v54
	v_fma_f32 v23, v85, v89, v23
	v_cvt_f32_i32_e32 v0, v0
	v_mad_u64_u32 v[34:35], null, v232, v55, v[1:2]
	v_mul_lo_u32 v1, v123, v58
	v_mad_u64_u32 v[35:36], null, v203, v59, v[1:2]
	v_mul_lo_u32 v1, v187, v62
	;; [unrolled: 2-line block ×6, first 2 shown]
	v_mad_u64_u32 v[47:48], null, v230, v105, v[1:2]
	v_cvt_f32_i32_e32 v1, v34
	v_cvt_f32_i32_e32 v34, v35
	;; [unrolled: 1-line block ×6, first 2 shown]
	v_fma_f32 v46, v40, v0, 0
	v_mul_lo_u32 v0, v195, v53
	v_cvt_f32_i32_e32 v39, v47
	v_fma_f32 v47, v40, v34, 0
	v_fma_f32 v48, v40, v36, 0
	v_fmac_f32_e32 v46, v41, v1
	v_fma_f32 v90, v40, v38, 0
	v_fmac_f32_e32 v47, v41, v35
	v_mad_u64_u32 v[0:1], null, v119, v52, v[0:1]
	v_mul_lo_u32 v1, v216, v55
	v_fmac_f32_e32 v48, v41, v37
	v_fmac_f32_e32 v90, v41, v39
	v_fma_f32 v12, v77, v46, v12
	v_fma_f32 v32, v80, v47, v32
	v_cvt_f32_i32_e32 v0, v0
	v_fma_f32 v28, v83, v48, v28
	v_mad_u64_u32 v[34:35], null, v93, v54, v[1:2]
	v_mul_lo_u32 v1, v196, v59
	v_fma_f32 v24, v86, v90, v24
	v_mad_u64_u32 v[35:36], null, v64, v58, v[1:2]
	v_mul_lo_u32 v1, v215, v97
	v_fma_f32 v64, v56, v0, 0
	v_mul_lo_u32 v0, v129, v52
	v_mad_u64_u32 v[36:37], null, v95, v62, v[1:2]
	v_mul_lo_u32 v1, v239, v104
	v_mad_u64_u32 v[37:38], null, v120, v98, v[1:2]
	;; [unrolled: 2-line block ×5, first 2 shown]
	v_cvt_f32_i32_e32 v1, v34
	v_cvt_f32_i32_e32 v34, v35
	;; [unrolled: 1-line block ×5, first 2 shown]
	v_fmac_f32_e32 v64, v57, v1
	v_mad_u64_u32 v[0:1], null, v202, v53, v[0:1]
	v_mul_lo_u32 v1, v191, v54
	v_fma_f32 v65, v56, v34, 0
	v_fma_f32 v91, v56, v36, 0
	v_cvt_f32_i32_e32 v38, v39
	v_cvt_f32_i32_e32 v39, v40
	v_fma_f32 v13, v78, v64, v13
	v_fmac_f32_e32 v65, v57, v35
	v_fmac_f32_e32 v91, v57, v37
	v_mad_u64_u32 v[34:35], null, v228, v55, v[1:2]
	v_mul_lo_u32 v1, v130, v58
	v_fma_f32 v56, v56, v38, 0
	v_cvt_f32_i32_e32 v0, v0
	v_fma_f32 v33, v81, v65, v33
	v_fma_f32 v29, v84, v91, v29
	v_fmac_f32_e32 v56, v57, v39
	v_fma_f32 v57, v42, v0, 0
	v_mad_u64_u32 v[35:36], null, v225, v59, v[1:2]
	v_mul_lo_u32 v1, v192, v62
	v_mul_lo_u32 v0, v243, v53
	v_fma_f32 v25, v87, v56, v25
	v_mad_u64_u32 v[36:37], null, v229, v97, v[1:2]
	v_mul_lo_u32 v1, v131, v98
	v_mad_u64_u32 v[37:38], null, v247, v104, v[1:2]
	v_mul_lo_u32 v1, v190, v110
	;; [unrolled: 2-line block ×4, first 2 shown]
	v_mad_u64_u32 v[40:41], null, v226, v105, v[1:2]
	v_cvt_f32_i32_e32 v1, v34
	v_cvt_f32_i32_e32 v34, v35
	;; [unrolled: 1-line block ×5, first 2 shown]
	v_fmac_f32_e32 v57, v43, v1
	v_mad_u64_u32 v[0:1], null, v66, v52, v[0:1]
	v_mul_lo_u32 v1, v212, v55
	v_fma_f32 v92, v42, v34, 0
	v_fma_f32 v93, v42, v36, 0
	v_cvt_f32_i32_e32 v38, v39
	v_cvt_f32_i32_e32 v39, v40
	v_fmac_f32_e32 v18, v72, v57
	v_fmac_f32_e32 v92, v43, v35
	;; [unrolled: 1-line block ×3, first 2 shown]
	v_mad_u64_u32 v[34:35], null, v174, v54, v[1:2]
	v_mul_lo_u32 v1, v244, v59
	v_fma_f32 v42, v42, v38, 0
	v_cvt_f32_i32_e32 v0, v0
	v_fmac_f32_e32 v14, v73, v92
	v_fmac_f32_e32 v6, v74, v93
	v_fmac_f32_e32 v42, v43, v39
	v_fma_f32 v43, v69, v0, 0
	v_mad_u64_u32 v[35:36], null, v155, v58, v[1:2]
	v_mul_lo_u32 v1, v211, v97
	v_mul_lo_u32 v0, v136, v52
	v_mad_u64_u32 v[36:37], null, v176, v62, v[1:2]
	v_mul_lo_u32 v1, v245, v104
	v_mad_u64_u32 v[37:38], null, v156, v98, v[1:2]
	;; [unrolled: 2-line block ×5, first 2 shown]
	v_cvt_f32_i32_e32 v1, v34
	v_cvt_f32_i32_e32 v34, v35
	;; [unrolled: 1-line block ×5, first 2 shown]
	v_fmac_f32_e32 v43, v70, v1
	v_mad_u64_u32 v[0:1], null, v210, v53, v[0:1]
	v_mul_lo_u32 v1, v198, v54
	v_fma_f32 v66, v69, v34, 0
	v_fma_f32 v94, v69, v36, 0
	v_cvt_f32_i32_e32 v38, v39
	v_cvt_f32_i32_e32 v39, v40
	v_fma_f32 v19, v76, v43, v19
	v_fmac_f32_e32 v66, v70, v35
	v_fmac_f32_e32 v94, v70, v37
	v_mad_u64_u32 v[34:35], null, v218, v55, v[1:2]
	v_mul_lo_u32 v1, v140, v58
	v_fma_f32 v69, v69, v38, 0
	v_cvt_f32_i32_e32 v0, v0
	v_fma_f32 v15, v79, v66, v15
	v_fma_f32 v7, v82, v94, v7
	v_fmac_f32_e32 v69, v70, v39
	v_fma_f32 v70, v44, v0, 0
	v_mad_u64_u32 v[35:36], null, v234, v59, v[1:2]
	v_mul_lo_u32 v1, v200, v62
	v_mul_lo_u32 v0, v249, v53
	v_fma_f32 v3, v85, v69, v3
	v_mad_u64_u32 v[36:37], null, v220, v97, v[1:2]
	v_mul_lo_u32 v1, v141, v98
	v_mad_u64_u32 v[37:38], null, v251, v104, v[1:2]
	v_mul_lo_u32 v1, v199, v110
	v_mad_u64_u32 v[38:39], null, v219, v96, v[1:2]
	v_mul_lo_u32 v1, v142, v111
	v_mad_u64_u32 v[39:40], null, v252, v112, v[1:2]
	v_mul_lo_u32 v1, v197, v63
	v_mad_u64_u32 v[40:41], null, v217, v105, v[1:2]
	v_cvt_f32_i32_e32 v1, v34
	v_cvt_f32_i32_e32 v34, v35
	;; [unrolled: 1-line block ×5, first 2 shown]
	v_fmac_f32_e32 v70, v45, v1
	v_mad_u64_u32 v[0:1], null, v133, v52, v[0:1]
	v_mul_lo_u32 v1, v207, v55
	v_fma_f32 v95, v44, v34, 0
	v_fma_f32 v106, v44, v36, 0
	v_cvt_f32_i32_e32 v38, v39
	v_cvt_f32_i32_e32 v39, v40
	v_fma_f32 v20, v77, v70, v20
	v_fmac_f32_e32 v95, v45, v35
	v_fmac_f32_e32 v106, v45, v37
	v_mad_u64_u32 v[34:35], null, v184, v54, v[1:2]
	v_mul_lo_u32 v1, v250, v59
	v_fma_f32 v44, v44, v38, 0
	v_cvt_f32_i32_e32 v0, v0
	v_fma_f32 v16, v80, v95, v16
	v_fma_f32 v8, v83, v106, v8
	v_fmac_f32_e32 v44, v45, v39
	v_fma_f32 v0, v99, v0, 0
	v_mad_u64_u32 v[35:36], null, v60, v58, v[1:2]
	v_mul_lo_u32 v1, v206, v97
	v_fma_f32 v4, v86, v44, v4
	v_mad_u64_u32 v[36:37], null, v188, v62, v[1:2]
	v_mul_lo_u32 v1, v143, v104
	v_mad_u64_u32 v[37:38], null, v134, v98, v[1:2]
	v_mul_lo_u32 v1, v205, v96
	;; [unrolled: 2-line block ×4, first 2 shown]
	v_mad_u64_u32 v[40:41], null, v182, v63, v[1:2]
	v_cvt_f32_i32_e32 v1, v34
	v_cvt_f32_i32_e32 v34, v35
	;; [unrolled: 1-line block ×6, first 2 shown]
	v_fmac_f32_e32 v0, v100, v1
	v_fma_f32 v1, v99, v34, 0
	v_cvt_f32_i32_e32 v39, v40
	v_fma_f32 v34, v99, v36, 0
	v_fmac_f32_e32 v2, v75, v42
	v_fma_f32 v21, v78, v0, v21
	v_fmac_f32_e32 v1, v100, v35
	;; [unrolled: 2-line block ×4, first 2 shown]
	v_fma_f32 v9, v84, v34, v9
	v_fma_f32 v5, v87, v35, v5
	s_cbranch_vccnz .LBB136_6
; %bb.7:                                ;   in Loop: Header=BB136_5 Depth=1
	s_barrier
	buffer_load_dword v0, off, s[20:23], 0  ; 4-byte Folded Reload
	s_waitcnt vmcnt(0)
	buffer_gl0_inv
	s_clause 0x3
	buffer_load_dword v1, off, s[20:23], 0 offset:4
	buffer_load_dword v37, off, s[20:23], 0 offset:12
	;; [unrolled: 1-line block ×4, first 2 shown]
	v_add_nc_u32_e32 v44, s0, v137
	v_add_nc_u32_e32 v42, 4, v71
	v_mov_b32_e32 v255, v158
	s_mov_b32 s0, 16
	buffer_load_dword v39, off, s[20:23], 0 offset:16 ; 4-byte Folded Reload
	v_add_nc_u32_e32 v0, v44, v0
	s_waitcnt vmcnt(4)
	v_add_nc_u32_e32 v34, v44, v1
	buffer_load_dword v1, off, s[20:23], 0 offset:8 ; 4-byte Folded Reload
	s_waitcnt vmcnt(3)
	v_add_nc_u32_e32 v45, v44, v43
	buffer_load_dword v43, off, s[20:23], 0 offset:24 ; 4-byte Folded Reload
	v_add_nc_u32_e32 v38, v44, v37
	v_mad_i64_i32 v[34:35], null, v34, 36, v[67:68]
	s_waitcnt vmcnt(3)
	v_add_nc_u32_e32 v48, v44, v47
	s_waitcnt vmcnt(2)
	v_add_nc_u32_e32 v40, v44, v39
	v_mad_i64_i32 v[38:39], null, v38, 36, v[67:68]
	v_mad_i64_i32 v[48:49], null, v48, 36, v[67:68]
	;; [unrolled: 1-line block ×3, first 2 shown]
	s_waitcnt vmcnt(1)
	v_add_nc_u32_e32 v36, v44, v1
	v_mad_i64_i32 v[0:1], null, v0, 36, v[67:68]
	s_waitcnt vmcnt(0)
	v_add_nc_u32_e32 v46, v44, v43
	v_mad_u64_u32 v[42:43], null, v42, 36, s[2:3]
	v_mad_i64_i32 v[36:37], null, v36, 36, v[67:68]
	v_mad_i64_i32 v[44:45], null, v45, 36, v[67:68]
	v_mad_i64_i32 v[46:47], null, v46, 36, v[67:68]
	s_clause 0x8
	global_load_dword v42, v[42:43], off
	global_load_dword v0, v[0:1], off offset:4
	global_load_dword v1, v[34:35], off offset:4
	global_load_dword v34, v[36:37], off offset:4
	global_load_dword v35, v[38:39], off offset:4
	global_load_dword v36, v[40:41], off offset:4
	global_load_dword v37, v[44:45], off offset:4
	global_load_dword v38, v[46:47], off offset:4
	global_load_dword v39, v[48:49], off offset:4
	buffer_load_dword v41, off, s[20:23], 0 offset:48 ; 4-byte Folded Reload
	s_waitcnt vmcnt(9)
	v_cvt_f32_f16_e32 v40, v42
	s_waitcnt vmcnt(0)
	ds_write_b32 v41, v0
	buffer_load_dword v0, off, s[20:23], 0 offset:52 ; 4-byte Folded Reload
	s_waitcnt vmcnt(0)
	ds_write_b32 v0, v1
	ds_write_b32 v159, v34
	;; [unrolled: 1-line block ×8, first 2 shown]
	s_waitcnt lgkmcnt(0)
	s_barrier
	buffer_gl0_inv
	buffer_load_dword v0, off, s[20:23], 0 offset:32 ; 4-byte Folded Reload
	s_waitcnt vmcnt(0)
	ds_read_b32 v173, v0
	buffer_load_dword v0, off, s[20:23], 0 offset:36 ; 4-byte Folded Reload
	s_waitcnt lgkmcnt(0)
	v_mov_b32_e32 v177, v173
	v_mov_b32_e32 v178, v173
	v_mov_b32_e32 v179, v173
	s_waitcnt vmcnt(0)
	ds_read_b32 v174, v0 offset:128
	buffer_load_dword v0, off, s[20:23], 0 offset:40 ; 4-byte Folded Reload
	s_waitcnt lgkmcnt(0)
	v_mov_b32_e32 v180, v174
	v_mov_b32_e32 v181, v174
	v_mov_b32_e32 v182, v174
	s_waitcnt vmcnt(0)
	ds_read_b32 v175, v0 offset:256
	;; [unrolled: 7-line block ×3, first 2 shown]
	s_waitcnt lgkmcnt(0)
	v_mov_b32_e32 v186, v176
	v_mov_b32_e32 v187, v176
	;; [unrolled: 1-line block ×3, first 2 shown]
.LBB136_8:                              ;   Parent Loop BB136_5 Depth=1
                                        ; =>  This Inner Loop Header: Depth=2
	s_lshl_b32 s11, s0, 1
	s_lshr_b32 s16, s0, 1
	s_and_b32 s15, s11, 16
	s_lshl_b32 s1, s0, 3
	s_add_i32 s11, s16, 0xa200
	v_or_b32_e32 v197, s15, v115
	v_add_nc_u32_e32 v212, s1, v151
	v_add3_u32 v0, s11, v168, v166
	v_add_nc_u32_e32 v213, s1, v152
	v_add_nc_u32_e32 v214, s1, v153
	v_add_nc_u32_e32 v215, s1, v154
	v_add3_u32 v1, s11, v169, v165
	v_lshlrev_b32_e32 v227, 2, v197
	ds_read2_b32 v[87:88], v212 offset0:12 offset1:13
	ds_read_b32 v198, v0
	ds_read_b32 v199, v1
	ds_read2_b32 v[83:84], v212 offset0:14 offset1:15
	ds_read_b128 v[42:45], v227 offset:33328
	ds_read_b128 v[38:41], v227 offset:33312
	ds_read2_b32 v[91:92], v213 offset0:12 offset1:13
	ds_read2_b32 v[85:86], v213 offset0:14 offset1:15
	;; [unrolled: 1-line block ×8, first 2 shown]
	v_or_b32_e32 v0, s15, v144
	v_mov_b32_e32 v189, 0
	v_mov_b32_e32 v190, 0
	;; [unrolled: 1-line block ×4, first 2 shown]
	v_lshlrev_b32_e32 v233, 2, v0
	ds_read2_b32 v[97:98], v215 offset0:14 offset1:15
	ds_read_b128 v[34:37], v233 offset:33280
	v_lshrrev_b32_e32 v0, 1, v0
	v_mov_b32_e32 v207, 0
	v_mov_b32_e32 v206, 0
	;; [unrolled: 1-line block ×4, first 2 shown]
	s_waitcnt lgkmcnt(11)
	v_dot4c_i32_i8 v189, v87, v42
	s_waitcnt lgkmcnt(9)
	v_dot4c_i32_i8 v190, v91, v42
	;; [unrolled: 2-line block ×4, first 2 shown]
	v_or_b32_e32 v216, s15, v145
	v_dot4c_i32_i8 v189, v88, v43
	v_dot4c_i32_i8 v190, v92, v43
	;; [unrolled: 1-line block ×4, first 2 shown]
	v_lshlrev_b32_e32 v228, 2, v216
	v_dot4c_i32_i8 v189, v83, v44
	v_dot4c_i32_i8 v190, v85, v44
	;; [unrolled: 1-line block ×3, first 2 shown]
	s_waitcnt lgkmcnt(1)
	v_dot4c_i32_i8 v192, v97, v44
	v_mov_b32_e32 v194, 0
	v_dot4c_i32_i8 v189, v84, v45
	v_dot4c_i32_i8 v190, v86, v45
	;; [unrolled: 1-line block ×4, first 2 shown]
	ds_read_b64 v[69:70], v0 offset:43584
	ds_read_b128 v[42:45], v233 offset:33328
	v_mov_b32_e32 v196, 0
	v_mov_b32_e32 v195, 0
	;; [unrolled: 1-line block ×3, first 2 shown]
	v_or_b32_e32 v0, s15, v146
	v_mov_b32_e32 v210, 0
	v_mov_b32_e32 v211, 0
	;; [unrolled: 1-line block ×4, first 2 shown]
	v_lshrrev_b32_e32 v1, 1, v0
	v_lshlrev_b32_e32 v222, 2, v0
	v_or_b32_e32 v221, s15, v147
	v_mov_b32_e32 v201, 0
	v_mov_b32_e32 v203, 0
	;; [unrolled: 1-line block ×4, first 2 shown]
	v_lshlrev_b32_e32 v231, 2, v221
	v_or_b32_e32 v0, s15, v148
	v_mov_b32_e32 v225, 0
	v_mov_b32_e32 v226, 0
	s_waitcnt lgkmcnt(0)
	v_dot4c_i32_i8 v207, v87, v42
	v_dot4c_i32_i8 v206, v91, v42
	;; [unrolled: 1-line block ×4, first 2 shown]
	v_lshlrev_b32_e32 v234, 2, v0
	v_dot4c_i32_i8 v207, v88, v43
	v_dot4c_i32_i8 v206, v92, v43
	;; [unrolled: 1-line block ×4, first 2 shown]
	v_mov_b32_e32 v224, 0
	v_dot4c_i32_i8 v207, v83, v44
	v_dot4c_i32_i8 v206, v85, v44
	;; [unrolled: 1-line block ×4, first 2 shown]
	v_mov_b32_e32 v223, 0
	v_dot4c_i32_i8 v207, v84, v45
	v_dot4c_i32_i8 v206, v86, v45
	;; [unrolled: 1-line block ×4, first 2 shown]
	ds_read_b128 v[46:49], v228 offset:33328
	ds_read_b128 v[42:45], v228 offset:33312
	v_or_b32_e32 v232, s15, v149
	v_mov_b32_e32 v218, 0
	v_mov_b32_e32 v220, 0
	v_mov_b32_e32 v219, 0
	v_mov_b32_e32 v217, 0
	v_lshlrev_b32_e32 v62, 2, v232
	v_mov_b32_e32 v229, 0
	v_mov_b32_e32 v230, 0
	;; [unrolled: 1-line block ×12, first 2 shown]
	s_waitcnt lgkmcnt(1)
	v_dot4c_i32_i8 v194, v87, v46
	v_dot4c_i32_i8 v196, v91, v46
	v_dot4c_i32_i8 v195, v93, v46
	v_dot4c_i32_i8 v193, v95, v46
	v_mov_b32_e32 v116, 0
	v_dot4c_i32_i8 v194, v88, v47
	v_dot4c_i32_i8 v196, v92, v47
	v_dot4c_i32_i8 v195, v94, v47
	v_dot4c_i32_i8 v193, v96, v47
	v_mov_b32_e32 v117, 0
	;; [unrolled: 5-line block ×3, first 2 shown]
	v_dot4c_i32_i8 v194, v84, v49
	v_dot4c_i32_i8 v196, v86, v49
	;; [unrolled: 1-line block ×4, first 2 shown]
	ds_read_b64 v[71:72], v1 offset:43584
	ds_read_b128 v[46:49], v222 offset:33328
	v_lshrrev_b32_e32 v1, 1, v0
	v_or_b32_e32 v0, s15, v150
	v_mov_b32_e32 v119, 0
	v_mov_b32_e32 v120, 0
	;; [unrolled: 1-line block ×4, first 2 shown]
	v_lshlrev_b32_e32 v236, 2, v0
	v_mov_b32_e32 v124, 0
	v_mov_b32_e32 v125, 0
	;; [unrolled: 1-line block ×12, first 2 shown]
	s_waitcnt lgkmcnt(0)
	v_dot4c_i32_i8 v210, v87, v46
	v_dot4c_i32_i8 v211, v91, v46
	v_dot4c_i32_i8 v209, v93, v46
	v_dot4c_i32_i8 v208, v95, v46
	v_mov_b32_e32 v141, 0
	v_dot4c_i32_i8 v210, v88, v47
	v_dot4c_i32_i8 v211, v92, v47
	v_dot4c_i32_i8 v209, v94, v47
	v_dot4c_i32_i8 v208, v96, v47
	v_mov_b32_e32 v155, 0
	;; [unrolled: 5-line block ×3, first 2 shown]
	v_dot4c_i32_i8 v210, v84, v49
	v_dot4c_i32_i8 v211, v86, v49
	;; [unrolled: 1-line block ×4, first 2 shown]
	ds_read_b128 v[104:107], v231 offset:33328
	ds_read_b128 v[46:49], v231 offset:33312
	v_mov_b32_e32 v157, 0
	v_mov_b32_e32 v142, 0
	;; [unrolled: 1-line block ×3, first 2 shown]
	s_add_i32 s1, s0, 8
	s_cmp_lt_u32 s0, 24
	s_mov_b32 s0, s1
	s_waitcnt lgkmcnt(1)
	v_dot4c_i32_i8 v201, v87, v104
	v_dot4c_i32_i8 v203, v91, v104
	;; [unrolled: 1-line block ×16, first 2 shown]
	ds_read_b64 v[73:74], v1 offset:43584
	ds_read_b128 v[104:107], v234 offset:33328
	v_lshrrev_b32_e32 v1, 1, v0
	s_waitcnt lgkmcnt(0)
	v_dot4c_i32_i8 v225, v87, v104
	v_dot4c_i32_i8 v226, v91, v104
	v_dot4c_i32_i8 v224, v93, v104
	v_dot4c_i32_i8 v223, v95, v104
	v_dot4c_i32_i8 v225, v88, v105
	v_dot4c_i32_i8 v226, v92, v105
	v_dot4c_i32_i8 v224, v94, v105
	v_dot4c_i32_i8 v223, v96, v105
	v_dot4c_i32_i8 v225, v83, v106
	v_dot4c_i32_i8 v226, v85, v106
	v_dot4c_i32_i8 v224, v89, v106
	v_dot4c_i32_i8 v223, v97, v106
	v_dot4c_i32_i8 v225, v84, v107
	v_dot4c_i32_i8 v226, v86, v107
	v_dot4c_i32_i8 v224, v90, v107
	v_dot4c_i32_i8 v223, v98, v107
	ds_read_b128 v[104:107], v62 offset:33328
	ds_read_b128 v[241:244], v62 offset:33312
	s_waitcnt lgkmcnt(1)
	v_dot4c_i32_i8 v218, v87, v104
	v_dot4c_i32_i8 v220, v91, v104
	;; [unrolled: 1-line block ×16, first 2 shown]
	ds_read_b64 v[81:82], v1 offset:43584
	ds_read_b128 v[104:107], v236 offset:33328
	ds_read2_b32 v[0:1], v212 offset0:8 offset1:9
	ds_read2_b32 v[54:55], v212 offset0:10 offset1:11
	;; [unrolled: 1-line block ×8, first 2 shown]
	s_waitcnt lgkmcnt(8)
	v_dot4c_i32_i8 v229, v87, v104
	v_dot4c_i32_i8 v230, v91, v104
	v_mov_b32_e32 v87, 0
	v_mov_b32_e32 v91, 0
	v_dot4c_i32_i8 v229, v88, v105
	v_mov_b32_e32 v88, 0
	v_dot4c_i32_i8 v230, v92, v105
	;; [unrolled: 2-line block ×3, first 2 shown]
	s_waitcnt lgkmcnt(4)
	v_dot4c_i32_i8 v91, v58, v38
	v_dot4c_i32_i8 v88, v93, v104
	;; [unrolled: 1-line block ×3, first 2 shown]
	s_waitcnt lgkmcnt(2)
	v_dot4c_i32_i8 v92, v108, v38
	v_dot4c_i32_i8 v87, v96, v105
	;; [unrolled: 1-line block ×9, first 2 shown]
	v_mov_b32_e32 v89, 0
	v_dot4c_i32_i8 v92, v77, v40
	v_dot4c_i32_i8 v229, v84, v107
	;; [unrolled: 1-line block ×4, first 2 shown]
	v_mov_b32_e32 v90, 0
	v_dot4c_i32_i8 v89, v0, v38
	v_dot4c_i32_i8 v87, v98, v107
	;; [unrolled: 1-line block ×4, first 2 shown]
	s_waitcnt lgkmcnt(1)
	v_dot4c_i32_i8 v90, v110, v38
	v_dot4c_i32_i8 v89, v1, v39
	v_mov_b32_e32 v98, 0
	v_mov_b32_e32 v97, 0
	v_mov_b32_e32 v95, 0
	v_dot4c_i32_i8 v90, v111, v39
	v_dot4c_i32_i8 v89, v54, v40
	v_mov_b32_e32 v96, 0
	v_mov_b32_e32 v94, 0
	v_mov_b32_e32 v93, 0
	;; [unrolled: 5-line block ×3, first 2 shown]
	v_dot4c_i32_i8 v90, v80, v41
	ds_read_b128 v[38:41], v233 offset:33312
	ds_read_b128 v[104:107], v233 offset:33296
	v_mov_b32_e32 v233, 0
	v_mov_b32_e32 v83, 0
	v_dot4c_i32_i8 v86, v0, v42
	v_dot4c_i32_i8 v85, v58, v42
	;; [unrolled: 1-line block ×7, first 2 shown]
	v_mov_b32_e32 v42, 0
	v_dot4c_i32_i8 v83, v111, v43
	v_dot4c_i32_i8 v86, v54, v44
	;; [unrolled: 1-line block ×4, first 2 shown]
	v_mov_b32_e32 v43, 0
	v_dot4c_i32_i8 v83, v79, v44
	v_dot4c_i32_i8 v86, v55, v45
	s_waitcnt lgkmcnt(1)
	v_dot4c_i32_i8 v240, v0, v38
	v_dot4c_i32_i8 v239, v58, v38
	;; [unrolled: 1-line block ×19, first 2 shown]
	ds_read_b128 v[38:41], v222 offset:33312
	ds_read_b128 v[245:248], v222 offset:33296
	v_mov_b32_e32 v45, 0
	v_mov_b32_e32 v44, 0
	v_dot4c_i32_i8 v43, v108, v46
	v_dot4c_i32_i8 v42, v110, v46
	;; [unrolled: 1-line block ×6, first 2 shown]
	v_mov_b32_e32 v46, 0
	v_dot4c_i32_i8 v45, v1, v47
	v_dot4c_i32_i8 v44, v59, v47
	v_dot4c_i32_i8 v43, v77, v48
	v_dot4c_i32_i8 v42, v79, v48
	v_mov_b32_e32 v47, 0
	v_dot4c_i32_i8 v45, v54, v48
	v_dot4c_i32_i8 v44, v75, v48
	;; [unrolled: 1-line block ×3, first 2 shown]
	s_waitcnt lgkmcnt(1)
	v_dot4c_i32_i8 v233, v0, v38
	v_dot4c_i32_i8 v235, v58, v38
	;; [unrolled: 1-line block ×19, first 2 shown]
	ds_read_b128 v[38:41], v234 offset:33312
	ds_read_b128 v[249:252], v234 offset:33296
	v_mov_b32_e32 v49, 0
	v_mov_b32_e32 v48, 0
	s_waitcnt lgkmcnt(1)
	v_dot4c_i32_i8 v95, v0, v38
	v_dot4c_i32_i8 v96, v58, v38
	v_dot4c_i32_i8 v94, v108, v38
	v_dot4c_i32_i8 v93, v110, v38
	v_mov_b32_e32 v38, 0
	v_dot4c_i32_i8 v95, v1, v39
	v_dot4c_i32_i8 v96, v59, v39
	v_dot4c_i32_i8 v94, v109, v39
	v_dot4c_i32_i8 v93, v111, v39
	v_mov_b32_e32 v39, 0
	;; [unrolled: 5-line block ×4, first 2 shown]
	v_dot4c_i32_i8 v40, v58, v241
	v_dot4c_i32_i8 v39, v108, v241
	;; [unrolled: 1-line block ×16, first 2 shown]
	ds_read_b128 v[241:244], v236 offset:33312
	ds_read_b128 v[50:53], v236 offset:33296
	s_waitcnt lgkmcnt(1)
	v_dot4c_i32_i8 v47, v0, v241
	v_dot4c_i32_i8 v49, v58, v241
	v_dot4c_i32_i8 v48, v108, v241
	v_dot4c_i32_i8 v46, v110, v241
	v_dot4c_i32_i8 v47, v1, v242
	v_dot4c_i32_i8 v49, v59, v242
	v_dot4c_i32_i8 v48, v109, v242
	v_dot4c_i32_i8 v46, v111, v242
	v_dot4c_i32_i8 v47, v54, v243
	v_dot4c_i32_i8 v49, v75, v243
	v_dot4c_i32_i8 v48, v77, v243
	v_dot4c_i32_i8 v46, v79, v243
	v_dot4c_i32_i8 v47, v55, v244
	v_dot4c_i32_i8 v49, v76, v244
	v_dot4c_i32_i8 v48, v78, v244
	v_dot4c_i32_i8 v46, v80, v244
	ds_read2_b32 v[0:1], v212 offset0:4 offset1:5
	ds_read_b128 v[75:78], v227 offset:33296
	ds_read_b128 v[241:244], v227 offset:33280
	ds_read2_b32 v[54:55], v213 offset0:4 offset1:5
	ds_read2_b32 v[58:59], v213 offset0:2 offset1:3
	;; [unrolled: 1-line block ×7, first 2 shown]
	v_mov_b32_e32 v227, 0
	s_waitcnt lgkmcnt(9)
	v_dot4c_i32_i8 v114, v0, v104
	s_waitcnt lgkmcnt(8)
	v_dot4c_i32_i8 v63, v0, v75
	;; [unrolled: 2-line block ×5, first 2 shown]
	v_dot4c_i32_i8 v116, v54, v104
	v_dot4c_i32_i8 v117, v79, v104
	;; [unrolled: 1-line block ×27, first 2 shown]
	ds_read_b128 v[75:78], v228 offset:33296
	ds_read_b128 v[104:107], v228 offset:33280
	v_dot4c_i32_i8 v124, v0, v245
	v_dot4c_i32_i8 v125, v54, v245
	;; [unrolled: 1-line block ×18, first 2 shown]
	s_waitcnt lgkmcnt(1)
	v_dot4c_i32_i8 v119, v0, v75
	v_dot4c_i32_i8 v120, v54, v75
	;; [unrolled: 1-line block ×19, first 2 shown]
	ds_read_b128 v[75:78], v231 offset:33296
	ds_read_b128 v[245:248], v231 offset:33280
	v_dot4c_i32_i8 v135, v55, v250
	v_dot4c_i32_i8 v136, v80, v250
	;; [unrolled: 1-line block ×17, first 2 shown]
	v_add3_u32 v50, s11, v170, v171
	s_waitcnt lgkmcnt(1)
	v_dot4c_i32_i8 v130, v0, v75
	v_dot4c_i32_i8 v131, v54, v75
	;; [unrolled: 1-line block ×19, first 2 shown]
	ds_read_b128 v[75:78], v62 offset:33296
	ds_read_b128 v[249:252], v62 offset:33280
	v_mov_b32_e32 v62, 0
	v_dot4c_i32_i8 v156, v99, v52
	v_dot4c_i32_i8 v157, v108, v52
	;; [unrolled: 1-line block ×4, first 2 shown]
	v_mov_b32_e32 v228, 0
	v_dot4c_i32_i8 v156, v100, v53
	v_dot4c_i32_i8 v157, v109, v53
	;; [unrolled: 1-line block ×3, first 2 shown]
	v_mov_b32_e32 v231, 0
	s_waitcnt lgkmcnt(1)
	v_dot4c_i32_i8 v141, v0, v75
	v_dot4c_i32_i8 v62, v54, v75
	v_dot4c_i32_i8 v142, v79, v75
	v_dot4c_i32_i8 v143, v253, v75
	v_mov_b32_e32 v253, 0
	v_dot4c_i32_i8 v141, v1, v76
	v_dot4c_i32_i8 v62, v55, v76
	v_dot4c_i32_i8 v142, v80, v76
	v_dot4c_i32_i8 v143, v254, v76
	v_mov_b32_e32 v254, 0
	v_dot4c_i32_i8 v141, v56, v77
	v_dot4c_i32_i8 v62, v99, v77
	ds_read2_b32 v[0:1], v212 offset0:2 offset1:3
	ds_read_b32 v99, v50
	v_add3_u32 v50, s11, v172, v167
	ds_read2_b32 v[52:53], v213 offset1:1
	v_dot4c_i32_i8 v141, v57, v78
	v_dot4c_i32_i8 v62, v100, v78
	ds_read2_b32 v[54:55], v214 offset1:1
	ds_read_b32 v100, v50
	ds_read2_b32 v[56:57], v215 offset1:1
	ds_read2_b32 v[50:51], v212 offset1:1
	v_dot4c_i32_i8 v142, v108, v77
	v_dot4c_i32_i8 v143, v112, v77
	v_mov_b32_e32 v212, 0
	v_mov_b32_e32 v213, 0
	;; [unrolled: 1-line block ×4, first 2 shown]
	v_dot4c_i32_i8 v142, v109, v78
	v_dot4c_i32_i8 v143, v113, v78
	v_mov_b32_e32 v108, 0
	v_mov_b32_e32 v109, 0
	;; [unrolled: 1-line block ×4, first 2 shown]
	s_waitcnt lgkmcnt(4)
	v_dot4c_i32_i8 v213, v52, v34
	v_dot4c_i32_i8 v109, v52, v241
	;; [unrolled: 1-line block ×3, first 2 shown]
	s_waitcnt lgkmcnt(3)
	v_dot4c_i32_i8 v214, v54, v34
	v_dot4c_i32_i8 v112, v54, v241
	s_waitcnt lgkmcnt(1)
	v_dot4c_i32_i8 v215, v56, v34
	s_waitcnt lgkmcnt(0)
	v_dot4c_i32_i8 v212, v50, v34
	v_dot4c_i32_i8 v108, v50, v241
	;; [unrolled: 1-line block ×15, first 2 shown]
	v_mov_b32_e32 v241, 0
	v_mov_b32_e32 v242, 0
	v_lshrrev_b32_e32 v34, 1, v216
	v_dot4c_i32_i8 v212, v1, v37
	v_dot4c_i32_i8 v213, v59, v37
	;; [unrolled: 1-line block ×7, first 2 shown]
	ds_read_b64 v[75:76], v34 offset:43584
	ds_read_b128 v[34:37], v222 offset:33280
	v_dot4c_i32_i8 v231, v53, v105
	v_dot4c_i32_i8 v228, v51, v105
	v_dot4c_i32_i8 v241, v55, v105
	v_dot4c_i32_i8 v242, v57, v105
	v_mov_b32_e32 v104, 0
	v_dot4c_i32_i8 v231, v58, v106
	v_dot4c_i32_i8 v228, v0, v106
	v_dot4c_i32_i8 v241, v110, v106
	v_dot4c_i32_i8 v242, v60, v106
	v_mov_b32_e32 v105, 0
	;; [unrolled: 5-line block ×3, first 2 shown]
	v_mov_b32_e32 v107, 0
	v_dot4c_i32_i8 v108, v0, v243
	v_dot4c_i32_i8 v109, v58, v243
	;; [unrolled: 1-line block ×3, first 2 shown]
	s_waitcnt lgkmcnt(0)
	v_dot4c_i32_i8 v104, v50, v34
	v_dot4c_i32_i8 v105, v52, v34
	v_dot4c_i32_i8 v106, v54, v34
	v_dot4c_i32_i8 v107, v56, v34
	v_lshrrev_b32_e32 v34, 1, v221
	v_dot4c_i32_i8 v104, v51, v35
	v_dot4c_i32_i8 v105, v53, v35
	v_dot4c_i32_i8 v106, v55, v35
	v_dot4c_i32_i8 v107, v57, v35
	v_dot4c_i32_i8 v113, v60, v243
	v_dot4c_i32_i8 v104, v0, v36
	v_dot4c_i32_i8 v105, v58, v36
	v_dot4c_i32_i8 v106, v110, v36
	v_dot4c_i32_i8 v107, v60, v36
	v_dot4c_i32_i8 v108, v1, v244
	v_dot4c_i32_i8 v104, v1, v37
	v_dot4c_i32_i8 v105, v59, v37
	v_dot4c_i32_i8 v106, v111, v37
	v_dot4c_i32_i8 v107, v61, v37
	ds_read_b64 v[77:78], v34 offset:43584
	ds_read_b128 v[34:37], v234 offset:33280
	v_dot4c_i32_i8 v109, v59, v244
	v_dot4c_i32_i8 v112, v111, v244
	;; [unrolled: 1-line block ×3, first 2 shown]
	v_mov_b32_e32 v216, 0
	v_mov_b32_e32 v222, 0
	;; [unrolled: 1-line block ×5, first 2 shown]
	v_dot4c_i32_i8 v216, v50, v245
	v_dot4c_i32_i8 v222, v52, v245
	;; [unrolled: 1-line block ×4, first 2 shown]
	v_mov_b32_e32 v234, 0
	v_dot4c_i32_i8 v216, v51, v246
	v_dot4c_i32_i8 v222, v53, v246
	;; [unrolled: 1-line block ×4, first 2 shown]
	v_mov_b32_e32 v245, 0
	v_mov_b32_e32 v246, 0
	s_waitcnt lgkmcnt(0)
	v_dot4c_i32_i8 v221, v50, v34
	v_dot4c_i32_i8 v234, v52, v34
	;; [unrolled: 1-line block ×7, first 2 shown]
	v_lshrrev_b32_e32 v34, 1, v232
	v_dot4c_i32_i8 v245, v55, v35
	v_dot4c_i32_i8 v246, v57, v35
	;; [unrolled: 1-line block ×12, first 2 shown]
	ds_read_b64 v[79:80], v34 offset:43584
	ds_read_b128 v[34:37], v236 offset:33280
	v_dot4c_i32_i8 v244, v60, v247
	v_dot4c_i32_i8 v216, v1, v248
	;; [unrolled: 1-line block ×4, first 2 shown]
	v_mov_b32_e32 v247, 0
	v_dot4c_i32_i8 v244, v61, v248
	v_mov_b32_e32 v248, 0
	v_dot4c_i32_i8 v253, v54, v249
	v_dot4c_i32_i8 v254, v56, v249
	;; [unrolled: 1-line block ×3, first 2 shown]
	v_mov_b32_e32 v236, 0
	v_dot4c_i32_i8 v248, v52, v249
	v_dot4c_i32_i8 v253, v55, v250
	;; [unrolled: 1-line block ×4, first 2 shown]
	v_mov_b32_e32 v232, 0
	v_dot4c_i32_i8 v248, v53, v250
	v_mov_b32_e32 v250, 0
	v_mov_b32_e32 v249, 0
	s_waitcnt lgkmcnt(0)
	v_dot4c_i32_i8 v236, v52, v34
	v_dot4c_i32_i8 v232, v50, v34
	;; [unrolled: 1-line block ×4, first 2 shown]
	v_bfe_i32 v56, v99, 8, 8
	v_dot4c_i32_i8 v236, v53, v35
	v_dot4c_i32_i8 v249, v54, v34
	;; [unrolled: 1-line block ×4, first 2 shown]
	v_mul_lo_u32 v34, v114, v56
	v_bfe_i32 v57, v99, 0, 8
	v_dot4c_i32_i8 v236, v58, v36
	v_ashrrev_i32_e32 v58, 24, v99
	v_dot4c_i32_i8 v249, v55, v35
	v_dot4c_i32_i8 v248, v59, v252
	;; [unrolled: 1-line block ×4, first 2 shown]
	v_mad_u64_u32 v[34:35], null, v212, v57, v[34:35]
	v_mul_lo_u32 v35, v207, v58
	v_bfe_i32 v59, v99, 16, 8
	v_dot4c_i32_i8 v250, v60, v36
	v_bfe_i32 v60, v199, 8, 8
	v_dot4c_i32_i8 v232, v0, v36
	v_dot4c_i32_i8 v249, v110, v36
	;; [unrolled: 1-line block ×4, first 2 shown]
	v_mad_u64_u32 v[35:36], null, v240, v59, v[35:36]
	v_mul_lo_u32 v36, v116, v60
	v_bfe_i32 v61, v199, 0, 8
	v_ashrrev_i32_e32 v99, 24, v199
	v_dot4c_i32_i8 v253, v110, v251
	v_dot4c_i32_i8 v232, v1, v37
	;; [unrolled: 1-line block ×3, first 2 shown]
	v_bfe_i32 v110, v199, 16, 8
	v_bfe_i32 v114, v198, 0, 8
	v_mad_u64_u32 v[36:37], null, v213, v61, v[36:37]
	v_mul_lo_u32 v37, v206, v99
	v_dot4c_i32_i8 v253, v111, v252
	v_bfe_i32 v111, v198, 8, 8
	v_ashrrev_i32_e32 v116, 24, v198
	v_cvt_f32_i32_e32 v34, v34
	v_dot4c_i32_i8 v247, v0, v251
	v_lshrrev_b32_e32 v0, 1, v197
	v_bfe_i32 v197, v100, 8, 8
	v_mad_u64_u32 v[50:51], null, v239, v110, v[37:38]
	v_mul_lo_u32 v37, v117, v111
	v_bfe_i32 v117, v198, 16, 8
	v_fma_f32 v199, v69, v34, 0
	v_mul_lo_u32 v34, v108, v57
	v_cvt_f32_i32_e32 v35, v35
	v_bfe_i32 v198, v100, 0, 8
	v_cvt_f32_i32_e32 v36, v36
	v_dot4c_i32_i8 v247, v1, v252
	v_mad_u64_u32 v[51:52], null, v214, v114, v[37:38]
	v_mul_lo_u32 v37, v205, v116
	v_fmac_f32_e32 v199, v70, v35
	v_mad_u64_u32 v[34:35], null, v63, v56, v[34:35]
	v_mul_lo_u32 v35, v89, v59
	ds_read_b64 v[0:1], v0 offset:43584
	v_fmac_f32_e32 v10, v173, v199
	v_mad_u64_u32 v[52:53], null, v238, v117, v[37:38]
	v_mul_lo_u32 v37, v118, v197
	v_ashrrev_i32_e32 v118, 24, v100
	v_bfe_i32 v100, v100, 16, 8
	v_cvt_f32_i32_e32 v34, v34
	v_mad_u64_u32 v[53:54], null, v215, v198, v[37:38]
	v_mul_lo_u32 v37, v204, v118
	v_fma_f32 v204, v69, v36, 0
	v_mad_u64_u32 v[35:36], null, v189, v58, v[35:36]
	v_mul_lo_u32 v36, v109, v61
	v_mad_u64_u32 v[54:55], null, v237, v100, v[37:38]
	v_cvt_f32_i32_e32 v37, v50
	v_cvt_f32_i32_e32 v50, v51
	;; [unrolled: 1-line block ×5, first 2 shown]
	v_fmac_f32_e32 v204, v70, v37
	v_mad_u64_u32 v[36:37], null, v64, v60, v[36:37]
	v_mul_lo_u32 v37, v91, v110
	v_fma_f32 v205, v69, v50, 0
	v_fma_f32 v69, v69, v52, 0
	v_cvt_f32_i32_e32 v53, v54
	v_fmac_f32_e32 v30, v174, v204
	v_fmac_f32_e32 v205, v70, v51
	v_cvt_f32_i32_e32 v36, v36
	v_mad_u64_u32 v[50:51], null, v190, v99, v[37:38]
	v_mul_lo_u32 v37, v112, v114
	v_fmac_f32_e32 v69, v70, v53
	s_waitcnt lgkmcnt(0)
	v_fma_f32 v63, v0, v36, 0
	v_fmac_f32_e32 v26, v175, v205
	v_fmac_f32_e32 v22, v176, v69
	v_mad_u64_u32 v[51:52], null, v65, v111, v[37:38]
	v_mul_lo_u32 v37, v92, v117
	v_mad_u64_u32 v[52:53], null, v191, v116, v[37:38]
	v_mul_lo_u32 v37, v113, v198
	v_mad_u64_u32 v[53:54], null, v66, v197, v[37:38]
	v_mul_lo_u32 v37, v90, v100
	v_mad_u64_u32 v[54:55], null, v192, v118, v[37:38]
	v_cvt_f32_i32_e32 v37, v50
	v_cvt_f32_i32_e32 v50, v51
	;; [unrolled: 1-line block ×4, first 2 shown]
	v_fma_f32 v55, v0, v34, 0
	v_fmac_f32_e32 v63, v1, v37
	v_fma_f32 v64, v0, v50, 0
	v_cvt_f32_i32_e32 v53, v54
	v_fma_f32 v65, v0, v52, 0
	v_mul_lo_u32 v0, v124, v56
	v_fmac_f32_e32 v55, v1, v35
	v_fmac_f32_e32 v64, v1, v51
	v_fma_f32 v31, v180, v63, v31
	v_fmac_f32_e32 v65, v1, v53
	v_fma_f32 v11, v177, v55, v11
	v_fma_f32 v27, v183, v64, v27
	v_mad_u64_u32 v[0:1], null, v104, v57, v[0:1]
	v_mul_lo_u32 v1, v210, v58
	v_fma_f32 v23, v186, v65, v23
	v_cvt_f32_i32_e32 v0, v0
	v_mad_u64_u32 v[34:35], null, v233, v59, v[1:2]
	v_mul_lo_u32 v1, v125, v60
	v_fma_f32 v66, v71, v0, 0
	v_mul_lo_u32 v0, v228, v57
	v_mad_u64_u32 v[35:36], null, v105, v61, v[1:2]
	v_mul_lo_u32 v1, v211, v99
	v_mad_u64_u32 v[36:37], null, v235, v110, v[1:2]
	;; [unrolled: 2-line block ×4, first 2 shown]
	v_mul_lo_u32 v1, v129, v197
	v_cvt_f32_i32_e32 v37, v51
	v_mad_u64_u32 v[52:53], null, v107, v198, v[1:2]
	v_mul_lo_u32 v1, v208, v118
	v_mad_u64_u32 v[53:54], null, v97, v100, v[1:2]
	v_cvt_f32_i32_e32 v1, v34
	v_cvt_f32_i32_e32 v34, v35
	;; [unrolled: 1-line block ×5, first 2 shown]
	v_fmac_f32_e32 v66, v72, v1
	v_mad_u64_u32 v[0:1], null, v119, v56, v[0:1]
	v_mul_lo_u32 v1, v86, v59
	v_fma_f32 v70, v71, v34, 0
	v_fma_f32 v89, v71, v36, 0
	v_cvt_f32_i32_e32 v51, v53
	v_fma_f32 v71, v71, v50, 0
	v_fma_f32 v12, v178, v66, v12
	v_fmac_f32_e32 v70, v72, v35
	v_fmac_f32_e32 v89, v72, v37
	v_mad_u64_u32 v[34:35], null, v194, v58, v[1:2]
	v_mul_lo_u32 v1, v231, v61
	v_fmac_f32_e32 v71, v72, v51
	v_cvt_f32_i32_e32 v0, v0
	v_fma_f32 v32, v181, v70, v32
	v_fma_f32 v28, v184, v89, v28
	;; [unrolled: 1-line block ×4, first 2 shown]
	v_mad_u64_u32 v[35:36], null, v120, v60, v[1:2]
	v_mul_lo_u32 v1, v85, v110
	v_mul_lo_u32 v0, v134, v56
	v_mad_u64_u32 v[36:37], null, v196, v99, v[1:2]
	v_mul_lo_u32 v1, v241, v114
	v_mad_u64_u32 v[50:51], null, v121, v111, v[1:2]
	;; [unrolled: 2-line block ×3, first 2 shown]
	v_mul_lo_u32 v1, v242, v198
	v_cvt_f32_i32_e32 v37, v51
	v_mad_u64_u32 v[52:53], null, v123, v197, v[1:2]
	v_mul_lo_u32 v1, v83, v100
	v_mad_u64_u32 v[53:54], null, v193, v118, v[1:2]
	v_cvt_f32_i32_e32 v1, v34
	v_cvt_f32_i32_e32 v34, v35
	;; [unrolled: 1-line block ×5, first 2 shown]
	v_fmac_f32_e32 v72, v76, v1
	v_mad_u64_u32 v[0:1], null, v221, v57, v[0:1]
	v_mul_lo_u32 v1, v225, v58
	v_fma_f32 v83, v75, v34, 0
	v_fma_f32 v84, v75, v36, 0
	v_cvt_f32_i32_e32 v51, v53
	v_fma_f32 v75, v75, v50, 0
	v_fma_f32 v13, v179, v72, v13
	v_fmac_f32_e32 v83, v76, v35
	v_fmac_f32_e32 v84, v76, v37
	v_mad_u64_u32 v[34:35], null, v95, v59, v[1:2]
	v_mul_lo_u32 v1, v135, v60
	v_fmac_f32_e32 v75, v76, v51
	v_cvt_f32_i32_e32 v0, v0
	v_fma_f32 v33, v182, v83, v33
	v_fma_f32 v29, v185, v84, v29
	;; [unrolled: 1-line block ×3, first 2 shown]
	v_mad_u64_u32 v[35:36], null, v234, v61, v[1:2]
	v_mul_lo_u32 v1, v226, v99
	v_mad_u64_u32 v[36:37], null, v96, v110, v[1:2]
	v_mul_lo_u32 v1, v136, v111
	v_mad_u64_u32 v[50:51], null, v245, v114, v[1:2]
	v_mul_lo_u32 v1, v224, v116
	v_mad_u64_u32 v[51:52], null, v94, v117, v[1:2]
	v_mul_lo_u32 v1, v140, v197
	v_cvt_f32_i32_e32 v37, v51
	v_mad_u64_u32 v[52:53], null, v246, v198, v[1:2]
	v_mul_lo_u32 v1, v223, v118
	v_mad_u64_u32 v[53:54], null, v93, v100, v[1:2]
	v_cvt_f32_i32_e32 v1, v34
	v_cvt_f32_i32_e32 v34, v35
	;; [unrolled: 1-line block ×6, first 2 shown]
	v_fma_f32 v53, v73, v0, 0
	v_mul_lo_u32 v0, v216, v57
	v_fma_f32 v54, v73, v34, 0
	v_fma_f32 v76, v73, v36, 0
	;; [unrolled: 1-line block ×3, first 2 shown]
	v_fmac_f32_e32 v53, v74, v1
	v_fmac_f32_e32 v54, v74, v35
	;; [unrolled: 1-line block ×3, first 2 shown]
	v_mad_u64_u32 v[0:1], null, v130, v56, v[0:1]
	v_mul_lo_u32 v1, v45, v59
	v_fmac_f32_e32 v73, v74, v51
	v_fmac_f32_e32 v18, v173, v53
	;; [unrolled: 1-line block ×4, first 2 shown]
	v_cvt_f32_i32_e32 v0, v0
	v_mad_u64_u32 v[34:35], null, v201, v58, v[1:2]
	v_mul_lo_u32 v1, v222, v61
	v_mad_u64_u32 v[35:36], null, v131, v60, v[1:2]
	v_mul_lo_u32 v1, v44, v110
	;; [unrolled: 2-line block ×5, first 2 shown]
	v_cvt_f32_i32_e32 v37, v50
	v_fma_f32 v50, v77, v0, 0
	v_mad_u64_u32 v[51:52], null, v133, v197, v[1:2]
	v_mul_lo_u32 v1, v42, v100
	v_mul_lo_u32 v0, v155, v56
	v_mad_u64_u32 v[42:43], null, v200, v118, v[1:2]
	v_cvt_f32_i32_e32 v1, v34
	v_cvt_f32_i32_e32 v34, v35
	;; [unrolled: 1-line block ×5, first 2 shown]
	v_fmac_f32_e32 v50, v78, v1
	v_mad_u64_u32 v[0:1], null, v232, v57, v[0:1]
	v_mul_lo_u32 v1, v229, v58
	v_fma_f32 v51, v77, v34, 0
	v_fma_f32 v52, v77, v36, 0
	v_cvt_f32_i32_e32 v42, v42
	v_fma_f32 v74, v77, v43, 0
	v_fma_f32 v19, v177, v50, v19
	v_fmac_f32_e32 v51, v78, v35
	v_fmac_f32_e32 v52, v78, v37
	v_mad_u64_u32 v[34:35], null, v47, v59, v[1:2]
	v_mul_lo_u32 v1, v156, v60
	v_fmac_f32_e32 v74, v78, v42
	v_cvt_f32_i32_e32 v0, v0
	v_fma_f32 v15, v180, v51, v15
	v_fma_f32 v7, v183, v52, v7
	;; [unrolled: 1-line block ×3, first 2 shown]
	v_mad_u64_u32 v[35:36], null, v236, v61, v[1:2]
	v_mul_lo_u32 v1, v230, v99
	v_mad_u64_u32 v[36:37], null, v49, v110, v[1:2]
	v_mul_lo_u32 v1, v157, v111
	;; [unrolled: 2-line block ×4, first 2 shown]
	v_cvt_f32_i32_e32 v37, v43
	v_mad_u64_u32 v[44:45], null, v250, v198, v[1:2]
	v_mul_lo_u32 v1, v87, v118
	v_mad_u64_u32 v[45:46], null, v46, v100, v[1:2]
	v_cvt_f32_i32_e32 v1, v34
	v_cvt_f32_i32_e32 v34, v35
	;; [unrolled: 1-line block ×5, first 2 shown]
	v_fma_f32 v44, v81, v0, 0
	v_mul_lo_u32 v0, v247, v57
	v_cvt_f32_i32_e32 v43, v45
	v_fma_f32 v45, v81, v34, 0
	v_fma_f32 v46, v81, v36, 0
	v_fmac_f32_e32 v44, v82, v1
	v_fma_f32 v47, v81, v42, 0
	v_fmac_f32_e32 v45, v82, v35
	v_mad_u64_u32 v[0:1], null, v141, v56, v[0:1]
	v_mul_lo_u32 v1, v41, v59
	v_fmac_f32_e32 v46, v82, v37
	v_fmac_f32_e32 v47, v82, v43
	v_fma_f32 v20, v178, v44, v20
	v_fma_f32 v16, v181, v45, v16
	v_cvt_f32_i32_e32 v0, v0
	v_fma_f32 v8, v184, v46, v8
	v_mad_u64_u32 v[34:35], null, v218, v58, v[1:2]
	v_mul_lo_u32 v1, v248, v61
	v_fma_f32 v0, v79, v0, 0
	v_fma_f32 v4, v187, v47, v4
	v_mad_u64_u32 v[35:36], null, v62, v60, v[1:2]
	v_mul_lo_u32 v1, v40, v110
	v_mad_u64_u32 v[36:37], null, v220, v99, v[1:2]
	v_mul_lo_u32 v1, v253, v114
	;; [unrolled: 2-line block ×5, first 2 shown]
	v_cvt_f32_i32_e32 v39, v42
	v_mad_u64_u32 v[37:38], null, v217, v118, v[1:2]
	v_cvt_f32_i32_e32 v1, v34
	v_cvt_f32_i32_e32 v34, v35
	;; [unrolled: 1-line block ×5, first 2 shown]
	v_fmac_f32_e32 v0, v80, v1
	v_fma_f32 v1, v79, v34, 0
	v_cvt_f32_i32_e32 v37, v37
	v_fma_f32 v34, v79, v36, 0
	v_fmac_f32_e32 v2, v176, v73
	v_fma_f32 v21, v179, v0, v21
	v_fmac_f32_e32 v1, v80, v35
	;; [unrolled: 2-line block ×4, first 2 shown]
	v_fma_f32 v9, v185, v34, v9
	v_fma_f32 v5, v188, v35, v5
	s_cbranch_scc1 .LBB136_8
; %bb.9:                                ;   in Loop: Header=BB136_5 Depth=1
	s_add_i32 s9, s9, 1
	s_cmp_eq_u32 s9, s4
	s_barrier
	buffer_gl0_inv
	s_cbranch_scc0 .LBB136_5
; %bb.10:
	s_clause 0x2
	buffer_load_dword v34, off, s[20:23], 0 offset:292
	buffer_load_dword v1, off, s[20:23], 0 offset:284
	;; [unrolled: 1-line block ×3, first 2 shown]
.LBB136_11:
	s_mov_b32 s0, exec_lo
	s_waitcnt vmcnt(2)
	v_cmpx_gt_u32_e64 s10, v34
	s_cbranch_execz .LBB136_62
; %bb.12:
	s_waitcnt vmcnt(0)
	v_add_nc_u32_e32 v0, s6, v0
	v_mul_lo_u32 v34, v34, s14
	v_cmp_gt_u32_e32 vcc_lo, s14, v0
	s_and_saveexec_b32 s1, vcc_lo
	s_cbranch_execz .LBB136_14
; %bb.13:
	v_add_nc_u32_e32 v35, v0, v34
	v_mov_b32_e32 v36, 0
	v_lshlrev_b64 v[35:36], 2, v[35:36]
	s_waitcnt lgkmcnt(0)
	v_add_co_u32 v35, s0, s12, v35
	v_add_co_ci_u32_e64 v36, null, s13, v36, s0
	global_store_dword v[35:36], v11, off
.LBB136_14:
	s_or_b32 exec_lo, exec_lo, s1
	v_add_nc_u32_e32 v11, 32, v0
	v_cmp_gt_u32_e64 s0, s14, v11
	s_and_saveexec_b32 s2, s0
	s_cbranch_execz .LBB136_16
; %bb.15:
	v_add_nc_u32_e32 v35, v11, v34
	v_mov_b32_e32 v36, 0
	v_lshlrev_b64 v[35:36], 2, v[35:36]
	s_waitcnt lgkmcnt(0)
	v_add_co_u32 v35, s1, s12, v35
	v_add_co_ci_u32_e64 v36, null, s13, v36, s1
	global_store_dword v[35:36], v31, off
.LBB136_16:
	s_or_b32 exec_lo, exec_lo, s2
	v_add_nc_u32_e32 v31, 64, v0
	v_cmp_gt_u32_e64 s1, s14, v31
	s_and_saveexec_b32 s3, s1
	s_cbranch_execz .LBB136_18
; %bb.17:
	v_add_nc_u32_e32 v35, v31, v34
	v_mov_b32_e32 v36, 0
	v_lshlrev_b64 v[35:36], 2, v[35:36]
	s_waitcnt lgkmcnt(0)
	v_add_co_u32 v35, s2, s12, v35
	v_add_co_ci_u32_e64 v36, null, s13, v36, s2
	global_store_dword v[35:36], v27, off
.LBB136_18:
	s_or_b32 exec_lo, exec_lo, s3
	v_add_nc_u32_e32 v27, 0x60, v0
	v_cmp_gt_u32_e64 s2, s14, v27
	s_and_saveexec_b32 s4, s2
	s_cbranch_execz .LBB136_20
; %bb.19:
	v_add_nc_u32_e32 v34, v27, v34
	v_mov_b32_e32 v35, 0
	v_lshlrev_b64 v[34:35], 2, v[34:35]
	s_waitcnt lgkmcnt(0)
	v_add_co_u32 v34, s3, s12, v34
	v_add_co_ci_u32_e64 v35, null, s13, v35, s3
	global_store_dword v[34:35], v23, off
.LBB136_20:
	s_or_b32 exec_lo, exec_lo, s4
	v_add3_u32 v23, v1, s7, 8
	v_cmp_gt_u32_e64 s3, s10, v23
	s_and_b32 exec_lo, exec_lo, s3
	s_cbranch_execz .LBB136_62
; %bb.21:
	v_mul_lo_u32 v23, v23, s14
	s_and_saveexec_b32 s4, vcc_lo
	s_cbranch_execnz .LBB136_63
; %bb.22:
	s_or_b32 exec_lo, exec_lo, s4
	s_and_saveexec_b32 s4, s0
	s_cbranch_execnz .LBB136_64
.LBB136_23:
	s_or_b32 exec_lo, exec_lo, s4
	s_and_saveexec_b32 s4, s1
	s_cbranch_execnz .LBB136_65
.LBB136_24:
	s_or_b32 exec_lo, exec_lo, s4
	s_and_saveexec_b32 s4, s2
	s_cbranch_execz .LBB136_26
.LBB136_25:
	v_add_nc_u32_e32 v34, v23, v27
	v_mov_b32_e32 v35, 0
	v_lshlrev_b64 v[34:35], 2, v[34:35]
	s_waitcnt lgkmcnt(0)
	v_add_co_u32 v34, s3, s12, v34
	v_add_co_ci_u32_e64 v35, null, s13, v35, s3
	global_store_dword v[34:35], v22, off
.LBB136_26:
	s_or_b32 exec_lo, exec_lo, s4
	v_add3_u32 v10, v1, s7, 16
	v_cmp_gt_u32_e64 s3, s10, v10
	s_and_b32 exec_lo, exec_lo, s3
	s_cbranch_execz .LBB136_62
; %bb.27:
	v_mul_lo_u32 v10, v10, s14
	s_and_saveexec_b32 s4, vcc_lo
	s_cbranch_execnz .LBB136_66
; %bb.28:
	s_or_b32 exec_lo, exec_lo, s4
	s_and_saveexec_b32 s4, s0
	s_cbranch_execnz .LBB136_67
.LBB136_29:
	s_or_b32 exec_lo, exec_lo, s4
	s_and_saveexec_b32 s4, s1
	s_cbranch_execnz .LBB136_68
.LBB136_30:
	s_or_b32 exec_lo, exec_lo, s4
	s_and_saveexec_b32 s4, s2
	s_cbranch_execz .LBB136_32
.LBB136_31:
	v_add_nc_u32_e32 v22, v10, v27
	v_mov_b32_e32 v23, 0
	v_lshlrev_b64 v[22:23], 2, v[22:23]
	s_waitcnt lgkmcnt(0)
	v_add_co_u32 v22, s3, s12, v22
	v_add_co_ci_u32_e64 v23, null, s13, v23, s3
	global_store_dword v[22:23], v25, off
.LBB136_32:
	s_or_b32 exec_lo, exec_lo, s4
	v_add3_u32 v10, v1, s7, 24
	v_cmp_gt_u32_e64 s3, s10, v10
	s_and_b32 exec_lo, exec_lo, s3
	s_cbranch_execz .LBB136_62
; %bb.33:
	v_mul_lo_u32 v10, v10, s14
	s_and_saveexec_b32 s4, vcc_lo
	s_cbranch_execnz .LBB136_69
; %bb.34:
	s_or_b32 exec_lo, exec_lo, s4
	s_and_saveexec_b32 s4, s0
	s_cbranch_execnz .LBB136_70
.LBB136_35:
	s_or_b32 exec_lo, exec_lo, s4
	s_and_saveexec_b32 s4, s1
	s_cbranch_execnz .LBB136_71
.LBB136_36:
	s_or_b32 exec_lo, exec_lo, s4
	s_and_saveexec_b32 s4, s2
	s_cbranch_execz .LBB136_38
.LBB136_37:
	v_add_nc_u32_e32 v12, v10, v27
	v_mov_b32_e32 v13, 0
	v_lshlrev_b64 v[12:13], 2, v[12:13]
	s_waitcnt lgkmcnt(0)
	v_add_co_u32 v12, s3, s12, v12
	v_add_co_ci_u32_e64 v13, null, s13, v13, s3
	global_store_dword v[12:13], v24, off
.LBB136_38:
	s_or_b32 exec_lo, exec_lo, s4
	v_add3_u32 v10, v1, s7, 32
	v_cmp_gt_u32_e64 s3, s10, v10
	s_and_b32 exec_lo, exec_lo, s3
	s_cbranch_execz .LBB136_62
; %bb.39:
	v_mul_lo_u32 v10, v10, s14
	s_and_saveexec_b32 s4, vcc_lo
	s_cbranch_execnz .LBB136_72
; %bb.40:
	s_or_b32 exec_lo, exec_lo, s4
	s_and_saveexec_b32 s4, s0
	s_cbranch_execnz .LBB136_73
.LBB136_41:
	s_or_b32 exec_lo, exec_lo, s4
	s_and_saveexec_b32 s4, s1
	s_cbranch_execnz .LBB136_74
.LBB136_42:
	s_or_b32 exec_lo, exec_lo, s4
	s_and_saveexec_b32 s4, s2
	s_cbranch_execz .LBB136_44
.LBB136_43:
	v_add_nc_u32_e32 v12, v10, v27
	v_mov_b32_e32 v13, 0
	v_lshlrev_b64 v[12:13], 2, v[12:13]
	s_waitcnt lgkmcnt(0)
	v_add_co_u32 v12, s3, s12, v12
	v_add_co_ci_u32_e64 v13, null, s13, v13, s3
	global_store_dword v[12:13], v3, off
.LBB136_44:
	s_or_b32 exec_lo, exec_lo, s4
	v_add3_u32 v3, v1, s7, 40
	v_cmp_gt_u32_e64 s3, s10, v3
	s_and_b32 exec_lo, exec_lo, s3
	s_cbranch_execz .LBB136_62
; %bb.45:
	v_mul_lo_u32 v3, v3, s14
	s_and_saveexec_b32 s4, vcc_lo
	s_cbranch_execnz .LBB136_75
; %bb.46:
	s_or_b32 exec_lo, exec_lo, s4
	s_and_saveexec_b32 s4, s0
	s_cbranch_execnz .LBB136_76
.LBB136_47:
	s_or_b32 exec_lo, exec_lo, s4
	s_and_saveexec_b32 s4, s1
	s_cbranch_execnz .LBB136_77
.LBB136_48:
	s_or_b32 exec_lo, exec_lo, s4
	s_and_saveexec_b32 s4, s2
	s_cbranch_execz .LBB136_50
.LBB136_49:
	v_add_nc_u32_e32 v6, v3, v27
	v_mov_b32_e32 v7, 0
	v_lshlrev_b64 v[6:7], 2, v[6:7]
	s_waitcnt lgkmcnt(0)
	v_add_co_u32 v6, s3, s12, v6
	v_add_co_ci_u32_e64 v7, null, s13, v7, s3
	global_store_dword v[6:7], v2, off
.LBB136_50:
	s_or_b32 exec_lo, exec_lo, s4
	v_add3_u32 v2, v1, s7, 48
	v_cmp_gt_u32_e64 s3, s10, v2
	s_and_b32 exec_lo, exec_lo, s3
	s_cbranch_execz .LBB136_62
; %bb.51:
	v_mul_lo_u32 v2, v2, s14
	s_and_saveexec_b32 s4, vcc_lo
	s_cbranch_execnz .LBB136_78
; %bb.52:
	s_or_b32 exec_lo, exec_lo, s4
	s_and_saveexec_b32 s4, s0
	s_cbranch_execnz .LBB136_79
.LBB136_53:
	s_or_b32 exec_lo, exec_lo, s4
	s_and_saveexec_b32 s4, s1
	s_cbranch_execnz .LBB136_80
.LBB136_54:
	s_or_b32 exec_lo, exec_lo, s4
	s_and_saveexec_b32 s4, s2
	s_cbranch_execz .LBB136_56
.LBB136_55:
	v_add_nc_u32_e32 v2, v2, v27
	v_mov_b32_e32 v3, 0
	v_lshlrev_b64 v[2:3], 2, v[2:3]
	s_waitcnt lgkmcnt(0)
	v_add_co_u32 v2, s3, s12, v2
	v_add_co_ci_u32_e64 v3, null, s13, v3, s3
	global_store_dword v[2:3], v5, off
.LBB136_56:
	s_or_b32 exec_lo, exec_lo, s4
	v_add3_u32 v1, v1, s7, 56
	v_cmp_gt_u32_e64 s3, s10, v1
	s_and_b32 exec_lo, exec_lo, s3
	s_cbranch_execz .LBB136_62
; %bb.57:
	v_mul_lo_u32 v1, v1, s14
	s_and_saveexec_b32 s3, vcc_lo
	s_cbranch_execnz .LBB136_81
; %bb.58:
	s_or_b32 exec_lo, exec_lo, s3
	s_and_saveexec_b32 s3, s0
	s_cbranch_execnz .LBB136_82
.LBB136_59:
	s_or_b32 exec_lo, exec_lo, s3
	s_and_saveexec_b32 s0, s1
	s_cbranch_execnz .LBB136_83
.LBB136_60:
	s_or_b32 exec_lo, exec_lo, s0
	s_and_b32 exec_lo, exec_lo, s2
	s_cbranch_execz .LBB136_62
.LBB136_61:
	v_add_nc_u32_e32 v0, v1, v27
	v_mov_b32_e32 v1, 0
	v_lshlrev_b64 v[0:1], 2, v[0:1]
	s_waitcnt lgkmcnt(0)
	v_add_co_u32 v0, vcc_lo, s12, v0
	v_add_co_ci_u32_e64 v1, null, s13, v1, vcc_lo
	global_store_dword v[0:1], v4, off
.LBB136_62:
	s_endpgm
.LBB136_63:
	v_add_nc_u32_e32 v34, v23, v0
	v_mov_b32_e32 v35, 0
	v_lshlrev_b64 v[34:35], 2, v[34:35]
	s_waitcnt lgkmcnt(0)
	v_add_co_u32 v34, s3, s12, v34
	v_add_co_ci_u32_e64 v35, null, s13, v35, s3
	global_store_dword v[34:35], v10, off
	s_or_b32 exec_lo, exec_lo, s4
	s_and_saveexec_b32 s4, s0
	s_cbranch_execz .LBB136_23
.LBB136_64:
	v_add_nc_u32_e32 v34, v23, v11
	v_mov_b32_e32 v35, 0
	v_lshlrev_b64 v[34:35], 2, v[34:35]
	s_waitcnt lgkmcnt(0)
	v_add_co_u32 v34, s3, s12, v34
	v_add_co_ci_u32_e64 v35, null, s13, v35, s3
	global_store_dword v[34:35], v30, off
	s_or_b32 exec_lo, exec_lo, s4
	s_and_saveexec_b32 s4, s1
	s_cbranch_execz .LBB136_24
.LBB136_65:
	v_add_nc_u32_e32 v34, v23, v31
	v_mov_b32_e32 v35, 0
	v_lshlrev_b64 v[34:35], 2, v[34:35]
	s_waitcnt lgkmcnt(0)
	v_add_co_u32 v34, s3, s12, v34
	v_add_co_ci_u32_e64 v35, null, s13, v35, s3
	global_store_dword v[34:35], v26, off
	s_or_b32 exec_lo, exec_lo, s4
	s_and_saveexec_b32 s4, s2
	s_cbranch_execnz .LBB136_25
	s_branch .LBB136_26
.LBB136_66:
	v_add_nc_u32_e32 v22, v10, v0
	v_mov_b32_e32 v23, 0
	v_lshlrev_b64 v[22:23], 2, v[22:23]
	s_waitcnt lgkmcnt(0)
	v_add_co_u32 v22, s3, s12, v22
	v_add_co_ci_u32_e64 v23, null, s13, v23, s3
	global_store_dword v[22:23], v13, off
	s_or_b32 exec_lo, exec_lo, s4
	s_and_saveexec_b32 s4, s0
	s_cbranch_execz .LBB136_29
.LBB136_67:
	v_add_nc_u32_e32 v22, v10, v11
	v_mov_b32_e32 v23, 0
	v_lshlrev_b64 v[22:23], 2, v[22:23]
	s_waitcnt lgkmcnt(0)
	v_add_co_u32 v22, s3, s12, v22
	v_add_co_ci_u32_e64 v23, null, s13, v23, s3
	global_store_dword v[22:23], v33, off
	s_or_b32 exec_lo, exec_lo, s4
	s_and_saveexec_b32 s4, s1
	s_cbranch_execz .LBB136_30
.LBB136_68:
	v_add_nc_u32_e32 v22, v10, v31
	v_mov_b32_e32 v23, 0
	v_lshlrev_b64 v[22:23], 2, v[22:23]
	s_waitcnt lgkmcnt(0)
	v_add_co_u32 v22, s3, s12, v22
	v_add_co_ci_u32_e64 v23, null, s13, v23, s3
	global_store_dword v[22:23], v29, off
	s_or_b32 exec_lo, exec_lo, s4
	s_and_saveexec_b32 s4, s2
	s_cbranch_execnz .LBB136_31
	s_branch .LBB136_32
.LBB136_69:
	v_add_nc_u32_e32 v22, v10, v0
	v_mov_b32_e32 v23, 0
	v_lshlrev_b64 v[22:23], 2, v[22:23]
	s_waitcnt lgkmcnt(0)
	v_add_co_u32 v22, s3, s12, v22
	v_add_co_ci_u32_e64 v23, null, s13, v23, s3
	global_store_dword v[22:23], v12, off
	s_or_b32 exec_lo, exec_lo, s4
	s_and_saveexec_b32 s4, s0
	s_cbranch_execz .LBB136_35
.LBB136_70:
	v_add_nc_u32_e32 v12, v10, v11
	v_mov_b32_e32 v13, 0
	v_lshlrev_b64 v[12:13], 2, v[12:13]
	s_waitcnt lgkmcnt(0)
	v_add_co_u32 v12, s3, s12, v12
	v_add_co_ci_u32_e64 v13, null, s13, v13, s3
	global_store_dword v[12:13], v32, off
	s_or_b32 exec_lo, exec_lo, s4
	s_and_saveexec_b32 s4, s1
	s_cbranch_execz .LBB136_36
.LBB136_71:
	v_add_nc_u32_e32 v12, v10, v31
	v_mov_b32_e32 v13, 0
	v_lshlrev_b64 v[12:13], 2, v[12:13]
	s_waitcnt lgkmcnt(0)
	v_add_co_u32 v12, s3, s12, v12
	v_add_co_ci_u32_e64 v13, null, s13, v13, s3
	global_store_dword v[12:13], v28, off
	s_or_b32 exec_lo, exec_lo, s4
	s_and_saveexec_b32 s4, s2
	s_cbranch_execnz .LBB136_37
	s_branch .LBB136_38
.LBB136_72:
	v_add_nc_u32_e32 v12, v10, v0
	v_mov_b32_e32 v13, 0
	v_lshlrev_b64 v[12:13], 2, v[12:13]
	s_waitcnt lgkmcnt(0)
	v_add_co_u32 v12, s3, s12, v12
	v_add_co_ci_u32_e64 v13, null, s13, v13, s3
	global_store_dword v[12:13], v19, off
	s_or_b32 exec_lo, exec_lo, s4
	s_and_saveexec_b32 s4, s0
	s_cbranch_execz .LBB136_41
.LBB136_73:
	v_add_nc_u32_e32 v12, v10, v11
	v_mov_b32_e32 v13, 0
	v_lshlrev_b64 v[12:13], 2, v[12:13]
	s_waitcnt lgkmcnt(0)
	v_add_co_u32 v12, s3, s12, v12
	v_add_co_ci_u32_e64 v13, null, s13, v13, s3
	global_store_dword v[12:13], v15, off
	s_or_b32 exec_lo, exec_lo, s4
	s_and_saveexec_b32 s4, s1
	s_cbranch_execz .LBB136_42
.LBB136_74:
	v_add_nc_u32_e32 v12, v10, v31
	v_mov_b32_e32 v13, 0
	v_lshlrev_b64 v[12:13], 2, v[12:13]
	s_waitcnt lgkmcnt(0)
	v_add_co_u32 v12, s3, s12, v12
	v_add_co_ci_u32_e64 v13, null, s13, v13, s3
	global_store_dword v[12:13], v7, off
	s_or_b32 exec_lo, exec_lo, s4
	s_and_saveexec_b32 s4, s2
	s_cbranch_execnz .LBB136_43
	s_branch .LBB136_44
.LBB136_75:
	v_add_nc_u32_e32 v12, v3, v0
	v_mov_b32_e32 v13, 0
	v_lshlrev_b64 v[12:13], 2, v[12:13]
	s_waitcnt lgkmcnt(0)
	v_add_co_u32 v12, s3, s12, v12
	v_add_co_ci_u32_e64 v13, null, s13, v13, s3
	global_store_dword v[12:13], v18, off
	s_or_b32 exec_lo, exec_lo, s4
	s_and_saveexec_b32 s4, s0
	s_cbranch_execz .LBB136_47
.LBB136_76:
	v_add_nc_u32_e32 v12, v3, v11
	v_mov_b32_e32 v13, 0
	v_lshlrev_b64 v[12:13], 2, v[12:13]
	s_waitcnt lgkmcnt(0)
	v_add_co_u32 v12, s3, s12, v12
	v_add_co_ci_u32_e64 v13, null, s13, v13, s3
	global_store_dword v[12:13], v14, off
	s_or_b32 exec_lo, exec_lo, s4
	s_and_saveexec_b32 s4, s1
	s_cbranch_execz .LBB136_48
.LBB136_77:
	v_add_nc_u32_e32 v12, v3, v31
	v_mov_b32_e32 v13, 0
	v_lshlrev_b64 v[12:13], 2, v[12:13]
	s_waitcnt lgkmcnt(0)
	v_add_co_u32 v12, s3, s12, v12
	v_add_co_ci_u32_e64 v13, null, s13, v13, s3
	global_store_dword v[12:13], v6, off
	s_or_b32 exec_lo, exec_lo, s4
	s_and_saveexec_b32 s4, s2
	s_cbranch_execnz .LBB136_49
	s_branch .LBB136_50
.LBB136_78:
	v_add_nc_u32_e32 v6, v2, v0
	v_mov_b32_e32 v7, 0
	v_lshlrev_b64 v[6:7], 2, v[6:7]
	s_waitcnt lgkmcnt(0)
	v_add_co_u32 v6, s3, s12, v6
	v_add_co_ci_u32_e64 v7, null, s13, v7, s3
	global_store_dword v[6:7], v21, off
	s_or_b32 exec_lo, exec_lo, s4
	s_and_saveexec_b32 s4, s0
	s_cbranch_execz .LBB136_53
.LBB136_79:
	v_add_nc_u32_e32 v6, v2, v11
	v_mov_b32_e32 v7, 0
	v_lshlrev_b64 v[6:7], 2, v[6:7]
	s_waitcnt lgkmcnt(0)
	v_add_co_u32 v6, s3, s12, v6
	v_add_co_ci_u32_e64 v7, null, s13, v7, s3
	global_store_dword v[6:7], v17, off
	s_or_b32 exec_lo, exec_lo, s4
	s_and_saveexec_b32 s4, s1
	s_cbranch_execz .LBB136_54
.LBB136_80:
	v_add_nc_u32_e32 v6, v2, v31
	v_mov_b32_e32 v7, 0
	v_lshlrev_b64 v[6:7], 2, v[6:7]
	s_waitcnt lgkmcnt(0)
	v_add_co_u32 v6, s3, s12, v6
	v_add_co_ci_u32_e64 v7, null, s13, v7, s3
	global_store_dword v[6:7], v9, off
	s_or_b32 exec_lo, exec_lo, s4
	s_and_saveexec_b32 s4, s2
	s_cbranch_execnz .LBB136_55
	s_branch .LBB136_56
.LBB136_81:
	v_add_nc_u32_e32 v2, v1, v0
	v_mov_b32_e32 v3, 0
	v_lshlrev_b64 v[2:3], 2, v[2:3]
	s_waitcnt lgkmcnt(0)
	v_add_co_u32 v2, vcc_lo, s12, v2
	v_add_co_ci_u32_e64 v3, null, s13, v3, vcc_lo
	global_store_dword v[2:3], v20, off
	s_or_b32 exec_lo, exec_lo, s3
	s_and_saveexec_b32 s3, s0
	s_cbranch_execz .LBB136_59
.LBB136_82:
	v_add_nc_u32_e32 v2, v1, v11
	v_mov_b32_e32 v3, 0
	v_lshlrev_b64 v[2:3], 2, v[2:3]
	s_waitcnt lgkmcnt(0)
	v_add_co_u32 v2, vcc_lo, s12, v2
	v_add_co_ci_u32_e64 v3, null, s13, v3, vcc_lo
	global_store_dword v[2:3], v16, off
	s_or_b32 exec_lo, exec_lo, s3
	s_and_saveexec_b32 s0, s1
	s_cbranch_execz .LBB136_60
.LBB136_83:
	v_add_nc_u32_e32 v2, v1, v31
	v_mov_b32_e32 v3, 0
	v_lshlrev_b64 v[2:3], 2, v[2:3]
	s_waitcnt lgkmcnt(0)
	v_add_co_u32 v2, vcc_lo, s12, v2
	v_add_co_ci_u32_e64 v3, null, s13, v3, vcc_lo
	global_store_dword v[2:3], v8, off
	s_or_b32 exec_lo, exec_lo, s0
	s_and_b32 exec_lo, exec_lo, s2
	s_cbranch_execnz .LBB136_61
	s_branch .LBB136_62
	.section	.rodata,"a",@progbits
	.p2align	6, 0x0
	.amdhsa_kernel _ZL12mul_mat_q6_KIfLb1EEvPKvS1_PT_iiiii
		.amdhsa_group_segment_fixed_size 45136
		.amdhsa_private_segment_fixed_size 300
		.amdhsa_kernarg_size 44
		.amdhsa_user_sgpr_count 6
		.amdhsa_user_sgpr_private_segment_buffer 1
		.amdhsa_user_sgpr_dispatch_ptr 0
		.amdhsa_user_sgpr_queue_ptr 0
		.amdhsa_user_sgpr_kernarg_segment_ptr 1
		.amdhsa_user_sgpr_dispatch_id 0
		.amdhsa_user_sgpr_flat_scratch_init 0
		.amdhsa_user_sgpr_private_segment_size 0
		.amdhsa_wavefront_size32 1
		.amdhsa_uses_dynamic_stack 0
		.amdhsa_system_sgpr_private_segment_wavefront_offset 1
		.amdhsa_system_sgpr_workgroup_id_x 1
		.amdhsa_system_sgpr_workgroup_id_y 1
		.amdhsa_system_sgpr_workgroup_id_z 0
		.amdhsa_system_sgpr_workgroup_info 0
		.amdhsa_system_vgpr_workitem_id 1
		.amdhsa_next_free_vgpr 256
		.amdhsa_next_free_sgpr 24
		.amdhsa_reserve_vcc 1
		.amdhsa_reserve_flat_scratch 0
		.amdhsa_float_round_mode_32 0
		.amdhsa_float_round_mode_16_64 0
		.amdhsa_float_denorm_mode_32 3
		.amdhsa_float_denorm_mode_16_64 3
		.amdhsa_dx10_clamp 1
		.amdhsa_ieee_mode 1
		.amdhsa_fp16_overflow 0
		.amdhsa_workgroup_processor_mode 1
		.amdhsa_memory_ordered 1
		.amdhsa_forward_progress 1
		.amdhsa_shared_vgpr_count 0
		.amdhsa_exception_fp_ieee_invalid_op 0
		.amdhsa_exception_fp_denorm_src 0
		.amdhsa_exception_fp_ieee_div_zero 0
		.amdhsa_exception_fp_ieee_overflow 0
		.amdhsa_exception_fp_ieee_underflow 0
		.amdhsa_exception_fp_ieee_inexact 0
		.amdhsa_exception_int_div_zero 0
	.end_amdhsa_kernel
	.section	.text._ZL12mul_mat_q6_KIfLb1EEvPKvS1_PT_iiiii,"axG",@progbits,_ZL12mul_mat_q6_KIfLb1EEvPKvS1_PT_iiiii,comdat
.Lfunc_end136:
	.size	_ZL12mul_mat_q6_KIfLb1EEvPKvS1_PT_iiiii, .Lfunc_end136-_ZL12mul_mat_q6_KIfLb1EEvPKvS1_PT_iiiii
                                        ; -- End function
	.set _ZL12mul_mat_q6_KIfLb1EEvPKvS1_PT_iiiii.num_vgpr, 256
	.set _ZL12mul_mat_q6_KIfLb1EEvPKvS1_PT_iiiii.num_agpr, 0
	.set _ZL12mul_mat_q6_KIfLb1EEvPKvS1_PT_iiiii.numbered_sgpr, 24
	.set _ZL12mul_mat_q6_KIfLb1EEvPKvS1_PT_iiiii.num_named_barrier, 0
	.set _ZL12mul_mat_q6_KIfLb1EEvPKvS1_PT_iiiii.private_seg_size, 300
	.set _ZL12mul_mat_q6_KIfLb1EEvPKvS1_PT_iiiii.uses_vcc, 1
	.set _ZL12mul_mat_q6_KIfLb1EEvPKvS1_PT_iiiii.uses_flat_scratch, 0
	.set _ZL12mul_mat_q6_KIfLb1EEvPKvS1_PT_iiiii.has_dyn_sized_stack, 0
	.set _ZL12mul_mat_q6_KIfLb1EEvPKvS1_PT_iiiii.has_recursion, 0
	.set _ZL12mul_mat_q6_KIfLb1EEvPKvS1_PT_iiiii.has_indirect_call, 0
	.section	.AMDGPU.csdata,"",@progbits
; Kernel info:
; codeLenInByte = 23340
; TotalNumSgprs: 26
; NumVgprs: 256
; ScratchSize: 300
; MemoryBound: 0
; FloatMode: 240
; IeeeMode: 1
; LDSByteSize: 45136 bytes/workgroup (compile time only)
; SGPRBlocks: 0
; VGPRBlocks: 31
; NumSGPRsForWavesPerEU: 26
; NumVGPRsForWavesPerEU: 256
; Occupancy: 4
; WaveLimiterHint : 0
; COMPUTE_PGM_RSRC2:SCRATCH_EN: 1
; COMPUTE_PGM_RSRC2:USER_SGPR: 6
; COMPUTE_PGM_RSRC2:TRAP_HANDLER: 0
; COMPUTE_PGM_RSRC2:TGID_X_EN: 1
; COMPUTE_PGM_RSRC2:TGID_Y_EN: 1
; COMPUTE_PGM_RSRC2:TGID_Z_EN: 0
; COMPUTE_PGM_RSRC2:TIDIG_COMP_CNT: 1
	.section	.text._ZL12mul_mat_q4_0IN3c104HalfELb0EEvPKvS3_PT_iiiii,"axG",@progbits,_ZL12mul_mat_q4_0IN3c104HalfELb0EEvPKvS3_PT_iiiii,comdat
	.globl	_ZL12mul_mat_q4_0IN3c104HalfELb0EEvPKvS3_PT_iiiii ; -- Begin function _ZL12mul_mat_q4_0IN3c104HalfELb0EEvPKvS3_PT_iiiii
	.p2align	8
	.type	_ZL12mul_mat_q4_0IN3c104HalfELb0EEvPKvS3_PT_iiiii,@function
_ZL12mul_mat_q4_0IN3c104HalfELb0EEvPKvS3_PT_iiiii: ; @_ZL12mul_mat_q4_0IN3c104HalfELb0EEvPKvS3_PT_iiiii
; %bb.0:
	s_clause 0x1
	s_load_dword s14, s[4:5], 0x18
	s_load_dwordx4 s[8:11], s[4:5], 0x20
	s_lshl_b32 s7, s7, 6
	v_add_nc_u32_e32 v25, s7, v1
	s_waitcnt lgkmcnt(0)
	s_cmp_gt_i32 s14, 31
	s_cbranch_scc1 .LBB137_4
; %bb.1:
	v_add_nc_u32_e32 v10, s7, v1
	s_load_dwordx2 s[12:13], s[4:5], 0x10
	s_lshl_b32 s6, s6, 7
	s_cbranch_execz .LBB137_5
; %bb.2:
	v_mov_b32_e32 v2, 0
	v_mov_b32_e32 v4, 0
	;; [unrolled: 1-line block ×28, first 2 shown]
	s_mov_b32 s0, exec_lo
	v_cmpx_gt_u32_e64 s8, v10
	s_cbranch_execnz .LBB137_15
.LBB137_3:
	s_endpgm
.LBB137_4:
                                        ; implicit-def: $vgpr10
	s_load_dwordx2 s[12:13], s[4:5], 0x10
	s_lshl_b32 s6, s6, 7
.LBB137_5:
	s_load_dwordx4 s[0:3], s[4:5], 0x0
	s_ashr_i32 s4, s14, 31
	s_ashr_i32 s5, s9, 31
	s_lshr_b32 s4, s4, 27
	s_lshr_b32 s5, s5, 27
	s_add_i32 s14, s14, s4
	s_add_i32 s5, s9, s5
	s_ashr_i32 s4, s14, 5
	s_ashr_i32 s11, s5, 5
	s_mul_i32 s9, s4, s6
	v_add_nc_u32_e32 v5, 8, v25
	s_mul_i32 s5, s9, 18
	v_add_nc_u32_e32 v11, 24, v25
	v_add_nc_u32_e32 v17, 40, v25
	s_mul_hi_i32 s9, s9, 18
	v_add_nc_u32_e32 v7, 16, v25
	v_cvt_f64_u32_e32 v[2:3], v25
	v_add_nc_u32_e32 v15, 32, v25
	v_add_nc_u32_e32 v19, 48, v25
	;; [unrolled: 1-line block ×3, first 2 shown]
	s_waitcnt lgkmcnt(0)
	s_add_u32 s5, s0, s5
	s_addc_u32 s9, s1, s9
	s_add_i32 s1, s8, -1
	v_cvt_f64_u32_e32 v[5:6], v5
	v_cvt_f64_u32_e32 v[11:12], v11
	v_cvt_f64_i32_e32 v[13:14], s1
	v_cvt_f64_u32_e32 v[17:18], v17
	v_cvt_f64_u32_e32 v[7:8], v7
	;; [unrolled: 1-line block ×5, first 2 shown]
	v_mul_lo_u32 v29, s4, v1
	s_lshl_b32 s0, s4, 3
	v_lshrrev_b32_e32 v26, 2, v0
	v_lshrrev_b32_e32 v28, 3, v0
	v_and_b32_e32 v27, 7, v0
	v_and_b32_e32 v4, 3, v0
	v_lshlrev_b32_e32 v9, 2, v0
	v_lshl_add_u32 v42, v1, 3, v26
	v_add_nc_u32_e32 v30, s0, v29
	v_lshl_add_u32 v23, v1, 2, v28
	v_lshlrev_b32_e32 v24, 2, v27
	s_andn2_b32 s14, s14, 31
	v_and_b32_e32 v52, 63, v42
	v_add_nc_u32_e32 v31, s0, v30
	v_and_b32_e32 v43, 0x7fc, v23
	v_add_nc_u32_e32 v44, 32, v23
	v_min_f64 v[2:3], v[2:3], v[13:14]
	v_min_f64 v[5:6], v[5:6], v[13:14]
	;; [unrolled: 1-line block ×4, first 2 shown]
	v_add_nc_u32_e32 v33, s0, v31
	v_min_f64 v[7:8], v[7:8], v[13:14]
	v_min_f64 v[15:16], v[15:16], v[13:14]
	;; [unrolled: 1-line block ×4, first 2 shown]
	v_add_nc_u32_e32 v35, s0, v33
	v_add3_u32 v63, v43, v24, 0x6200
	v_add_nc_u32_e32 v45, 64, v23
	v_and_b32_e32 v47, 0xffc, v44
	v_lshlrev_b32_e32 v64, 5, v44
	v_add_nc_u32_e32 v36, s0, v35
	v_mul_lo_u32 v39, s4, v23
	v_lshlrev_b32_e32 v62, 5, v23
	v_add_nc_u32_e32 v23, 0x60, v23
	v_and_b32_e32 v48, 0xffc, v45
	v_add_nc_u32_e32 v37, s0, v36
	v_lshlrev_b32_e32 v66, 5, v45
	v_add3_u32 v22, v47, v24, 0x6200
	v_cvt_i32_f64_e32 v2, v[2:3]
	v_cvt_i32_f64_e32 v3, v[5:6]
	;; [unrolled: 1-line block ×4, first 2 shown]
	v_add_nc_u32_e32 v40, s0, v37
	v_cvt_i32_f64_e32 v5, v[7:8]
	v_cvt_i32_f64_e32 v7, v[15:16]
	v_cvt_i32_f64_e32 v15, v[19:20]
	v_cvt_i32_f64_e32 v14, v[13:14]
	v_add_nc_u32_e32 v41, s0, v40
	v_or_b32_e32 v8, s7, v52
	v_lshlrev_b32_e32 v12, 2, v4
	v_and_b32_e32 v49, 0xffc, v23
	v_mov_b32_e32 v10, 0
	v_add_nc_u32_e32 v42, s0, v41
	v_min_i32_e32 v8, s1, v8
	v_lshl_or_b32 v17, v52, 4, v12
	v_and_b32_e32 v16, 31, v0
	v_lshlrev_b32_e32 v18, 7, v1
	v_add_nc_u32_e32 v43, s0, v42
	v_and_b32_e32 v19, 0xfc, v0
	v_add_nc_u32_e32 v52, 0x7280, v17
	v_add_nc_u32_e32 v46, s14, v39
	v_and_b32_e32 v32, 12, v9
	v_add_nc_u32_e32 v44, s0, v43
	v_mul_lo_u32 v58, s11, v11
	v_add_nc_u32_e32 v11, 0x60, v0
	v_mad_u64_u32 v[12:13], null, v8, s11, v[4:5]
	v_add_nc_u32_e32 v45, s0, v44
	v_mul_lo_u32 v59, s11, v15
	v_mul_lo_u32 v60, s11, v14
	v_add_nc_u32_e32 v13, 64, v0
	v_add_nc_u32_e32 v14, 32, v0
	v_lshlrev_b32_e32 v15, 5, v0
	v_and_b32_e32 v11, 0x1fc, v11
	v_add_nc_u32_e32 v47, s0, v45
	v_and_b32_e32 v13, 0x1fc, v13
	v_and_b32_e32 v17, 0x1fc, v14
	v_mad_u32_u24 v34, 0x84, v1, v9
	v_add_nc_u32_e32 v11, v15, v11
	v_lshlrev_b32_e32 v21, 5, v23
	v_add3_u32 v23, v48, v24, 0x6200
	v_add3_u32 v24, v49, v24, 0x6200
	v_add_nc_u32_e32 v49, s0, v47
	v_and_b32_e32 v9, 28, v9
	v_lshl_or_b32 v16, v16, 2, 0x4200
	v_mul_lo_u32 v53, s11, v2
	v_mul_lo_u32 v54, s11, v3
	v_add_nc_u32_e32 v2, 0x400, v18
	v_mul_lo_u32 v55, s11, v5
	v_add_nc_u32_e32 v3, 0x800, v18
	;; [unrolled: 2-line block ×4, first 2 shown]
	v_add_nc_u32_e32 v6, 0x1400, v18
	v_add_nc_u32_e32 v7, 0x1800, v18
	;; [unrolled: 1-line block ×8, first 2 shown]
	v_mov_b32_e32 v11, v10
	v_add_nc_u32_e32 v48, s14, v46
	v_add_nc_u32_e32 v51, s0, v49
	v_add_co_u32 v13, s0, s2, v9
	v_add_nc_u32_e32 v72, 0x6a00, v20
	v_add_nc_u32_e32 v74, 0x6600, v17
	;; [unrolled: 1-line block ×17, first 2 shown]
	v_mov_b32_e32 v22, v11
	v_mov_b32_e32 v20, v11
	;; [unrolled: 1-line block ×4, first 2 shown]
	v_add_nc_u32_e32 v38, 0x3de0, v34
	v_add_nc_u32_e32 v50, s14, v48
	v_mul_u32_u24_e32 v61, 0x84, v0
	v_lshrrev_b32_e32 v65, 3, v14
	v_add_co_ci_u32_e64 v14, null, s3, 0, s0
	v_lshl_add_u32 v77, v1, 4, 0x7280
	v_mad_u32_u24 v81, 0x84, v0, 64
	v_add_nc_u32_e32 v90, v63, v62
	v_add_nc_u32_e32 v93, v23, v66
	v_mov_b32_e32 v94, v10
	v_mov_b32_e32 v84, v10
	;; [unrolled: 1-line block ×27, first 2 shown]
	s_add_i32 s11, s4, 3
	s_mov_b32 s14, 0
	s_branch .LBB137_7
.LBB137_6:                              ;   in Loop: Header=BB137_7 Depth=1
	s_add_i32 s14, s14, 8
	s_add_i32 s11, s11, -8
	s_cmp_ge_i32 s14, s4
	s_cbranch_scc1 .LBB137_14
.LBB137_7:                              ; =>This Loop Header: Depth=1
                                        ;     Child Loop BB137_9 Depth 2
                                        ;     Child Loop BB137_12 Depth 2
	s_mul_i32 s0, s14, 18
	s_mul_hi_u32 s1, s14, 18
	s_add_u32 s0, s5, s0
	s_addc_u32 s1, s9, s1
	s_cmp_gt_u32 s11, 3
	v_mad_u64_u32 v[2:3], null, v26, 18, s[0:1]
	v_mad_u64_u32 v[4:5], null, v29, 18, v[2:3]
	v_add_co_u32 v4, vcc_lo, v4, v32
	v_add_co_ci_u32_e64 v5, null, 0, v5, vcc_lo
	global_load_dword v4, v[4:5], off offset:2
	s_waitcnt vmcnt(0)
	ds_write_b32 v34, v4
	v_mad_u64_u32 v[4:5], null, v30, 18, v[2:3]
	v_add_co_u32 v4, vcc_lo, v4, v32
	v_add_co_ci_u32_e64 v5, null, 0, v5, vcc_lo
	global_load_dword v4, v[4:5], off offset:2
	v_add_nc_u32_e32 v5, 0x420, v34
	s_waitcnt vmcnt(0)
	ds_write_b32 v5, v4
	v_mad_u64_u32 v[4:5], null, v31, 18, v[2:3]
	v_add_co_u32 v4, vcc_lo, v4, v32
	v_add_co_ci_u32_e64 v5, null, 0, v5, vcc_lo
	global_load_dword v4, v[4:5], off offset:2
	v_add_nc_u32_e32 v5, 0x840, v34
	;; [unrolled: 7-line block ×13, first 2 shown]
	s_waitcnt vmcnt(0)
	ds_write_b32 v5, v4
	v_mad_u64_u32 v[4:5], null, v49, 18, v[2:3]
	v_mad_u64_u32 v[2:3], null, v51, 18, v[2:3]
	v_add_co_u32 v4, vcc_lo, v4, v32
	v_add_co_ci_u32_e64 v5, null, 0, v5, vcc_lo
	v_add_co_u32 v2, vcc_lo, v2, v32
	v_add_co_ci_u32_e64 v3, null, 0, v3, vcc_lo
	s_clause 0x1
	global_load_dword v4, v[4:5], off offset:2
	global_load_dword v2, v[2:3], off offset:2
	v_add_nc_u32_e32 v5, 0x39c0, v34
	s_waitcnt vmcnt(1)
	ds_write_b32 v5, v4
	s_waitcnt vmcnt(0)
	ds_write_b32 v38, v2
	v_mad_u64_u32 v[2:3], null, v27, 18, s[0:1]
	v_mad_u64_u32 v[4:5], null, v39, 18, v[2:3]
	global_load_ushort v4, v[4:5], off
	s_waitcnt vmcnt(0)
	v_cvt_f32_f16_e32 v4, v4
	ds_write_b32 v90, v4
	v_mad_u64_u32 v[4:5], null, v46, 18, v[2:3]
	global_load_ushort v4, v[4:5], off
	s_waitcnt vmcnt(0)
	v_cvt_f32_f16_e32 v4, v4
	ds_write_b32 v91, v4
	v_mad_u64_u32 v[4:5], null, v48, 18, v[2:3]
	v_mad_u64_u32 v[2:3], null, v50, 18, v[2:3]
	s_clause 0x1
	global_load_ushort v4, v[4:5], off
	global_load_ushort v2, v[2:3], off
	s_waitcnt vmcnt(1)
	v_cvt_f32_f16_e32 v4, v4
	s_waitcnt vmcnt(0)
	v_cvt_f32_f16_e32 v2, v2
	ds_write_b32 v93, v4
	ds_write_b32 v95, v2
	s_cbranch_scc0 .LBB137_6
; %bb.8:                                ;   in Loop: Header=BB137_7 Depth=1
	v_add_nc_u32_e32 v111, s14, v28
	v_add_nc_u32_e32 v11, s14, v12
	s_mov_b32 s0, -4
	v_add_nc_u32_e32 v2, v111, v53
	v_add_nc_u32_e32 v4, v111, v54
	;; [unrolled: 1-line block ×5, first 2 shown]
	v_mad_u64_u32 v[109:110], null, v11, 36, s[2:3]
	v_mad_i64_i32 v[2:3], null, v2, 36, v[13:14]
	v_add_nc_u32_e32 v112, v111, v58
	v_mad_i64_i32 v[4:5], null, v4, 36, v[13:14]
	v_add_nc_u32_e32 v113, v111, v59
	;; [unrolled: 2-line block ×3, first 2 shown]
	v_mad_i64_i32 v[8:9], null, v8, 36, v[13:14]
	v_mad_i64_i32 v[23:24], null, v23, 36, v[13:14]
	;; [unrolled: 1-line block ×5, first 2 shown]
	s_clause 0x8
	global_load_dword v117, v[109:110], off
	global_load_dword v2, v[2:3], off offset:4
	global_load_dword v3, v[4:5], off offset:4
	global_load_dword v4, v[6:7], off offset:4
	global_load_dword v5, v[8:9], off offset:4
	global_load_dword v6, v[23:24], off offset:4
	global_load_dword v7, v[111:112], off offset:4
	global_load_dword v8, v[113:114], off offset:4
	global_load_dword v9, v[115:116], off offset:4
	v_mov_b32_e32 v109, v79
	v_mov_b32_e32 v110, v77
	;; [unrolled: 1-line block ×7, first 2 shown]
	s_waitcnt vmcnt(8)
	ds_write_b32 v52, v117
	s_waitcnt vmcnt(7)
	ds_write_b32 v96, v2
	;; [unrolled: 2-line block ×9, first 2 shown]
	s_waitcnt lgkmcnt(0)
	s_barrier
	buffer_gl0_inv
.LBB137_9:                              ;   Parent Loop BB137_7 Depth=1
                                        ; =>  This Inner Loop Header: Depth=2
	ds_read_b128 v[2:5], v109
	ds_read_b128 v[6:9], v109 offset:16
	ds_read2_b32 v[23:24], v110 offset1:32
	ds_read_b32 v134, v111
	ds_read2_b32 v[116:117], v115 offset1:1
	v_mov_b32_e32 v118, 0
	v_add_nc_u32_e32 v121, 0x2108, v115
	v_mov_b32_e32 v135, 0
	v_add_nc_u32_e32 v144, 0x3180, v115
	v_mov_b32_e32 v151, 0
	v_mov_b32_e32 v154, 0
	v_add_nc_u32_e32 v111, 4, v111
	s_add_i32 s0, s0, 4
	s_cmp_lt_u32 s0, 12
	s_waitcnt lgkmcnt(2)
	v_cvt_f32_f16_sdwa v158, v24 dst_sel:DWORD dst_unused:UNUSED_PAD src0_sel:WORD_1
	s_waitcnt lgkmcnt(0)
	v_and_b32_e32 v136, 0xf0f0f0f, v116
	v_lshrrev_b32_e32 v116, 4, v116
	v_and_b32_e32 v138, 0xf0f0f0f, v117
	v_mul_f32_e32 v158, 0x41000000, v158
	v_dot4c_i32_i8 v151, v136, v2
	v_and_b32_e32 v137, 0xf0f0f0f, v116
	v_lshrrev_b32_e32 v116, 4, v117
	v_dot4c_i32_i8 v151, v137, v6
	v_and_b32_e32 v139, 0xf0f0f0f, v116
	ds_read2_b32 v[116:117], v115 offset0:2 offset1:3
	v_dot4c_i32_i8 v151, v138, v3
	v_dot4c_i32_i8 v151, v139, v7
	s_waitcnt lgkmcnt(0)
	v_and_b32_e32 v140, 0xf0f0f0f, v116
	v_lshrrev_b32_e32 v116, 4, v116
	v_and_b32_e32 v142, 0xf0f0f0f, v117
	v_dot4c_i32_i8 v151, v140, v4
	v_and_b32_e32 v141, 0xf0f0f0f, v116
	v_lshrrev_b32_e32 v116, 4, v117
	v_dot4c_i32_i8 v151, v141, v8
	v_and_b32_e32 v143, 0xf0f0f0f, v116
	v_add_nc_u32_e32 v116, 0x1080, v115
	ds_read_b32 v125, v112
	ds_read2_b32 v[116:117], v116 offset1:1
	v_dot4c_i32_i8 v151, v142, v5
	v_add_nc_u32_e32 v112, 4, v112
	v_dot4c_i32_i8 v151, v143, v9
	v_cvt_f32_i32_e32 v151, v151
	s_waitcnt lgkmcnt(0)
	v_and_b32_e32 v126, 0xf0f0f0f, v116
	v_lshrrev_b32_e32 v116, 4, v116
	v_and_b32_e32 v128, 0xf0f0f0f, v117
	v_dot4c_i32_i8 v118, v126, v2
	v_and_b32_e32 v127, 0xf0f0f0f, v116
	v_lshrrev_b32_e32 v116, 4, v117
	v_dot4c_i32_i8 v118, v127, v6
	v_and_b32_e32 v129, 0xf0f0f0f, v116
	v_add_nc_u32_e32 v116, 0x1088, v115
	v_dot4c_i32_i8 v118, v128, v3
	ds_read2_b32 v[116:117], v116 offset1:1
	v_dot4c_i32_i8 v118, v129, v7
	s_waitcnt lgkmcnt(0)
	v_and_b32_e32 v130, 0xf0f0f0f, v116
	v_lshrrev_b32_e32 v116, 4, v116
	v_and_b32_e32 v132, 0xf0f0f0f, v117
	v_dot4c_i32_i8 v118, v130, v4
	v_and_b32_e32 v131, 0xf0f0f0f, v116
	v_lshrrev_b32_e32 v116, 4, v117
	v_add_nc_u32_e32 v117, 0x2100, v115
	v_dot4c_i32_i8 v118, v131, v8
	v_and_b32_e32 v133, 0xf0f0f0f, v116
	ds_read_b32 v116, v113
	ds_read2_b32 v[119:120], v117 offset1:1
	ds_read2_b32 v[123:124], v121 offset1:1
	v_add_nc_u32_e32 v113, 4, v113
	v_dot4c_i32_i8 v118, v132, v5
	v_dot4c_i32_i8 v118, v133, v9
	v_cvt_f32_i32_e32 v152, v118
	s_waitcnt lgkmcnt(1)
	v_and_b32_e32 v117, 0xf0f0f0f, v119
	v_lshrrev_b32_e32 v118, 4, v119
	v_and_b32_e32 v119, 0xf0f0f0f, v120
	v_lshrrev_b32_e32 v120, 4, v120
	s_waitcnt lgkmcnt(0)
	v_and_b32_e32 v121, 0xf0f0f0f, v123
	v_dot4c_i32_i8 v135, v117, v2
	v_and_b32_e32 v118, 0xf0f0f0f, v118
	v_lshrrev_b32_e32 v122, 4, v123
	v_and_b32_e32 v120, 0xf0f0f0f, v120
	v_and_b32_e32 v123, 0xf0f0f0f, v124
	v_lshrrev_b32_e32 v124, 4, v124
	v_dot4c_i32_i8 v135, v118, v6
	v_and_b32_e32 v122, 0xf0f0f0f, v122
	v_and_b32_e32 v124, 0xf0f0f0f, v124
	v_dot4c_i32_i8 v135, v119, v3
	v_dot4c_i32_i8 v135, v120, v7
	;; [unrolled: 1-line block ×6, first 2 shown]
	v_cvt_f32_i32_e32 v153, v135
	ds_read_b32 v135, v114
	ds_read2_b32 v[148:149], v144 offset1:1
	v_add_nc_u32_e32 v114, 4, v114
	s_waitcnt lgkmcnt(0)
	v_and_b32_e32 v147, 0xf0f0f0f, v148
	v_lshrrev_b32_e32 v144, 4, v148
	v_and_b32_e32 v146, 0xf0f0f0f, v149
	v_dot4c_i32_i8 v154, v147, v2
	v_and_b32_e32 v145, 0xf0f0f0f, v144
	v_lshrrev_b32_e32 v2, 4, v149
	v_dot4c_i32_i8 v154, v145, v6
	v_and_b32_e32 v144, 0xf0f0f0f, v2
	v_add_nc_u32_e32 v2, 0x3188, v115
	v_add_nc_u32_e32 v115, 16, v115
	v_dot4c_i32_i8 v154, v146, v3
	ds_read2_b32 v[2:3], v2 offset1:1
	v_dot4c_i32_i8 v154, v144, v7
	v_mov_b32_e32 v7, 0
	s_waitcnt lgkmcnt(0)
	v_and_b32_e32 v148, 0xf0f0f0f, v2
	v_lshrrev_b32_e32 v2, 4, v2
	v_and_b32_e32 v150, 0xf0f0f0f, v3
	v_dot4c_i32_i8 v154, v148, v4
	v_and_b32_e32 v149, 0xf0f0f0f, v2
	v_lshrrev_b32_e32 v2, 4, v3
	v_dot4c_i32_i8 v154, v149, v8
	v_and_b32_e32 v8, 0xf0f0f0f, v2
	v_dot4c_i32_i8 v154, v150, v5
	v_dot4c_i32_i8 v154, v8, v9
	v_cvt_f32_f16_sdwa v9, v23 dst_sel:DWORD dst_unused:UNUSED_PAD src0_sel:WORD_1
	v_cvt_f32_i32_e32 v6, v154
	ds_read_b128 v[2:5], v109 offset:1024
	ds_read_b128 v[154:157], v109 offset:1040
	v_mul_f32_e32 v9, 0x41000000, v9
	v_fma_mix_f32 v6, v23, v6, -v9 op_sel_hi:[1,0,0]
	v_fma_mix_f32 v152, v23, v152, -v9 op_sel_hi:[1,0,0]
	;; [unrolled: 1-line block ×3, first 2 shown]
	v_fmac_f32_e32 v108, v135, v6
	v_mov_b32_e32 v6, 0
	v_fmac_f32_e32 v10, v125, v152
	v_fma_mix_f32 v152, v23, v153, -v9 op_sel_hi:[1,0,0]
	v_fmac_f32_e32 v21, v134, v151
	v_mov_b32_e32 v23, 0
	v_mov_b32_e32 v9, 0
	s_waitcnt lgkmcnt(1)
	v_dot4c_i32_i8 v6, v126, v2
	v_dot4c_i32_i8 v7, v136, v2
	v_fmac_f32_e32 v107, v116, v152
	s_waitcnt lgkmcnt(0)
	v_dot4c_i32_i8 v6, v127, v154
	v_dot4c_i32_i8 v7, v137, v154
	;; [unrolled: 1-line block ×14, first 2 shown]
	v_cvt_f32_i32_e32 v6, v6
	v_cvt_f32_i32_e32 v7, v7
	v_fma_mix_f32 v6, v24, v6, -v158 op_sel_hi:[1,0,0]
	v_fma_mix_f32 v7, v24, v7, -v158 op_sel_hi:[1,0,0]
	v_fmac_f32_e32 v94, v125, v6
	v_mov_b32_e32 v6, 0
	v_fma_f32 v22, v134, v7, v22
	v_dot4c_i32_i8 v6, v117, v2
	v_dot4c_i32_i8 v6, v118, v154
	;; [unrolled: 1-line block ×8, first 2 shown]
	v_cvt_f32_i32_e32 v6, v6
	v_fma_mix_f32 v6, v24, v6, -v158 op_sel_hi:[1,0,0]
	v_fmac_f32_e32 v103, v116, v6
	v_mov_b32_e32 v6, 0
	v_dot4c_i32_i8 v6, v147, v2
	v_dot4c_i32_i8 v6, v145, v154
	;; [unrolled: 1-line block ×4, first 2 shown]
	v_mov_b32_e32 v155, 0
	v_dot4c_i32_i8 v6, v148, v4
	v_dot4c_i32_i8 v6, v149, v156
	v_mov_b32_e32 v156, 0
	v_dot4c_i32_i8 v6, v150, v5
	v_dot4c_i32_i8 v6, v8, v157
	v_cvt_f32_i32_e32 v2, v6
	v_fma_mix_f32 v2, v24, v2, -v158 op_sel_hi:[1,0,0]
	v_mov_b32_e32 v24, 0
	v_fmac_f32_e32 v105, v135, v2
	ds_read_b128 v[4:7], v109 offset:2048
	ds_read_b128 v[151:154], v109 offset:2064
	ds_read2_b32 v[2:3], v110 offset0:64 offset1:96
	s_waitcnt lgkmcnt(2)
	v_dot4c_i32_i8 v23, v126, v4
	v_dot4c_i32_i8 v9, v136, v4
	;; [unrolled: 1-line block ×4, first 2 shown]
	s_waitcnt lgkmcnt(0)
	v_cvt_f32_f16_sdwa v157, v2 dst_sel:DWORD dst_unused:UNUSED_PAD src0_sel:WORD_1
	v_dot4c_i32_i8 v23, v127, v151
	v_dot4c_i32_i8 v9, v137, v151
	;; [unrolled: 1-line block ×4, first 2 shown]
	v_mul_f32_e32 v157, 0x41000000, v157
	v_dot4c_i32_i8 v23, v128, v5
	v_dot4c_i32_i8 v9, v138, v5
	;; [unrolled: 1-line block ×4, first 2 shown]
	v_cvt_f32_f16_sdwa v158, v3 dst_sel:DWORD dst_unused:UNUSED_PAD src0_sel:WORD_1
	v_dot4c_i32_i8 v23, v129, v152
	v_dot4c_i32_i8 v9, v139, v152
	;; [unrolled: 1-line block ×4, first 2 shown]
	v_mul_f32_e32 v158, 0x41000000, v158
	v_dot4c_i32_i8 v23, v130, v6
	v_dot4c_i32_i8 v9, v140, v6
	;; [unrolled: 1-line block ×16, first 2 shown]
	ds_read_b128 v[4:7], v109 offset:3072
	ds_read_b128 v[151:154], v109 offset:3088
	v_cvt_f32_i32_e32 v23, v23
	v_cvt_f32_i32_e32 v9, v9
	;; [unrolled: 1-line block ×4, first 2 shown]
	v_fma_mix_f32 v23, v2, v23, -v157 op_sel_hi:[1,0,0]
	v_fma_mix_f32 v9, v9, v2, -v157 op_sel_hi:[0,1,0]
	v_fmac_f32_e32 v84, v125, v23
	v_fma_mix_f32 v23, v2, v24, -v157 op_sel_hi:[1,0,0]
	v_fma_mix_f32 v2, v2, v155, -v157 op_sel_hi:[1,0,0]
	v_fmac_f32_e32 v19, v134, v9
	v_mov_b32_e32 v9, 0
	v_mov_b32_e32 v24, 0
	v_fmac_f32_e32 v92, v116, v23
	v_fmac_f32_e32 v101, v135, v2
	v_mov_b32_e32 v2, 0
	s_waitcnt lgkmcnt(1)
	v_dot4c_i32_i8 v156, v136, v4
	v_mov_b32_e32 v23, 0
	v_mov_b32_e32 v155, 0
	v_dot4c_i32_i8 v2, v126, v4
	s_waitcnt lgkmcnt(0)
	v_dot4c_i32_i8 v156, v137, v151
	v_dot4c_i32_i8 v2, v127, v151
	v_dot4c_i32_i8 v156, v138, v5
	v_dot4c_i32_i8 v2, v128, v5
	v_dot4c_i32_i8 v156, v139, v152
	v_dot4c_i32_i8 v2, v129, v152
	v_dot4c_i32_i8 v156, v140, v6
	v_dot4c_i32_i8 v2, v130, v6
	v_dot4c_i32_i8 v156, v141, v153
	v_dot4c_i32_i8 v2, v131, v153
	v_dot4c_i32_i8 v156, v142, v7
	v_dot4c_i32_i8 v2, v132, v7
	v_dot4c_i32_i8 v156, v143, v154
	v_dot4c_i32_i8 v2, v133, v154
	v_cvt_f32_i32_e32 v156, v156
	v_cvt_f32_i32_e32 v2, v2
	v_fma_mix_f32 v156, v156, v3, -v158 op_sel_hi:[0,1,0]
	v_fma_mix_f32 v2, v3, v2, -v158 op_sel_hi:[1,0,0]
	v_fma_f32 v20, v134, v156, v20
	v_mov_b32_e32 v156, 0
	v_fmac_f32_e32 v80, v125, v2
	v_mov_b32_e32 v2, 0
	v_dot4c_i32_i8 v2, v117, v4
	v_dot4c_i32_i8 v2, v118, v151
	;; [unrolled: 1-line block ×8, first 2 shown]
	v_cvt_f32_i32_e32 v2, v2
	v_fma_mix_f32 v2, v3, v2, -v158 op_sel_hi:[1,0,0]
	v_fmac_f32_e32 v88, v116, v2
	v_mov_b32_e32 v2, 0
	v_dot4c_i32_i8 v2, v147, v4
	v_dot4c_i32_i8 v2, v145, v151
	;; [unrolled: 1-line block ×8, first 2 shown]
	v_cvt_f32_i32_e32 v2, v2
	v_fma_mix_f32 v2, v3, v2, -v158 op_sel_hi:[1,0,0]
	v_fmac_f32_e32 v89, v135, v2
	ds_read_b128 v[4:7], v109 offset:4096
	ds_read_b128 v[151:154], v109 offset:4112
	ds_read2_b32 v[2:3], v110 offset0:128 offset1:160
	s_waitcnt lgkmcnt(2)
	v_dot4c_i32_i8 v23, v126, v4
	v_dot4c_i32_i8 v9, v136, v4
	;; [unrolled: 1-line block ×4, first 2 shown]
	s_waitcnt lgkmcnt(0)
	v_cvt_f32_f16_sdwa v157, v2 dst_sel:DWORD dst_unused:UNUSED_PAD src0_sel:WORD_1
	v_dot4c_i32_i8 v23, v127, v151
	v_dot4c_i32_i8 v9, v137, v151
	;; [unrolled: 1-line block ×4, first 2 shown]
	v_mul_f32_e32 v157, 0x41000000, v157
	v_dot4c_i32_i8 v23, v128, v5
	v_dot4c_i32_i8 v9, v138, v5
	;; [unrolled: 1-line block ×4, first 2 shown]
	v_cvt_f32_f16_sdwa v158, v3 dst_sel:DWORD dst_unused:UNUSED_PAD src0_sel:WORD_1
	v_dot4c_i32_i8 v23, v129, v152
	v_dot4c_i32_i8 v9, v139, v152
	;; [unrolled: 1-line block ×4, first 2 shown]
	v_mul_f32_e32 v158, 0x41000000, v158
	v_dot4c_i32_i8 v23, v130, v6
	v_dot4c_i32_i8 v9, v140, v6
	;; [unrolled: 1-line block ×16, first 2 shown]
	ds_read_b128 v[4:7], v109 offset:5120
	ds_read_b128 v[151:154], v109 offset:5136
	v_cvt_f32_i32_e32 v23, v23
	v_cvt_f32_i32_e32 v9, v9
	v_cvt_f32_i32_e32 v24, v24
	v_cvt_f32_i32_e32 v155, v155
	v_fma_mix_f32 v23, v2, v23, -v157 op_sel_hi:[1,0,0]
	v_fma_mix_f32 v9, v9, v2, -v157 op_sel_hi:[0,1,0]
	v_fmac_f32_e32 v68, v125, v23
	v_fma_mix_f32 v23, v2, v24, -v157 op_sel_hi:[1,0,0]
	v_fma_mix_f32 v2, v2, v155, -v157 op_sel_hi:[1,0,0]
	v_fmac_f32_e32 v17, v134, v9
	v_mov_b32_e32 v9, 0
	v_mov_b32_e32 v24, 0
	v_fmac_f32_e32 v78, v116, v23
	v_fmac_f32_e32 v87, v135, v2
	v_mov_b32_e32 v2, 0
	s_waitcnt lgkmcnt(1)
	v_dot4c_i32_i8 v156, v136, v4
	v_mov_b32_e32 v23, 0
	v_mov_b32_e32 v155, 0
	v_dot4c_i32_i8 v2, v126, v4
	s_waitcnt lgkmcnt(0)
	v_dot4c_i32_i8 v156, v137, v151
	v_dot4c_i32_i8 v2, v127, v151
	;; [unrolled: 1-line block ×14, first 2 shown]
	v_cvt_f32_i32_e32 v156, v156
	v_cvt_f32_i32_e32 v2, v2
	v_fma_mix_f32 v156, v156, v3, -v158 op_sel_hi:[0,1,0]
	v_fma_mix_f32 v2, v3, v2, -v158 op_sel_hi:[1,0,0]
	v_fma_f32 v18, v134, v156, v18
	v_mov_b32_e32 v156, 0
	v_fmac_f32_e32 v67, v125, v2
	v_mov_b32_e32 v2, 0
	v_dot4c_i32_i8 v2, v117, v4
	v_dot4c_i32_i8 v2, v118, v151
	;; [unrolled: 1-line block ×8, first 2 shown]
	v_cvt_f32_i32_e32 v2, v2
	v_fma_mix_f32 v2, v3, v2, -v158 op_sel_hi:[1,0,0]
	v_fmac_f32_e32 v73, v116, v2
	v_mov_b32_e32 v2, 0
	v_dot4c_i32_i8 v2, v147, v4
	v_dot4c_i32_i8 v2, v145, v151
	;; [unrolled: 1-line block ×8, first 2 shown]
	v_cvt_f32_i32_e32 v2, v2
	v_fma_mix_f32 v2, v3, v2, -v158 op_sel_hi:[1,0,0]
	v_fmac_f32_e32 v75, v135, v2
	ds_read_b128 v[2:5], v109 offset:6144
	ds_read_b128 v[151:154], v109 offset:6160
	ds_read2_b32 v[6:7], v110 offset0:192 offset1:224
	v_add_nc_u32_e32 v110, 4, v110
	s_waitcnt lgkmcnt(2)
	v_dot4c_i32_i8 v9, v136, v2
	v_dot4c_i32_i8 v23, v126, v2
	;; [unrolled: 1-line block ×4, first 2 shown]
	s_waitcnt lgkmcnt(1)
	v_dot4c_i32_i8 v9, v137, v151
	v_dot4c_i32_i8 v23, v127, v151
	;; [unrolled: 1-line block ×28, first 2 shown]
	ds_read_b128 v[151:154], v109 offset:7168
	ds_read_b128 v[2:5], v109 offset:7184
	v_cvt_f32_i32_e32 v9, v9
	v_cvt_f32_i32_e32 v23, v23
	;; [unrolled: 1-line block ×4, first 2 shown]
	v_add_nc_u32_e32 v109, 32, v109
	s_waitcnt lgkmcnt(1)
	v_dot4c_i32_i8 v156, v136, v151
	v_cvt_f32_f16_sdwa v136, v6 dst_sel:DWORD dst_unused:UNUSED_PAD src0_sel:WORD_1
	s_waitcnt lgkmcnt(0)
	v_dot4c_i32_i8 v156, v137, v2
	v_mul_f32_e32 v136, 0x41000000, v136
	v_cvt_f32_f16_sdwa v137, v7 dst_sel:DWORD dst_unused:UNUSED_PAD src0_sel:WORD_1
	v_dot4c_i32_i8 v156, v138, v152
	v_fma_mix_f32 v23, v6, v23, -v136 op_sel_hi:[1,0,0]
	v_fma_mix_f32 v9, v9, v6, -v136 op_sel_hi:[0,1,0]
	v_mul_f32_e32 v137, 0x41000000, v137
	v_dot4c_i32_i8 v156, v139, v3
	v_fmac_f32_e32 v63, v125, v23
	v_fma_mix_f32 v23, v6, v24, -v136 op_sel_hi:[1,0,0]
	v_fma_mix_f32 v6, v6, v155, -v136 op_sel_hi:[1,0,0]
	v_fmac_f32_e32 v15, v134, v9
	v_dot4c_i32_i8 v156, v140, v153
	v_fmac_f32_e32 v66, v116, v23
	v_fmac_f32_e32 v71, v135, v6
	v_mov_b32_e32 v6, 0
	v_dot4c_i32_i8 v156, v141, v4
	v_dot4c_i32_i8 v6, v126, v151
	;; [unrolled: 1-line block ×6, first 2 shown]
	v_cvt_f32_i32_e32 v138, v156
	v_dot4c_i32_i8 v6, v129, v3
	v_fma_mix_f32 v138, v138, v7, -v137 op_sel_hi:[0,1,0]
	v_dot4c_i32_i8 v6, v130, v153
	v_fma_f32 v16, v134, v138, v16
	v_dot4c_i32_i8 v6, v131, v4
	v_dot4c_i32_i8 v6, v132, v154
	;; [unrolled: 1-line block ×3, first 2 shown]
	v_cvt_f32_i32_e32 v6, v6
	v_fma_mix_f32 v6, v7, v6, -v137 op_sel_hi:[1,0,0]
	v_fmac_f32_e32 v62, v125, v6
	v_mov_b32_e32 v6, 0
	v_dot4c_i32_i8 v6, v117, v151
	v_dot4c_i32_i8 v6, v118, v2
	;; [unrolled: 1-line block ×8, first 2 shown]
	v_cvt_f32_i32_e32 v6, v6
	v_fma_mix_f32 v6, v7, v6, -v137 op_sel_hi:[1,0,0]
	v_fmac_f32_e32 v64, v116, v6
	v_mov_b32_e32 v6, 0
	v_dot4c_i32_i8 v6, v147, v151
	v_dot4c_i32_i8 v6, v145, v2
	;; [unrolled: 1-line block ×8, first 2 shown]
	v_cvt_f32_i32_e32 v2, v6
	v_fma_mix_f32 v2, v7, v2, -v137 op_sel_hi:[1,0,0]
	v_fmac_f32_e32 v69, v135, v2
	s_cbranch_scc1 .LBB137_9
; %bb.10:                               ;   in Loop: Header=BB137_7 Depth=1
	s_and_b32 s0, s11, -4
	s_cmp_eq_u32 s0, 4
	s_barrier
	buffer_gl0_inv
	s_cbranch_scc1 .LBB137_6
; %bb.11:                               ;   in Loop: Header=BB137_7 Depth=1
	v_add_nc_u32_e32 v111, s14, v65
	v_add_nc_u32_e32 v11, 4, v11
	s_mov_b32 s0, 12
	v_add_nc_u32_e32 v2, v111, v53
	v_add_nc_u32_e32 v4, v111, v54
	;; [unrolled: 1-line block ×5, first 2 shown]
	v_mad_u64_u32 v[109:110], null, v11, 36, s[2:3]
	v_mad_i64_i32 v[2:3], null, v2, 36, v[13:14]
	v_add_nc_u32_e32 v112, v111, v58
	v_mad_i64_i32 v[4:5], null, v4, 36, v[13:14]
	v_add_nc_u32_e32 v113, v111, v59
	;; [unrolled: 2-line block ×3, first 2 shown]
	v_mad_i64_i32 v[8:9], null, v8, 36, v[13:14]
	v_mad_i64_i32 v[23:24], null, v23, 36, v[13:14]
	;; [unrolled: 1-line block ×5, first 2 shown]
	s_clause 0x8
	global_load_dword v117, v[109:110], off
	global_load_dword v2, v[2:3], off offset:4
	global_load_dword v3, v[4:5], off offset:4
	;; [unrolled: 1-line block ×8, first 2 shown]
	v_mov_b32_e32 v11, v77
	v_mov_b32_e32 v109, v79
	;; [unrolled: 1-line block ×7, first 2 shown]
	s_waitcnt vmcnt(8)
	ds_write_b32 v52, v117
	s_waitcnt vmcnt(7)
	ds_write_b32 v96, v2
	;; [unrolled: 2-line block ×9, first 2 shown]
	s_waitcnt lgkmcnt(0)
	s_barrier
	buffer_gl0_inv
.LBB137_12:                             ;   Parent Loop BB137_7 Depth=1
                                        ; =>  This Inner Loop Header: Depth=2
	ds_read_b128 v[2:5], v109
	ds_read_b128 v[6:9], v109 offset:16
	ds_read2_b32 v[23:24], v11 offset1:32
	ds_read_b32 v134, v110
	ds_read2_b32 v[115:116], v114 offset1:1
	v_mov_b32_e32 v117, 0
	v_add_nc_u32_e32 v121, 0x2108, v114
	v_add_nc_u32_e32 v143, 0x3180, v114
	v_mov_b32_e32 v147, 0
	v_add_nc_u32_e32 v110, 4, v110
	s_add_i32 s0, s0, 4
	s_cmp_lt_u32 s0, 28
	s_waitcnt lgkmcnt(0)
	v_and_b32_e32 v135, 0xf0f0f0f, v115
	v_lshrrev_b32_e32 v115, 4, v115
	v_and_b32_e32 v137, 0xf0f0f0f, v116
	v_dot4c_i32_i8 v147, v135, v2
	v_and_b32_e32 v136, 0xf0f0f0f, v115
	v_lshrrev_b32_e32 v115, 4, v116
	v_dot4c_i32_i8 v147, v136, v6
	v_and_b32_e32 v138, 0xf0f0f0f, v115
	ds_read2_b32 v[115:116], v114 offset0:2 offset1:3
	v_dot4c_i32_i8 v147, v137, v3
	v_dot4c_i32_i8 v147, v138, v7
	s_waitcnt lgkmcnt(0)
	v_and_b32_e32 v139, 0xf0f0f0f, v115
	v_lshrrev_b32_e32 v115, 4, v115
	v_and_b32_e32 v141, 0xf0f0f0f, v116
	v_dot4c_i32_i8 v147, v139, v4
	v_and_b32_e32 v140, 0xf0f0f0f, v115
	v_lshrrev_b32_e32 v115, 4, v116
	v_dot4c_i32_i8 v147, v140, v8
	v_and_b32_e32 v142, 0xf0f0f0f, v115
	v_add_nc_u32_e32 v115, 0x1080, v114
	ds_read_b32 v125, v111
	ds_read2_b32 v[115:116], v115 offset1:1
	v_dot4c_i32_i8 v147, v141, v5
	v_add_nc_u32_e32 v111, 4, v111
	v_dot4c_i32_i8 v147, v142, v9
	v_cvt_f32_i32_e32 v147, v147
	s_waitcnt lgkmcnt(0)
	v_and_b32_e32 v126, 0xf0f0f0f, v115
	v_lshrrev_b32_e32 v115, 4, v115
	v_and_b32_e32 v128, 0xf0f0f0f, v116
	v_dot4c_i32_i8 v117, v126, v2
	v_and_b32_e32 v127, 0xf0f0f0f, v115
	v_lshrrev_b32_e32 v115, 4, v116
	v_dot4c_i32_i8 v117, v127, v6
	v_and_b32_e32 v129, 0xf0f0f0f, v115
	v_add_nc_u32_e32 v115, 0x1088, v114
	v_dot4c_i32_i8 v117, v128, v3
	ds_read2_b32 v[115:116], v115 offset1:1
	v_dot4c_i32_i8 v117, v129, v7
	s_waitcnt lgkmcnt(0)
	v_and_b32_e32 v130, 0xf0f0f0f, v115
	v_lshrrev_b32_e32 v115, 4, v115
	v_and_b32_e32 v132, 0xf0f0f0f, v116
	v_dot4c_i32_i8 v117, v130, v4
	v_and_b32_e32 v131, 0xf0f0f0f, v115
	v_lshrrev_b32_e32 v115, 4, v116
	v_dot4c_i32_i8 v117, v131, v8
	v_and_b32_e32 v133, 0xf0f0f0f, v115
	v_add_nc_u32_e32 v115, 0x2100, v114
	ds_read_b32 v116, v112
	ds_read2_b32 v[119:120], v115 offset1:1
	v_dot4c_i32_i8 v117, v132, v5
	ds_read2_b32 v[123:124], v121 offset1:1
	v_add_nc_u32_e32 v112, 4, v112
	v_dot4c_i32_i8 v117, v133, v9
	v_cvt_f32_i32_e32 v148, v117
	s_waitcnt lgkmcnt(1)
	v_lshrrev_b32_e32 v115, 4, v119
	v_and_b32_e32 v117, 0xf0f0f0f, v119
	v_and_b32_e32 v119, 0xf0f0f0f, v120
	v_lshrrev_b32_e32 v120, 4, v120
	s_waitcnt lgkmcnt(0)
	v_and_b32_e32 v121, 0xf0f0f0f, v123
	v_and_b32_e32 v118, 0xf0f0f0f, v115
	v_mov_b32_e32 v115, 0
	v_lshrrev_b32_e32 v122, 4, v123
	v_and_b32_e32 v120, 0xf0f0f0f, v120
	v_and_b32_e32 v123, 0xf0f0f0f, v124
	v_lshrrev_b32_e32 v124, 4, v124
	v_dot4c_i32_i8 v115, v117, v2
	v_and_b32_e32 v122, 0xf0f0f0f, v122
	v_and_b32_e32 v124, 0xf0f0f0f, v124
	v_dot4c_i32_i8 v115, v118, v6
	v_dot4c_i32_i8 v115, v119, v3
	;; [unrolled: 1-line block ×7, first 2 shown]
	v_cvt_f32_i32_e32 v149, v115
	ds_read_b32 v115, v113
	ds_read2_b32 v[150:151], v143 offset1:1
	v_add_nc_u32_e32 v113, 4, v113
	s_waitcnt lgkmcnt(0)
	v_and_b32_e32 v145, 0xf0f0f0f, v150
	v_lshrrev_b32_e32 v143, 4, v150
	v_mov_b32_e32 v150, 0
	v_and_b32_e32 v144, 0xf0f0f0f, v143
	v_dot4c_i32_i8 v150, v145, v2
	v_lshrrev_b32_e32 v2, 4, v151
	v_and_b32_e32 v143, 0xf0f0f0f, v151
	v_dot4c_i32_i8 v150, v144, v6
	v_and_b32_e32 v6, 0xf0f0f0f, v2
	v_add_nc_u32_e32 v2, 0x3188, v114
	v_add_nc_u32_e32 v114, 16, v114
	v_dot4c_i32_i8 v150, v143, v3
	ds_read2_b32 v[2:3], v2 offset1:1
	v_dot4c_i32_i8 v150, v6, v7
	s_waitcnt lgkmcnt(0)
	v_and_b32_e32 v7, 0xf0f0f0f, v2
	v_lshrrev_b32_e32 v2, 4, v2
	v_dot4c_i32_i8 v150, v7, v4
	v_and_b32_e32 v146, 0xf0f0f0f, v2
	v_lshrrev_b32_e32 v2, 4, v3
	v_dot4c_i32_i8 v150, v146, v8
	v_and_b32_e32 v8, 0xf0f0f0f, v3
	v_and_b32_e32 v4, 0xf0f0f0f, v2
	v_mov_b32_e32 v3, 0
	v_dot4c_i32_i8 v150, v8, v5
	v_cvt_f32_f16_sdwa v5, v23 dst_sel:DWORD dst_unused:UNUSED_PAD src0_sel:WORD_1
	v_dot4c_i32_i8 v150, v4, v9
	v_mul_f32_e32 v5, 0x41000000, v5
	v_cvt_f32_f16_sdwa v9, v24 dst_sel:DWORD dst_unused:UNUSED_PAD src0_sel:WORD_1
	v_cvt_f32_i32_e32 v2, v150
	ds_read_b128 v[150:153], v109 offset:1024
	ds_read_b128 v[154:157], v109 offset:1040
	v_mul_f32_e32 v9, 0x41000000, v9
	v_fma_mix_f32 v148, v23, v148, -v5 op_sel_hi:[1,0,0]
	v_fma_mix_f32 v147, v23, v147, -v5 op_sel_hi:[1,0,0]
	;; [unrolled: 1-line block ×3, first 2 shown]
	v_fmac_f32_e32 v10, v125, v148
	v_fma_mix_f32 v148, v23, v149, -v5 op_sel_hi:[1,0,0]
	v_fmac_f32_e32 v108, v115, v2
	v_mov_b32_e32 v2, 0
	v_fmac_f32_e32 v21, v134, v147
	v_mov_b32_e32 v5, 0
	;; [unrolled: 2-line block ×3, first 2 shown]
	s_waitcnt lgkmcnt(1)
	v_dot4c_i32_i8 v2, v126, v150
	v_dot4c_i32_i8 v3, v135, v150
	s_waitcnt lgkmcnt(0)
	v_dot4c_i32_i8 v2, v127, v154
	v_dot4c_i32_i8 v3, v136, v154
	;; [unrolled: 1-line block ×14, first 2 shown]
	v_cvt_f32_i32_e32 v2, v2
	v_cvt_f32_i32_e32 v3, v3
	v_fma_mix_f32 v2, v24, v2, -v9 op_sel_hi:[1,0,0]
	v_fma_mix_f32 v3, v24, v3, -v9 op_sel_hi:[1,0,0]
	v_fmac_f32_e32 v94, v125, v2
	v_mov_b32_e32 v2, 0
	v_fma_f32 v22, v134, v3, v22
	v_dot4c_i32_i8 v2, v117, v150
	v_dot4c_i32_i8 v2, v118, v154
	;; [unrolled: 1-line block ×8, first 2 shown]
	v_cvt_f32_i32_e32 v2, v2
	v_fma_mix_f32 v2, v24, v2, -v9 op_sel_hi:[1,0,0]
	v_fmac_f32_e32 v103, v116, v2
	v_mov_b32_e32 v2, 0
	v_dot4c_i32_i8 v2, v145, v150
	v_dot4c_i32_i8 v2, v144, v154
	;; [unrolled: 1-line block ×4, first 2 shown]
	v_mov_b32_e32 v155, 0
	v_dot4c_i32_i8 v2, v7, v152
	v_dot4c_i32_i8 v2, v146, v156
	;; [unrolled: 1-line block ×4, first 2 shown]
	v_cvt_f32_i32_e32 v2, v2
	v_fma_mix_f32 v2, v24, v2, -v9 op_sel_hi:[1,0,0]
	v_mov_b32_e32 v9, 0
	v_mov_b32_e32 v24, 0
	v_fmac_f32_e32 v105, v115, v2
	ds_read_b128 v[147:150], v109 offset:2048
	ds_read_b128 v[151:154], v109 offset:2064
	ds_read2_b32 v[2:3], v11 offset0:64 offset1:96
	s_waitcnt lgkmcnt(2)
	v_dot4c_i32_i8 v9, v126, v147
	v_dot4c_i32_i8 v5, v135, v147
	;; [unrolled: 1-line block ×4, first 2 shown]
	s_waitcnt lgkmcnt(0)
	v_cvt_f32_f16_sdwa v156, v2 dst_sel:DWORD dst_unused:UNUSED_PAD src0_sel:WORD_1
	v_dot4c_i32_i8 v9, v127, v151
	v_dot4c_i32_i8 v5, v136, v151
	;; [unrolled: 1-line block ×4, first 2 shown]
	v_mul_f32_e32 v156, 0x41000000, v156
	v_dot4c_i32_i8 v9, v128, v148
	v_dot4c_i32_i8 v5, v137, v148
	;; [unrolled: 1-line block ×4, first 2 shown]
	v_cvt_f32_f16_sdwa v157, v3 dst_sel:DWORD dst_unused:UNUSED_PAD src0_sel:WORD_1
	v_dot4c_i32_i8 v9, v129, v152
	v_dot4c_i32_i8 v5, v138, v152
	;; [unrolled: 1-line block ×4, first 2 shown]
	v_mul_f32_e32 v157, 0x41000000, v157
	v_dot4c_i32_i8 v9, v130, v149
	v_dot4c_i32_i8 v5, v139, v149
	;; [unrolled: 1-line block ×16, first 2 shown]
	ds_read_b128 v[147:150], v109 offset:3072
	ds_read_b128 v[151:154], v109 offset:3088
	v_cvt_f32_i32_e32 v9, v9
	v_cvt_f32_i32_e32 v5, v5
	;; [unrolled: 1-line block ×4, first 2 shown]
	v_fma_mix_f32 v9, v2, v9, -v156 op_sel_hi:[1,0,0]
	v_fma_mix_f32 v5, v5, v2, -v156 op_sel_hi:[0,1,0]
	v_fmac_f32_e32 v84, v125, v9
	v_fma_mix_f32 v9, v2, v23, -v156 op_sel_hi:[1,0,0]
	v_fma_mix_f32 v2, v2, v24, -v156 op_sel_hi:[1,0,0]
	v_fmac_f32_e32 v19, v134, v5
	v_mov_b32_e32 v5, 0
	v_mov_b32_e32 v23, 0
	v_fmac_f32_e32 v92, v116, v9
	v_fmac_f32_e32 v101, v115, v2
	v_mov_b32_e32 v2, 0
	s_waitcnt lgkmcnt(1)
	v_dot4c_i32_i8 v155, v135, v147
	v_mov_b32_e32 v9, 0
	v_mov_b32_e32 v24, 0
	v_dot4c_i32_i8 v2, v126, v147
	s_waitcnt lgkmcnt(0)
	v_dot4c_i32_i8 v155, v136, v151
	v_dot4c_i32_i8 v2, v127, v151
	;; [unrolled: 1-line block ×14, first 2 shown]
	v_cvt_f32_i32_e32 v155, v155
	v_cvt_f32_i32_e32 v2, v2
	v_fma_mix_f32 v155, v155, v3, -v157 op_sel_hi:[0,1,0]
	v_fma_mix_f32 v2, v3, v2, -v157 op_sel_hi:[1,0,0]
	v_fma_f32 v20, v134, v155, v20
	v_mov_b32_e32 v155, 0
	v_fmac_f32_e32 v80, v125, v2
	v_mov_b32_e32 v2, 0
	v_dot4c_i32_i8 v2, v117, v147
	v_dot4c_i32_i8 v2, v118, v151
	;; [unrolled: 1-line block ×8, first 2 shown]
	v_cvt_f32_i32_e32 v2, v2
	v_fma_mix_f32 v2, v3, v2, -v157 op_sel_hi:[1,0,0]
	v_fmac_f32_e32 v88, v116, v2
	v_mov_b32_e32 v2, 0
	v_dot4c_i32_i8 v2, v145, v147
	v_dot4c_i32_i8 v2, v144, v151
	;; [unrolled: 1-line block ×8, first 2 shown]
	v_cvt_f32_i32_e32 v2, v2
	v_fma_mix_f32 v2, v3, v2, -v157 op_sel_hi:[1,0,0]
	v_fmac_f32_e32 v89, v115, v2
	ds_read_b128 v[147:150], v109 offset:4096
	ds_read_b128 v[151:154], v109 offset:4112
	ds_read2_b32 v[2:3], v11 offset0:128 offset1:160
	s_waitcnt lgkmcnt(2)
	v_dot4c_i32_i8 v9, v126, v147
	v_dot4c_i32_i8 v5, v135, v147
	;; [unrolled: 1-line block ×4, first 2 shown]
	s_waitcnt lgkmcnt(0)
	v_cvt_f32_f16_sdwa v156, v2 dst_sel:DWORD dst_unused:UNUSED_PAD src0_sel:WORD_1
	v_dot4c_i32_i8 v9, v127, v151
	v_dot4c_i32_i8 v5, v136, v151
	v_dot4c_i32_i8 v23, v118, v151
	v_dot4c_i32_i8 v24, v144, v151
	v_mul_f32_e32 v156, 0x41000000, v156
	v_dot4c_i32_i8 v9, v128, v148
	v_dot4c_i32_i8 v5, v137, v148
	;; [unrolled: 1-line block ×4, first 2 shown]
	v_cvt_f32_f16_sdwa v157, v3 dst_sel:DWORD dst_unused:UNUSED_PAD src0_sel:WORD_1
	v_dot4c_i32_i8 v9, v129, v152
	v_dot4c_i32_i8 v5, v138, v152
	;; [unrolled: 1-line block ×4, first 2 shown]
	v_mul_f32_e32 v157, 0x41000000, v157
	v_dot4c_i32_i8 v9, v130, v149
	v_dot4c_i32_i8 v5, v139, v149
	;; [unrolled: 1-line block ×16, first 2 shown]
	ds_read_b128 v[147:150], v109 offset:5120
	ds_read_b128 v[151:154], v109 offset:5136
	v_cvt_f32_i32_e32 v9, v9
	v_cvt_f32_i32_e32 v5, v5
	;; [unrolled: 1-line block ×4, first 2 shown]
	v_fma_mix_f32 v9, v2, v9, -v156 op_sel_hi:[1,0,0]
	v_fma_mix_f32 v5, v5, v2, -v156 op_sel_hi:[0,1,0]
	v_fmac_f32_e32 v68, v125, v9
	v_fma_mix_f32 v9, v2, v23, -v156 op_sel_hi:[1,0,0]
	v_fma_mix_f32 v2, v2, v24, -v156 op_sel_hi:[1,0,0]
	v_fmac_f32_e32 v17, v134, v5
	v_mov_b32_e32 v5, 0
	v_mov_b32_e32 v156, 0
	v_fmac_f32_e32 v78, v116, v9
	v_fmac_f32_e32 v87, v115, v2
	v_mov_b32_e32 v2, 0
	s_waitcnt lgkmcnt(1)
	v_dot4c_i32_i8 v155, v135, v147
	v_mov_b32_e32 v9, 0
	v_dot4c_i32_i8 v2, v126, v147
	s_waitcnt lgkmcnt(0)
	v_dot4c_i32_i8 v155, v136, v151
	v_dot4c_i32_i8 v2, v127, v151
	;; [unrolled: 1-line block ×14, first 2 shown]
	v_cvt_f32_i32_e32 v155, v155
	v_cvt_f32_i32_e32 v2, v2
	v_fma_mix_f32 v155, v155, v3, -v157 op_sel_hi:[0,1,0]
	v_fma_mix_f32 v2, v3, v2, -v157 op_sel_hi:[1,0,0]
	v_fma_f32 v18, v134, v155, v18
	v_fmac_f32_e32 v67, v125, v2
	v_mov_b32_e32 v2, 0
	v_dot4c_i32_i8 v2, v117, v147
	v_dot4c_i32_i8 v2, v118, v151
	;; [unrolled: 1-line block ×8, first 2 shown]
	v_cvt_f32_i32_e32 v2, v2
	v_fma_mix_f32 v2, v3, v2, -v157 op_sel_hi:[1,0,0]
	v_fmac_f32_e32 v73, v116, v2
	v_mov_b32_e32 v2, 0
	v_dot4c_i32_i8 v2, v145, v147
	v_dot4c_i32_i8 v2, v144, v151
	;; [unrolled: 1-line block ×8, first 2 shown]
	v_cvt_f32_i32_e32 v2, v2
	v_fma_mix_f32 v2, v3, v2, -v157 op_sel_hi:[1,0,0]
	v_fmac_f32_e32 v75, v115, v2
	ds_read_b128 v[147:150], v109 offset:6144
	ds_read_b128 v[151:154], v109 offset:6160
	ds_read2_b32 v[2:3], v11 offset0:192 offset1:224
	v_add_nc_u32_e32 v11, 4, v11
	s_waitcnt lgkmcnt(2)
	v_dot4c_i32_i8 v5, v126, v147
	v_dot4c_i32_i8 v9, v135, v147
	s_waitcnt lgkmcnt(1)
	v_dot4c_i32_i8 v5, v127, v151
	v_dot4c_i32_i8 v9, v136, v151
	;; [unrolled: 1-line block ×14, first 2 shown]
	v_cvt_f32_i32_e32 v23, v5
	v_mov_b32_e32 v5, 0
	v_cvt_f32_i32_e32 v9, v9
	v_dot4c_i32_i8 v5, v117, v147
	v_dot4c_i32_i8 v5, v118, v151
	;; [unrolled: 1-line block ×8, first 2 shown]
	v_cvt_f32_i32_e32 v24, v5
	v_mov_b32_e32 v5, 0
	v_dot4c_i32_i8 v5, v145, v147
	v_dot4c_i32_i8 v5, v144, v151
	;; [unrolled: 1-line block ×8, first 2 shown]
	ds_read_b128 v[147:150], v109 offset:7168
	ds_read_b128 v[151:154], v109 offset:7184
	v_add_nc_u32_e32 v109, 32, v109
	v_cvt_f32_i32_e32 v155, v5
	s_waitcnt lgkmcnt(2)
	v_cvt_f32_f16_sdwa v5, v3 dst_sel:DWORD dst_unused:UNUSED_PAD src0_sel:WORD_1
	v_mul_f32_e32 v5, 0x41000000, v5
	s_waitcnt lgkmcnt(1)
	v_dot4c_i32_i8 v156, v135, v147
	v_cvt_f32_f16_sdwa v135, v2 dst_sel:DWORD dst_unused:UNUSED_PAD src0_sel:WORD_1
	s_waitcnt lgkmcnt(0)
	v_dot4c_i32_i8 v156, v136, v151
	v_mul_f32_e32 v135, 0x41000000, v135
	v_dot4c_i32_i8 v156, v137, v148
	v_fma_mix_f32 v23, v2, v23, -v135 op_sel_hi:[1,0,0]
	v_fma_mix_f32 v9, v9, v2, -v135 op_sel_hi:[0,1,0]
	v_dot4c_i32_i8 v156, v138, v152
	v_fmac_f32_e32 v63, v125, v23
	v_fma_mix_f32 v23, v2, v24, -v135 op_sel_hi:[1,0,0]
	v_fma_mix_f32 v2, v2, v155, -v135 op_sel_hi:[1,0,0]
	v_fmac_f32_e32 v15, v134, v9
	v_dot4c_i32_i8 v156, v139, v149
	v_fmac_f32_e32 v66, v116, v23
	v_fmac_f32_e32 v71, v115, v2
	v_mov_b32_e32 v2, 0
	v_dot4c_i32_i8 v156, v140, v153
	v_dot4c_i32_i8 v2, v126, v147
	;; [unrolled: 1-line block ×6, first 2 shown]
	v_cvt_f32_i32_e32 v136, v156
	v_dot4c_i32_i8 v2, v129, v152
	v_fma_mix_f32 v136, v136, v3, -v5 op_sel_hi:[0,1,0]
	v_dot4c_i32_i8 v2, v130, v149
	v_fma_f32 v16, v134, v136, v16
	v_dot4c_i32_i8 v2, v131, v153
	v_dot4c_i32_i8 v2, v132, v150
	;; [unrolled: 1-line block ×3, first 2 shown]
	v_cvt_f32_i32_e32 v2, v2
	v_fma_mix_f32 v2, v3, v2, -v5 op_sel_hi:[1,0,0]
	v_fmac_f32_e32 v62, v125, v2
	v_mov_b32_e32 v2, 0
	v_dot4c_i32_i8 v2, v117, v147
	v_dot4c_i32_i8 v2, v118, v151
	;; [unrolled: 1-line block ×8, first 2 shown]
	v_cvt_f32_i32_e32 v2, v2
	v_fma_mix_f32 v2, v3, v2, -v5 op_sel_hi:[1,0,0]
	v_fmac_f32_e32 v64, v116, v2
	v_mov_b32_e32 v2, 0
	v_dot4c_i32_i8 v2, v145, v147
	v_dot4c_i32_i8 v2, v144, v151
	;; [unrolled: 1-line block ×8, first 2 shown]
	v_cvt_f32_i32_e32 v2, v2
	v_fma_mix_f32 v2, v3, v2, -v5 op_sel_hi:[1,0,0]
	v_fmac_f32_e32 v69, v115, v2
	s_cbranch_scc1 .LBB137_12
; %bb.13:                               ;   in Loop: Header=BB137_7 Depth=1
	s_barrier
	buffer_gl0_inv
	s_branch .LBB137_6
.LBB137_14:
	v_cvt_f16_f32_e32 v2, v22
	v_cvt_f16_f32_e32 v3, v21
	v_cvt_f16_f32_e32 v11, v10
	v_cvt_f16_f32_e32 v12, v107
	v_cvt_f16_f32_e32 v33, v108
	v_cvt_f16_f32_e32 v32, v94
	v_pack_b32_f16 v31, v3, v2
	v_cvt_f16_f32_e32 v2, v20
	v_cvt_f16_f32_e32 v3, v19
	v_cvt_f16_f32_e32 v30, v103
	v_cvt_f16_f32_e32 v29, v105
	v_cvt_f16_f32_e32 v28, v84
	v_cvt_f16_f32_e32 v27, v92
	v_pack_b32_f16 v23, v3, v2
	;; [unrolled: 7-line block ×3, first 2 shown]
	v_cvt_f16_f32_e32 v2, v16
	v_cvt_f16_f32_e32 v3, v15
	v_cvt_f16_f32_e32 v20, v68
	v_cvt_f16_f32_e32 v19, v78
	v_cvt_f16_f32_e32 v18, v87
	v_cvt_f16_f32_e32 v17, v67
	v_cvt_f16_f32_e32 v13, v73
	v_cvt_f16_f32_e32 v9, v75
	v_cvt_f16_f32_e32 v8, v63
	v_cvt_f16_f32_e32 v7, v66
	v_cvt_f16_f32_e32 v6, v71
	v_pack_b32_f16 v4, v3, v2
	v_cvt_f16_f32_e32 v5, v62
	v_cvt_f16_f32_e32 v3, v64
	;; [unrolled: 1-line block ×3, first 2 shown]
	v_mov_b32_e32 v10, v25
	s_mov_b32 s0, exec_lo
	v_cmpx_gt_u32_e64 s8, v10
	s_cbranch_execz .LBB137_3
.LBB137_15:
	v_add_nc_u32_e32 v0, s6, v0
	v_mul_lo_u32 v15, v10, s10
	v_cmp_gt_u32_e32 vcc_lo, s10, v0
	s_and_saveexec_b32 s1, vcc_lo
	s_cbranch_execz .LBB137_17
; %bb.16:
	v_add_nc_u32_e32 v34, v0, v15
	v_mov_b32_e32 v35, 0
	v_lshlrev_b64 v[34:35], 1, v[34:35]
	s_waitcnt lgkmcnt(0)
	v_add_co_u32 v34, s0, s12, v34
	v_add_co_ci_u32_e64 v35, null, s13, v35, s0
	global_store_short v[34:35], v31, off
.LBB137_17:
	s_or_b32 exec_lo, exec_lo, s1
	v_add_nc_u32_e32 v10, 32, v0
	v_cmp_gt_u32_e64 s0, s10, v10
	s_and_saveexec_b32 s2, s0
	s_cbranch_execz .LBB137_19
; %bb.18:
	v_add_nc_u32_e32 v34, v10, v15
	v_mov_b32_e32 v35, 0
	v_lshlrev_b64 v[34:35], 1, v[34:35]
	s_waitcnt lgkmcnt(0)
	v_add_co_u32 v34, s1, s12, v34
	v_add_co_ci_u32_e64 v35, null, s13, v35, s1
	global_store_short v[34:35], v11, off
.LBB137_19:
	s_or_b32 exec_lo, exec_lo, s2
	v_add_nc_u32_e32 v11, 64, v0
	v_cmp_gt_u32_e64 s1, s10, v11
	s_and_saveexec_b32 s3, s1
	;; [unrolled: 14-line block ×3, first 2 shown]
	s_cbranch_execz .LBB137_23
; %bb.22:
	v_add_nc_u32_e32 v15, v12, v15
	v_mov_b32_e32 v16, 0
	v_lshlrev_b64 v[15:16], 1, v[15:16]
	s_waitcnt lgkmcnt(0)
	v_add_co_u32 v15, s3, s12, v15
	v_add_co_ci_u32_e64 v16, null, s13, v16, s3
	global_store_short v[15:16], v33, off
.LBB137_23:
	s_or_b32 exec_lo, exec_lo, s4
	v_add3_u32 v15, v1, s7, 8
	v_cmp_gt_u32_e64 s3, s8, v15
	s_and_b32 exec_lo, exec_lo, s3
	s_cbranch_execz .LBB137_3
; %bb.24:
	v_mul_lo_u32 v15, v15, s10
	s_and_saveexec_b32 s4, vcc_lo
	s_cbranch_execnz .LBB137_64
; %bb.25:
	s_or_b32 exec_lo, exec_lo, s4
	s_and_saveexec_b32 s4, s0
	s_cbranch_execnz .LBB137_65
.LBB137_26:
	s_or_b32 exec_lo, exec_lo, s4
	s_and_saveexec_b32 s4, s1
	s_cbranch_execnz .LBB137_66
.LBB137_27:
	s_or_b32 exec_lo, exec_lo, s4
	s_and_saveexec_b32 s4, s2
	s_cbranch_execz .LBB137_29
.LBB137_28:
	v_add_nc_u32_e32 v15, v15, v12
	v_mov_b32_e32 v16, 0
	v_lshlrev_b64 v[15:16], 1, v[15:16]
	s_waitcnt lgkmcnt(0)
	v_add_co_u32 v15, s3, s12, v15
	v_add_co_ci_u32_e64 v16, null, s13, v16, s3
	global_store_short v[15:16], v29, off
.LBB137_29:
	s_or_b32 exec_lo, exec_lo, s4
	v_add3_u32 v15, v1, s7, 16
	v_cmp_gt_u32_e64 s3, s8, v15
	s_and_b32 exec_lo, exec_lo, s3
	s_cbranch_execz .LBB137_3
; %bb.30:
	v_mul_lo_u32 v15, v15, s10
	s_and_saveexec_b32 s4, vcc_lo
	s_cbranch_execnz .LBB137_67
; %bb.31:
	s_or_b32 exec_lo, exec_lo, s4
	s_and_saveexec_b32 s4, s0
	s_cbranch_execnz .LBB137_68
.LBB137_32:
	s_or_b32 exec_lo, exec_lo, s4
	s_and_saveexec_b32 s4, s1
	s_cbranch_execnz .LBB137_69
.LBB137_33:
	s_or_b32 exec_lo, exec_lo, s4
	s_and_saveexec_b32 s4, s2
	s_cbranch_execz .LBB137_35
.LBB137_34:
	v_add_nc_u32_e32 v15, v15, v12
	v_mov_b32_e32 v16, 0
	v_lshlrev_b64 v[15:16], 1, v[15:16]
	s_waitcnt lgkmcnt(0)
	v_add_co_u32 v15, s3, s12, v15
	v_add_co_ci_u32_e64 v16, null, s13, v16, s3
	global_store_short v[15:16], v26, off
.LBB137_35:
	s_or_b32 exec_lo, exec_lo, s4
	v_add3_u32 v15, v1, s7, 24
	v_cmp_gt_u32_e64 s3, s8, v15
	s_and_b32 exec_lo, exec_lo, s3
	s_cbranch_execz .LBB137_3
; %bb.36:
	v_mul_lo_u32 v15, v15, s10
	s_and_saveexec_b32 s4, vcc_lo
	s_cbranch_execnz .LBB137_70
; %bb.37:
	s_or_b32 exec_lo, exec_lo, s4
	s_and_saveexec_b32 s4, s0
	s_cbranch_execnz .LBB137_71
.LBB137_38:
	s_or_b32 exec_lo, exec_lo, s4
	s_and_saveexec_b32 s4, s1
	s_cbranch_execnz .LBB137_72
.LBB137_39:
	s_or_b32 exec_lo, exec_lo, s4
	s_and_saveexec_b32 s4, s2
	s_cbranch_execz .LBB137_41
.LBB137_40:
	v_add_nc_u32_e32 v15, v15, v12
	v_mov_b32_e32 v16, 0
	v_lshlrev_b64 v[15:16], 1, v[15:16]
	s_waitcnt lgkmcnt(0)
	v_add_co_u32 v15, s3, s12, v15
	v_add_co_ci_u32_e64 v16, null, s13, v16, s3
	global_store_short v[15:16], v21, off
.LBB137_41:
	s_or_b32 exec_lo, exec_lo, s4
	v_add3_u32 v15, v1, s7, 32
	v_cmp_gt_u32_e64 s3, s8, v15
	s_and_b32 exec_lo, exec_lo, s3
	s_cbranch_execz .LBB137_3
; %bb.42:
	v_mul_lo_u32 v15, v15, s10
	s_and_saveexec_b32 s4, vcc_lo
	s_cbranch_execnz .LBB137_73
; %bb.43:
	s_or_b32 exec_lo, exec_lo, s4
	s_and_saveexec_b32 s4, s0
	s_cbranch_execnz .LBB137_74
.LBB137_44:
	s_or_b32 exec_lo, exec_lo, s4
	s_and_saveexec_b32 s4, s1
	s_cbranch_execnz .LBB137_75
.LBB137_45:
	s_or_b32 exec_lo, exec_lo, s4
	s_and_saveexec_b32 s4, s2
	s_cbranch_execz .LBB137_47
.LBB137_46:
	v_add_nc_u32_e32 v15, v15, v12
	v_mov_b32_e32 v16, 0
	v_lshlrev_b64 v[15:16], 1, v[15:16]
	s_waitcnt lgkmcnt(0)
	v_add_co_u32 v15, s3, s12, v15
	v_add_co_ci_u32_e64 v16, null, s13, v16, s3
	global_store_short v[15:16], v18, off
.LBB137_47:
	s_or_b32 exec_lo, exec_lo, s4
	v_add3_u32 v15, v1, s7, 40
	v_cmp_gt_u32_e64 s3, s8, v15
	s_and_b32 exec_lo, exec_lo, s3
	s_cbranch_execz .LBB137_3
; %bb.48:
	v_mul_lo_u32 v15, v15, s10
	s_and_saveexec_b32 s4, vcc_lo
	s_cbranch_execnz .LBB137_76
; %bb.49:
	s_or_b32 exec_lo, exec_lo, s4
	s_and_saveexec_b32 s4, s0
	s_cbranch_execnz .LBB137_77
.LBB137_50:
	s_or_b32 exec_lo, exec_lo, s4
	s_and_saveexec_b32 s4, s1
	s_cbranch_execnz .LBB137_78
.LBB137_51:
	s_or_b32 exec_lo, exec_lo, s4
	s_and_saveexec_b32 s4, s2
	s_cbranch_execz .LBB137_53
.LBB137_52:
	v_add_nc_u32_e32 v13, v15, v12
	v_mov_b32_e32 v14, 0
	v_lshlrev_b64 v[13:14], 1, v[13:14]
	s_waitcnt lgkmcnt(0)
	v_add_co_u32 v13, s3, s12, v13
	v_add_co_ci_u32_e64 v14, null, s13, v14, s3
	global_store_short v[13:14], v9, off
.LBB137_53:
	s_or_b32 exec_lo, exec_lo, s4
	v_add3_u32 v9, v1, s7, 48
	v_cmp_gt_u32_e64 s3, s8, v9
	s_and_b32 exec_lo, exec_lo, s3
	s_cbranch_execz .LBB137_3
; %bb.54:
	v_mul_lo_u32 v9, v9, s10
	s_and_saveexec_b32 s4, vcc_lo
	s_cbranch_execnz .LBB137_79
; %bb.55:
	s_or_b32 exec_lo, exec_lo, s4
	s_and_saveexec_b32 s4, s0
	s_cbranch_execnz .LBB137_80
.LBB137_56:
	s_or_b32 exec_lo, exec_lo, s4
	s_and_saveexec_b32 s4, s1
	s_cbranch_execnz .LBB137_81
.LBB137_57:
	s_or_b32 exec_lo, exec_lo, s4
	s_and_saveexec_b32 s4, s2
	s_cbranch_execz .LBB137_59
.LBB137_58:
	v_add_nc_u32_e32 v7, v9, v12
	v_mov_b32_e32 v8, 0
	v_lshlrev_b64 v[7:8], 1, v[7:8]
	s_waitcnt lgkmcnt(0)
	v_add_co_u32 v7, s3, s12, v7
	v_add_co_ci_u32_e64 v8, null, s13, v8, s3
	global_store_short v[7:8], v6, off
.LBB137_59:
	s_or_b32 exec_lo, exec_lo, s4
	v_add3_u32 v1, v1, s7, 56
	v_cmp_gt_u32_e64 s3, s8, v1
	s_and_b32 exec_lo, exec_lo, s3
	s_cbranch_execz .LBB137_3
; %bb.60:
	v_mul_lo_u32 v1, v1, s10
	s_and_saveexec_b32 s3, vcc_lo
	s_cbranch_execnz .LBB137_82
; %bb.61:
	s_or_b32 exec_lo, exec_lo, s3
	s_and_saveexec_b32 s3, s0
	s_cbranch_execnz .LBB137_83
.LBB137_62:
	s_or_b32 exec_lo, exec_lo, s3
	s_and_saveexec_b32 s0, s1
	s_cbranch_execnz .LBB137_84
.LBB137_63:
	s_or_b32 exec_lo, exec_lo, s0
	s_and_b32 exec_lo, exec_lo, s2
	s_cbranch_execz .LBB137_3
	s_branch .LBB137_85
.LBB137_64:
	v_add_nc_u32_e32 v33, v15, v0
	v_mov_b32_e32 v34, 0
	v_lshlrev_b64 v[33:34], 1, v[33:34]
	s_waitcnt lgkmcnt(0)
	v_add_co_u32 v33, s3, s12, v33
	v_add_co_ci_u32_e64 v34, null, s13, v34, s3
	global_store_short_d16_hi v[33:34], v31, off
	s_or_b32 exec_lo, exec_lo, s4
	s_and_saveexec_b32 s4, s0
	s_cbranch_execz .LBB137_26
.LBB137_65:
	v_add_nc_u32_e32 v33, v15, v10
	v_mov_b32_e32 v34, 0
	v_lshlrev_b64 v[33:34], 1, v[33:34]
	s_waitcnt lgkmcnt(0)
	v_add_co_u32 v33, s3, s12, v33
	v_add_co_ci_u32_e64 v34, null, s13, v34, s3
	global_store_short v[33:34], v32, off
	s_or_b32 exec_lo, exec_lo, s4
	s_and_saveexec_b32 s4, s1
	s_cbranch_execz .LBB137_27
.LBB137_66:
	v_add_nc_u32_e32 v31, v15, v11
	v_mov_b32_e32 v32, 0
	v_lshlrev_b64 v[31:32], 1, v[31:32]
	s_waitcnt lgkmcnt(0)
	v_add_co_u32 v31, s3, s12, v31
	v_add_co_ci_u32_e64 v32, null, s13, v32, s3
	global_store_short v[31:32], v30, off
	s_or_b32 exec_lo, exec_lo, s4
	s_and_saveexec_b32 s4, s2
	s_cbranch_execnz .LBB137_28
	s_branch .LBB137_29
.LBB137_67:
	v_add_nc_u32_e32 v29, v15, v0
	v_mov_b32_e32 v30, 0
	v_lshlrev_b64 v[29:30], 1, v[29:30]
	s_waitcnt lgkmcnt(0)
	v_add_co_u32 v29, s3, s12, v29
	v_add_co_ci_u32_e64 v30, null, s13, v30, s3
	global_store_short v[29:30], v23, off
	s_or_b32 exec_lo, exec_lo, s4
	s_and_saveexec_b32 s4, s0
	s_cbranch_execz .LBB137_32
.LBB137_68:
	v_add_nc_u32_e32 v29, v15, v10
	v_mov_b32_e32 v30, 0
	v_lshlrev_b64 v[29:30], 1, v[29:30]
	s_waitcnt lgkmcnt(0)
	v_add_co_u32 v29, s3, s12, v29
	v_add_co_ci_u32_e64 v30, null, s13, v30, s3
	global_store_short v[29:30], v28, off
	s_or_b32 exec_lo, exec_lo, s4
	s_and_saveexec_b32 s4, s1
	s_cbranch_execz .LBB137_33
.LBB137_69:
	v_add_nc_u32_e32 v28, v15, v11
	v_mov_b32_e32 v29, 0
	v_lshlrev_b64 v[28:29], 1, v[28:29]
	s_waitcnt lgkmcnt(0)
	v_add_co_u32 v28, s3, s12, v28
	v_add_co_ci_u32_e64 v29, null, s13, v29, s3
	global_store_short v[28:29], v27, off
	s_or_b32 exec_lo, exec_lo, s4
	s_and_saveexec_b32 s4, s2
	s_cbranch_execnz .LBB137_34
	s_branch .LBB137_35
.LBB137_70:
	v_add_nc_u32_e32 v25, v15, v0
	v_mov_b32_e32 v26, 0
	v_lshlrev_b64 v[25:26], 1, v[25:26]
	s_waitcnt lgkmcnt(0)
	v_add_co_u32 v25, s3, s12, v25
	v_add_co_ci_u32_e64 v26, null, s13, v26, s3
	global_store_short_d16_hi v[25:26], v23, off
	s_or_b32 exec_lo, exec_lo, s4
	s_and_saveexec_b32 s4, s0
	s_cbranch_execz .LBB137_38
.LBB137_71:
	v_add_nc_u32_e32 v25, v15, v10
	v_mov_b32_e32 v26, 0
	v_lshlrev_b64 v[25:26], 1, v[25:26]
	s_waitcnt lgkmcnt(0)
	v_add_co_u32 v25, s3, s12, v25
	v_add_co_ci_u32_e64 v26, null, s13, v26, s3
	global_store_short v[25:26], v24, off
	s_or_b32 exec_lo, exec_lo, s4
	s_and_saveexec_b32 s4, s1
	s_cbranch_execz .LBB137_39
.LBB137_72:
	v_add_nc_u32_e32 v23, v15, v11
	v_mov_b32_e32 v24, 0
	v_lshlrev_b64 v[23:24], 1, v[23:24]
	s_waitcnt lgkmcnt(0)
	v_add_co_u32 v23, s3, s12, v23
	v_add_co_ci_u32_e64 v24, null, s13, v24, s3
	global_store_short v[23:24], v22, off
	s_or_b32 exec_lo, exec_lo, s4
	s_and_saveexec_b32 s4, s2
	s_cbranch_execnz .LBB137_40
	s_branch .LBB137_41
.LBB137_73:
	v_add_nc_u32_e32 v21, v15, v0
	v_mov_b32_e32 v22, 0
	v_lshlrev_b64 v[21:22], 1, v[21:22]
	s_waitcnt lgkmcnt(0)
	v_add_co_u32 v21, s3, s12, v21
	v_add_co_ci_u32_e64 v22, null, s13, v22, s3
	global_store_short v[21:22], v14, off
	s_or_b32 exec_lo, exec_lo, s4
	s_and_saveexec_b32 s4, s0
	s_cbranch_execz .LBB137_44
.LBB137_74:
	v_add_nc_u32_e32 v21, v15, v10
	v_mov_b32_e32 v22, 0
	v_lshlrev_b64 v[21:22], 1, v[21:22]
	s_waitcnt lgkmcnt(0)
	v_add_co_u32 v21, s3, s12, v21
	v_add_co_ci_u32_e64 v22, null, s13, v22, s3
	global_store_short v[21:22], v20, off
	s_or_b32 exec_lo, exec_lo, s4
	s_and_saveexec_b32 s4, s1
	s_cbranch_execz .LBB137_45
.LBB137_75:
	v_add_nc_u32_e32 v20, v15, v11
	v_mov_b32_e32 v21, 0
	v_lshlrev_b64 v[20:21], 1, v[20:21]
	s_waitcnt lgkmcnt(0)
	v_add_co_u32 v20, s3, s12, v20
	v_add_co_ci_u32_e64 v21, null, s13, v21, s3
	global_store_short v[20:21], v19, off
	s_or_b32 exec_lo, exec_lo, s4
	s_and_saveexec_b32 s4, s2
	s_cbranch_execnz .LBB137_46
	s_branch .LBB137_47
.LBB137_76:
	v_add_nc_u32_e32 v18, v15, v0
	v_mov_b32_e32 v19, 0
	v_lshlrev_b64 v[18:19], 1, v[18:19]
	s_waitcnt lgkmcnt(0)
	v_add_co_u32 v18, s3, s12, v18
	v_add_co_ci_u32_e64 v19, null, s13, v19, s3
	global_store_short_d16_hi v[18:19], v14, off
	s_or_b32 exec_lo, exec_lo, s4
	s_and_saveexec_b32 s4, s0
	s_cbranch_execz .LBB137_50
.LBB137_77:
	v_add_nc_u32_e32 v18, v15, v10
	v_mov_b32_e32 v19, 0
	v_lshlrev_b64 v[18:19], 1, v[18:19]
	s_waitcnt lgkmcnt(0)
	v_add_co_u32 v18, s3, s12, v18
	v_add_co_ci_u32_e64 v19, null, s13, v19, s3
	global_store_short v[18:19], v17, off
	s_or_b32 exec_lo, exec_lo, s4
	s_and_saveexec_b32 s4, s1
	s_cbranch_execz .LBB137_51
.LBB137_78:
	v_add_nc_u32_e32 v16, v15, v11
	v_mov_b32_e32 v17, 0
	v_lshlrev_b64 v[16:17], 1, v[16:17]
	s_waitcnt lgkmcnt(0)
	v_add_co_u32 v16, s3, s12, v16
	v_add_co_ci_u32_e64 v17, null, s13, v17, s3
	global_store_short v[16:17], v13, off
	s_or_b32 exec_lo, exec_lo, s4
	s_and_saveexec_b32 s4, s2
	s_cbranch_execnz .LBB137_52
	s_branch .LBB137_53
.LBB137_79:
	v_add_nc_u32_e32 v13, v9, v0
	v_mov_b32_e32 v14, 0
	v_lshlrev_b64 v[13:14], 1, v[13:14]
	s_waitcnt lgkmcnt(0)
	v_add_co_u32 v13, s3, s12, v13
	v_add_co_ci_u32_e64 v14, null, s13, v14, s3
	global_store_short v[13:14], v4, off
	s_or_b32 exec_lo, exec_lo, s4
	s_and_saveexec_b32 s4, s0
	s_cbranch_execz .LBB137_56
.LBB137_80:
	v_add_nc_u32_e32 v13, v9, v10
	v_mov_b32_e32 v14, 0
	v_lshlrev_b64 v[13:14], 1, v[13:14]
	s_waitcnt lgkmcnt(0)
	v_add_co_u32 v13, s3, s12, v13
	v_add_co_ci_u32_e64 v14, null, s13, v14, s3
	global_store_short v[13:14], v8, off
	s_or_b32 exec_lo, exec_lo, s4
	s_and_saveexec_b32 s4, s1
	s_cbranch_execz .LBB137_57
.LBB137_81:
	v_add_nc_u32_e32 v13, v9, v11
	v_mov_b32_e32 v14, 0
	v_lshlrev_b64 v[13:14], 1, v[13:14]
	s_waitcnt lgkmcnt(0)
	v_add_co_u32 v13, s3, s12, v13
	v_add_co_ci_u32_e64 v14, null, s13, v14, s3
	global_store_short v[13:14], v7, off
	s_or_b32 exec_lo, exec_lo, s4
	s_and_saveexec_b32 s4, s2
	s_cbranch_execnz .LBB137_58
	s_branch .LBB137_59
.LBB137_82:
	v_add_nc_u32_e32 v6, v1, v0
	v_mov_b32_e32 v7, 0
	v_lshlrev_b64 v[6:7], 1, v[6:7]
	s_waitcnt lgkmcnt(0)
	v_add_co_u32 v6, vcc_lo, s12, v6
	v_add_co_ci_u32_e64 v7, null, s13, v7, vcc_lo
	global_store_short_d16_hi v[6:7], v4, off
	s_or_b32 exec_lo, exec_lo, s3
	s_and_saveexec_b32 s3, s0
	s_cbranch_execz .LBB137_62
.LBB137_83:
	v_add_nc_u32_e32 v6, v1, v10
	v_mov_b32_e32 v7, 0
	v_lshlrev_b64 v[6:7], 1, v[6:7]
	s_waitcnt lgkmcnt(0)
	v_add_co_u32 v6, vcc_lo, s12, v6
	v_add_co_ci_u32_e64 v7, null, s13, v7, vcc_lo
	global_store_short v[6:7], v5, off
	s_or_b32 exec_lo, exec_lo, s3
	s_and_saveexec_b32 s0, s1
	s_cbranch_execz .LBB137_63
.LBB137_84:
	v_add_nc_u32_e32 v4, v1, v11
	v_mov_b32_e32 v5, 0
	v_lshlrev_b64 v[4:5], 1, v[4:5]
	s_waitcnt lgkmcnt(0)
	v_add_co_u32 v4, vcc_lo, s12, v4
	v_add_co_ci_u32_e64 v5, null, s13, v5, vcc_lo
	global_store_short v[4:5], v3, off
	s_or_b32 exec_lo, exec_lo, s0
	s_and_b32 exec_lo, exec_lo, s2
	s_cbranch_execz .LBB137_3
.LBB137_85:
	v_add_nc_u32_e32 v0, v1, v12
	v_mov_b32_e32 v1, 0
	v_lshlrev_b64 v[0:1], 1, v[0:1]
	s_waitcnt lgkmcnt(0)
	v_add_co_u32 v0, vcc_lo, s12, v0
	v_add_co_ci_u32_e64 v1, null, s13, v1, vcc_lo
	global_store_short v[0:1], v2, off
	s_endpgm
	.section	.rodata,"a",@progbits
	.p2align	6, 0x0
	.amdhsa_kernel _ZL12mul_mat_q4_0IN3c104HalfELb0EEvPKvS3_PT_iiiii
		.amdhsa_group_segment_fixed_size 30336
		.amdhsa_private_segment_fixed_size 0
		.amdhsa_kernarg_size 44
		.amdhsa_user_sgpr_count 6
		.amdhsa_user_sgpr_private_segment_buffer 1
		.amdhsa_user_sgpr_dispatch_ptr 0
		.amdhsa_user_sgpr_queue_ptr 0
		.amdhsa_user_sgpr_kernarg_segment_ptr 1
		.amdhsa_user_sgpr_dispatch_id 0
		.amdhsa_user_sgpr_flat_scratch_init 0
		.amdhsa_user_sgpr_private_segment_size 0
		.amdhsa_wavefront_size32 1
		.amdhsa_uses_dynamic_stack 0
		.amdhsa_system_sgpr_private_segment_wavefront_offset 0
		.amdhsa_system_sgpr_workgroup_id_x 1
		.amdhsa_system_sgpr_workgroup_id_y 1
		.amdhsa_system_sgpr_workgroup_id_z 0
		.amdhsa_system_sgpr_workgroup_info 0
		.amdhsa_system_vgpr_workitem_id 1
		.amdhsa_next_free_vgpr 159
		.amdhsa_next_free_sgpr 15
		.amdhsa_reserve_vcc 1
		.amdhsa_reserve_flat_scratch 0
		.amdhsa_float_round_mode_32 0
		.amdhsa_float_round_mode_16_64 0
		.amdhsa_float_denorm_mode_32 3
		.amdhsa_float_denorm_mode_16_64 3
		.amdhsa_dx10_clamp 1
		.amdhsa_ieee_mode 1
		.amdhsa_fp16_overflow 0
		.amdhsa_workgroup_processor_mode 1
		.amdhsa_memory_ordered 1
		.amdhsa_forward_progress 1
		.amdhsa_shared_vgpr_count 0
		.amdhsa_exception_fp_ieee_invalid_op 0
		.amdhsa_exception_fp_denorm_src 0
		.amdhsa_exception_fp_ieee_div_zero 0
		.amdhsa_exception_fp_ieee_overflow 0
		.amdhsa_exception_fp_ieee_underflow 0
		.amdhsa_exception_fp_ieee_inexact 0
		.amdhsa_exception_int_div_zero 0
	.end_amdhsa_kernel
	.section	.text._ZL12mul_mat_q4_0IN3c104HalfELb0EEvPKvS3_PT_iiiii,"axG",@progbits,_ZL12mul_mat_q4_0IN3c104HalfELb0EEvPKvS3_PT_iiiii,comdat
.Lfunc_end137:
	.size	_ZL12mul_mat_q4_0IN3c104HalfELb0EEvPKvS3_PT_iiiii, .Lfunc_end137-_ZL12mul_mat_q4_0IN3c104HalfELb0EEvPKvS3_PT_iiiii
                                        ; -- End function
	.set _ZL12mul_mat_q4_0IN3c104HalfELb0EEvPKvS3_PT_iiiii.num_vgpr, 159
	.set _ZL12mul_mat_q4_0IN3c104HalfELb0EEvPKvS3_PT_iiiii.num_agpr, 0
	.set _ZL12mul_mat_q4_0IN3c104HalfELb0EEvPKvS3_PT_iiiii.numbered_sgpr, 15
	.set _ZL12mul_mat_q4_0IN3c104HalfELb0EEvPKvS3_PT_iiiii.num_named_barrier, 0
	.set _ZL12mul_mat_q4_0IN3c104HalfELb0EEvPKvS3_PT_iiiii.private_seg_size, 0
	.set _ZL12mul_mat_q4_0IN3c104HalfELb0EEvPKvS3_PT_iiiii.uses_vcc, 1
	.set _ZL12mul_mat_q4_0IN3c104HalfELb0EEvPKvS3_PT_iiiii.uses_flat_scratch, 0
	.set _ZL12mul_mat_q4_0IN3c104HalfELb0EEvPKvS3_PT_iiiii.has_dyn_sized_stack, 0
	.set _ZL12mul_mat_q4_0IN3c104HalfELb0EEvPKvS3_PT_iiiii.has_recursion, 0
	.set _ZL12mul_mat_q4_0IN3c104HalfELb0EEvPKvS3_PT_iiiii.has_indirect_call, 0
	.section	.AMDGPU.csdata,"",@progbits
; Kernel info:
; codeLenInByte = 10668
; TotalNumSgprs: 17
; NumVgprs: 159
; ScratchSize: 0
; MemoryBound: 0
; FloatMode: 240
; IeeeMode: 1
; LDSByteSize: 30336 bytes/workgroup (compile time only)
; SGPRBlocks: 0
; VGPRBlocks: 19
; NumSGPRsForWavesPerEU: 17
; NumVGPRsForWavesPerEU: 159
; Occupancy: 6
; WaveLimiterHint : 0
; COMPUTE_PGM_RSRC2:SCRATCH_EN: 0
; COMPUTE_PGM_RSRC2:USER_SGPR: 6
; COMPUTE_PGM_RSRC2:TRAP_HANDLER: 0
; COMPUTE_PGM_RSRC2:TGID_X_EN: 1
; COMPUTE_PGM_RSRC2:TGID_Y_EN: 1
; COMPUTE_PGM_RSRC2:TGID_Z_EN: 0
; COMPUTE_PGM_RSRC2:TIDIG_COMP_CNT: 1
	.section	.text._ZL12mul_mat_q4_0IN3c104HalfELb1EEvPKvS3_PT_iiiii,"axG",@progbits,_ZL12mul_mat_q4_0IN3c104HalfELb1EEvPKvS3_PT_iiiii,comdat
	.globl	_ZL12mul_mat_q4_0IN3c104HalfELb1EEvPKvS3_PT_iiiii ; -- Begin function _ZL12mul_mat_q4_0IN3c104HalfELb1EEvPKvS3_PT_iiiii
	.p2align	8
	.type	_ZL12mul_mat_q4_0IN3c104HalfELb1EEvPKvS3_PT_iiiii,@function
_ZL12mul_mat_q4_0IN3c104HalfELb1EEvPKvS3_PT_iiiii: ; @_ZL12mul_mat_q4_0IN3c104HalfELb1EEvPKvS3_PT_iiiii
; %bb.0:
	s_clause 0x1
	s_load_dwordx4 s[8:11], s[4:5], 0x18
	s_load_dword s14, s[4:5], 0x28
	s_lshl_b32 s7, s7, 6
	v_add_nc_u32_e32 v41, s7, v1
	s_waitcnt lgkmcnt(0)
	s_cmp_gt_i32 s8, 31
	s_cbranch_scc1 .LBB138_4
; %bb.1:
	v_add_nc_u32_e32 v10, s7, v1
	s_load_dwordx2 s[12:13], s[4:5], 0x10
	s_lshl_b32 s6, s6, 7
	s_cbranch_execz .LBB138_5
; %bb.2:
	v_mov_b32_e32 v2, 0
	v_mov_b32_e32 v4, 0
	;; [unrolled: 1-line block ×28, first 2 shown]
	s_mov_b32 s0, exec_lo
	v_cmpx_gt_u32_e64 s10, v10
	s_cbranch_execnz .LBB138_15
.LBB138_3:
	s_endpgm
.LBB138_4:
                                        ; implicit-def: $vgpr10
	s_load_dwordx2 s[12:13], s[4:5], 0x10
	s_lshl_b32 s6, s6, 7
.LBB138_5:
	s_load_dwordx4 s[0:3], s[4:5], 0x0
	s_ashr_i32 s4, s8, 31
	s_ashr_i32 s5, s11, 31
	s_lshr_b32 s4, s4, 27
	s_lshr_b32 s5, s5, 27
	s_add_i32 s4, s8, s4
	s_add_i32 s5, s11, s5
	s_ashr_i32 s4, s4, 5
	s_ashr_i32 s11, s5, 5
	s_mul_i32 s8, s4, s6
	v_add_nc_u32_e32 v9, 8, v1
	s_mul_i32 s5, s8, 18
	s_mul_hi_i32 s8, s8, 18
	v_lshlrev_b32_e32 v2, 2, v0
	v_add_nc_u32_e32 v11, 16, v1
	v_add_nc_u32_e32 v40, 24, v1
	;; [unrolled: 1-line block ×6, first 2 shown]
	s_waitcnt lgkmcnt(0)
	s_add_u32 s5, s0, s5
	s_addc_u32 s8, s1, s8
	s_not_b32 s0, s6
	v_lshrrev_b32_e32 v54, 3, v0
	s_add_i32 s0, s9, s0
	s_add_i32 s1, s10, -1
	v_min_i32_e32 v3, s0, v1
	v_min_i32_e32 v4, s0, v9
	v_min_i32_e32 v5, s0, v11
	v_lshl_add_u32 v36, v1, 2, v54
	v_add_nc_u32_e32 v30, 24, v41
	v_mad_u64_u32 v[12:13], null, 0x84, v3, v[2:3]
	v_mul_lo_u32 v44, v3, s4
	v_mad_u64_u32 v[13:14], null, 0x84, v4, v[2:3]
	v_min_i32_e32 v3, s0, v40
	v_mul_lo_u32 v45, v4, s4
	v_min_i32_e32 v4, s0, v72
	v_mul_lo_u32 v46, v5, s4
	v_min_i32_e32 v63, s0, v36
	v_mad_u64_u32 v[14:15], null, 0x84, v5, v[2:3]
	v_mul_lo_u32 v47, v3, s4
	v_mad_u64_u32 v[15:16], null, 0x84, v3, v[2:3]
	v_min_i32_e32 v3, s0, v73
	v_mul_lo_u32 v48, v4, s4
	v_add_nc_u32_e32 v5, 64, v1
	v_ashrrev_i32_e32 v6, 31, v63
	v_add_nc_u32_e32 v32, 32, v41
	v_mad_u64_u32 v[16:17], null, 0x84, v4, v[2:3]
	v_min_i32_e32 v4, s0, v74
	v_mul_lo_u32 v49, v3, s4
	v_mad_u64_u32 v[17:18], null, 0x84, v3, v[2:3]
	v_min_i32_e32 v3, s0, v75
	v_mul_lo_u32 v50, v4, s4
	v_min_i32_e32 v5, s0, v5
	v_lshrrev_b32_e32 v6, 30, v6
	v_add_nc_u32_e32 v34, 40, v41
	v_mad_u64_u32 v[18:19], null, 0x84, v4, v[2:3]
	v_add_nc_u32_e32 v4, 0x48, v1
	v_mul_lo_u32 v51, v3, s4
	v_mad_u64_u32 v[19:20], null, 0x84, v3, v[2:3]
	v_mul_lo_u32 v52, v5, s4
	v_min_i32_e32 v3, s0, v4
	v_add_nc_u32_e32 v4, 0x50, v1
	v_add_nc_u32_e32 v7, 8, v41
	v_cvt_f64_u32_e32 v[30:31], v30
	v_add_nc_u32_e32 v37, 48, v41
	v_mad_u64_u32 v[20:21], null, 0x84, v5, v[2:3]
	v_add_nc_u32_e32 v5, 0x58, v1
	v_mul_lo_u32 v53, v3, s4
	v_min_i32_e32 v4, s0, v4
	v_mad_u64_u32 v[21:22], null, 0x84, v3, v[2:3]
	v_min_i32_e32 v3, s0, v5
	v_add_nc_u32_e32 v5, 0x60, v1
	v_mul_lo_u32 v55, v4, s4
	v_cvt_f64_u32_e32 v[32:33], v32
	v_cvt_f64_u32_e32 v[34:35], v34
	v_mad_u64_u32 v[22:23], null, 0x84, v4, v[2:3]
	v_min_i32_e32 v4, s0, v5
	v_add_nc_u32_e32 v5, 0x68, v1
	v_mul_lo_u32 v56, v3, s4
	v_mad_u64_u32 v[23:24], null, 0x84, v3, v[2:3]
	v_mul_lo_u32 v57, v4, s4
	v_min_i32_e32 v3, s0, v5
	v_add_nc_u32_e32 v5, 0x70, v1
	v_cvt_f64_u32_e32 v[7:8], v7
	v_add_nc_u32_e32 v39, 56, v41
	v_add_nc_u32_e32 v68, 0x60, v36
	v_mad_u64_u32 v[24:25], null, 0x84, v4, v[2:3]
	v_min_i32_e32 v4, s0, v5
	v_add_nc_u32_e32 v5, 0x78, v1
	v_mul_lo_u32 v58, v3, s4
	v_mad_u64_u32 v[25:26], null, 0x84, v3, v[2:3]
	v_mul_lo_u32 v59, v4, s4
	v_min_i32_e32 v3, s0, v5
	v_add_nc_u32_e32 v5, v63, v6
	v_add_nc_u32_e32 v6, 32, v36
	v_min_i32_e32 v68, s0, v68
	v_and_b32_e32 v60, 7, v0
	v_mad_u64_u32 v[26:27], null, 0x84, v4, v[2:3]
	v_add_nc_u32_e32 v4, 64, v36
	v_mul_lo_u32 v61, v3, s4
	v_and_b32_e32 v64, -4, v5
	v_min_i32_e32 v65, s0, v6
	v_mad_u64_u32 v[27:28], null, 0x84, v3, v[2:3]
	v_min_i32_e32 v67, s0, v4
	v_cvt_f64_i32_e32 v[3:4], s1
	v_cvt_f64_u32_e32 v[5:6], v41
	v_add_nc_u32_e32 v28, 16, v41
	v_ashrrev_i32_e32 v38, 31, v65
	v_cvt_f64_u32_e32 v[36:37], v37
	v_ashrrev_i32_e32 v70, 31, v68
	v_lshlrev_b32_e32 v66, 2, v60
	v_cvt_f64_u32_e32 v[28:29], v28
	v_lshrrev_b32_e32 v69, 30, v38
	v_cvt_f64_u32_e32 v[38:39], v39
	v_lshrrev_b32_e32 v70, 30, v70
	v_lshrrev_b32_e32 v42, 2, v0
	v_add3_u32 v76, v64, v66, 0x6200
	v_add_nc_u32_e32 v69, v65, v69
	v_ashrrev_i32_e32 v64, 31, v67
	v_lshlrev_b32_e32 v81, 5, v67
	v_mov_b32_e32 v10, 0
	v_and_b32_e32 v43, 12, v2
	v_and_b32_e32 v69, -4, v69
	v_lshrrev_b32_e32 v64, 30, v64
	v_and_b32_e32 v2, 28, v2
	v_mul_lo_u32 v62, v63, s4
	v_min_f64 v[30:31], v[30:31], v[3:4]
	v_min_f64 v[5:6], v[5:6], v[3:4]
	;; [unrolled: 1-line block ×6, first 2 shown]
	v_add3_u32 v78, v69, v66, 0x6200
	v_min_f64 v[28:29], v[28:29], v[3:4]
	v_add_nc_u32_e32 v69, v68, v70
	v_min_f64 v[3:4], v[38:39], v[3:4]
	v_add_nc_u32_e32 v64, v67, v64
	v_lshlrev_b32_e32 v77, 5, v63
	v_mul_lo_u32 v63, v65, s4
	v_and_b32_e32 v39, -4, v69
	v_lshl_add_u32 v69, v1, 3, v42
	v_and_b32_e32 v70, -4, v64
	v_mul_lo_u32 v64, v67, s4
	v_lshlrev_b32_e32 v38, 5, v65
	v_add3_u32 v39, v39, v66, 0x6200
	v_mul_lo_u32 v65, v68, s4
	v_add3_u32 v80, v70, v66, 0x6200
	v_lshl_add_u32 v91, v1, 4, 0x7280
	v_cvt_i32_f64_e32 v30, v[30:31]
	v_cvt_i32_f64_e32 v6, v[5:6]
	v_cvt_i32_f64_e32 v32, v[32:33]
	v_cvt_i32_f64_e32 v33, v[34:35]
	v_cvt_i32_f64_e32 v7, v[7:8]
	v_and_b32_e32 v8, 63, v69
	v_cvt_i32_f64_e32 v34, v[36:37]
	v_cvt_i32_f64_e32 v69, v[28:29]
	v_and_b32_e32 v5, 3, v0
	v_cvt_i32_f64_e32 v3, v[3:4]
	v_or_b32_e32 v28, s7, v8
	v_and_b32_e32 v35, 31, v0
	v_and_b32_e32 v36, 0xfc, v0
	v_lshlrev_b32_e32 v29, 2, v5
	v_lshlrev_b32_e32 v31, 5, v68
	v_min_i32_e32 v4, s1, v28
	v_lshl_or_b32 v35, v35, 2, 0x4200
	v_add_nc_u32_e32 v105, v78, v38
	v_lshl_or_b32 v8, v8, 4, v29
	v_add_nc_u32_e32 v109, v39, v31
	v_mad_u32_u24 v95, 0x84, v0, 64
	v_add_nc_u32_e32 v104, v76, v77
	v_mul_lo_u32 v70, s11, v30
	v_mad_u64_u32 v[28:29], null, v4, s11, v[5:6]
	v_mul_lo_u32 v67, s11, v6
	v_lshlrev_b32_e32 v6, 7, v11
	v_add_nc_u32_e32 v11, 0x60, v0
	v_add_nc_u32_e32 v66, 0x7280, v8
	v_lshlrev_b32_e32 v8, 7, v72
	v_mul_lo_u32 v72, s11, v33
	v_add_nc_u32_e32 v29, 64, v0
	v_add_nc_u32_e32 v30, 32, v0
	v_lshlrev_b32_e32 v33, 5, v0
	v_and_b32_e32 v11, 0x1fc, v11
	v_lshlrev_b32_e32 v5, 7, v9
	v_lshlrev_b32_e32 v9, 7, v73
	v_mul_lo_u32 v73, s11, v34
	v_and_b32_e32 v29, 0x1fc, v29
	v_and_b32_e32 v34, 0x1fc, v30
	v_add_nc_u32_e32 v11, v33, v11
	v_lshlrev_b32_e32 v4, 7, v1
	v_mul_lo_u32 v68, s11, v7
	v_lshlrev_b32_e32 v7, 7, v40
	v_mul_lo_u32 v71, s11, v32
	;; [unrolled: 2-line block ×3, first 2 shown]
	v_lshlrev_b32_e32 v3, 7, v75
	v_add_nc_u32_e32 v37, v33, v29
	v_add_nc_u32_e32 v34, v33, v34
	;; [unrolled: 1-line block ×5, first 2 shown]
	v_mov_b32_e32 v11, v10
	v_mul_lo_u32 v69, s11, v69
	v_add_co_u32 v29, s0, s2, v2
	v_add_nc_u32_e32 v86, 0x6a00, v37
	v_add_nc_u32_e32 v88, 0x6600, v34
	;; [unrolled: 1-line block ×14, first 2 shown]
	v_mov_b32_e32 v38, v11
	v_mov_b32_e32 v36, v11
	;; [unrolled: 1-line block ×4, first 2 shown]
	v_mul_u32_u24_e32 v75, 0x84, v0
	v_lshrrev_b32_e32 v79, 3, v30
	v_add_co_ci_u32_e64 v30, null, s3, 0, s0
	v_add_nc_u32_e32 v93, 0x4200, v4
	v_add_nc_u32_e32 v107, v80, v81
	v_mov_b32_e32 v108, v10
	v_mov_b32_e32 v98, v10
	;; [unrolled: 1-line block ×27, first 2 shown]
	s_add_i32 s9, s4, 3
	s_mov_b32 s11, 0
	s_branch .LBB138_7
.LBB138_6:                              ;   in Loop: Header=BB138_7 Depth=1
	s_add_i32 s11, s11, 8
	s_add_i32 s9, s9, -8
	s_cmp_ge_i32 s11, s4
	s_cbranch_scc1 .LBB138_14
.LBB138_7:                              ; =>This Loop Header: Depth=1
                                        ;     Child Loop BB138_9 Depth 2
                                        ;     Child Loop BB138_12 Depth 2
	s_mul_i32 s0, s11, 18
	s_mul_hi_u32 s1, s11, 18
	s_add_u32 s0, s5, s0
	s_addc_u32 s1, s8, s1
	s_cmp_gt_u32 s9, 3
	v_mad_u64_u32 v[2:3], null, v42, 18, s[0:1]
	v_mad_i64_i32 v[4:5], null, v44, 18, v[2:3]
	v_add_co_u32 v4, vcc_lo, v4, v43
	v_add_co_ci_u32_e64 v5, null, 0, v5, vcc_lo
	global_load_dword v4, v[4:5], off offset:2
	s_waitcnt vmcnt(0)
	ds_write_b32 v12, v4
	v_mad_i64_i32 v[4:5], null, v45, 18, v[2:3]
	v_add_co_u32 v4, vcc_lo, v4, v43
	v_add_co_ci_u32_e64 v5, null, 0, v5, vcc_lo
	global_load_dword v4, v[4:5], off offset:2
	s_waitcnt vmcnt(0)
	ds_write_b32 v13, v4
	;; [unrolled: 6-line block ×14, first 2 shown]
	v_mad_i64_i32 v[4:5], null, v59, 18, v[2:3]
	v_mad_i64_i32 v[2:3], null, v61, 18, v[2:3]
	v_add_co_u32 v4, vcc_lo, v4, v43
	v_add_co_ci_u32_e64 v5, null, 0, v5, vcc_lo
	v_add_co_u32 v2, vcc_lo, v2, v43
	v_add_co_ci_u32_e64 v3, null, 0, v3, vcc_lo
	s_clause 0x1
	global_load_dword v4, v[4:5], off offset:2
	global_load_dword v2, v[2:3], off offset:2
	s_waitcnt vmcnt(1)
	ds_write_b32 v26, v4
	s_waitcnt vmcnt(0)
	ds_write_b32 v27, v2
	v_mad_u64_u32 v[2:3], null, v60, 18, s[0:1]
	v_mad_i64_i32 v[4:5], null, v62, 18, v[2:3]
	global_load_ushort v4, v[4:5], off
	s_waitcnt vmcnt(0)
	v_cvt_f32_f16_e32 v4, v4
	ds_write_b32 v104, v4
	v_mad_i64_i32 v[4:5], null, v63, 18, v[2:3]
	global_load_ushort v4, v[4:5], off
	s_waitcnt vmcnt(0)
	v_cvt_f32_f16_e32 v4, v4
	ds_write_b32 v105, v4
	v_mad_i64_i32 v[4:5], null, v64, 18, v[2:3]
	v_mad_i64_i32 v[2:3], null, v65, 18, v[2:3]
	s_clause 0x1
	global_load_ushort v4, v[4:5], off
	global_load_ushort v2, v[2:3], off
	s_waitcnt vmcnt(1)
	v_cvt_f32_f16_e32 v4, v4
	s_waitcnt vmcnt(0)
	v_cvt_f32_f16_e32 v2, v2
	ds_write_b32 v107, v4
	ds_write_b32 v109, v2
	s_cbranch_scc0 .LBB138_6
; %bb.8:                                ;   in Loop: Header=BB138_7 Depth=1
	v_add_nc_u32_e32 v5, s11, v54
	v_add_nc_u32_e32 v4, s11, v28
	v_mov_b32_e32 v6, v91
	v_mov_b32_e32 v7, v90
	;; [unrolled: 1-line block ×3, first 2 shown]
	v_add_nc_u32_e32 v2, v5, v67
	v_mov_b32_e32 v9, v86
	v_mov_b32_e32 v11, v84
	;; [unrolled: 1-line block ×3, first 2 shown]
	s_mov_b32 s0, -4
	v_mad_i64_i32 v[2:3], null, v2, 36, v[29:30]
	global_load_dword v2, v[2:3], off offset:4
	s_waitcnt vmcnt(0)
	ds_write_b32 v110, v2
	v_add_nc_u32_e32 v2, v5, v68
	v_mad_i64_i32 v[2:3], null, v2, 36, v[29:30]
	global_load_dword v2, v[2:3], off offset:4
	s_waitcnt vmcnt(0)
	ds_write_b32 v111, v2
	v_add_nc_u32_e32 v2, v5, v69
	;; [unrolled: 5-line block ×7, first 2 shown]
	v_mov_b32_e32 v5, v93
	v_mad_i64_i32 v[2:3], null, v2, 36, v[29:30]
	global_load_dword v2, v[2:3], off offset:4
	s_waitcnt vmcnt(0)
	ds_write_b32 v120, v2
	v_mad_u64_u32 v[2:3], null, v4, 36, s[2:3]
	global_load_dword v2, v[2:3], off
	s_waitcnt vmcnt(0)
	ds_write_b32 v66, v2
	s_waitcnt lgkmcnt(0)
	s_barrier
	buffer_gl0_inv
.LBB138_9:                              ;   Parent Loop BB138_7 Depth=1
                                        ; =>  This Inner Loop Header: Depth=2
	ds_read_b128 v[155:158], v5
	ds_read_b128 v[159:162], v5 offset:16
	ds_read2_b32 v[2:3], v6 offset1:32
	ds_read_b32 v123, v7
	ds_read2_b32 v[124:125], v39 offset1:1
	v_add_nc_u32_e32 v133, 0x1088, v39
	v_mov_b32_e32 v132, 0
	v_add_nc_u32_e32 v146, 0x2108, v39
	v_mov_b32_e32 v145, 0
	;; [unrolled: 2-line block ×3, first 2 shown]
	v_mov_b32_e32 v163, 0
	v_add_nc_u32_e32 v154, 0x3188, v39
	v_mov_b32_e32 v170, 0
	v_add_nc_u32_e32 v7, 4, v7
	s_add_i32 s0, s0, 4
	s_cmp_lt_u32 s0, 12
	s_waitcnt lgkmcnt(2)
	v_cvt_f32_f16_sdwa v171, v2 dst_sel:DWORD dst_unused:UNUSED_PAD src0_sel:WORD_1
	v_cvt_f32_f16_sdwa v172, v3 dst_sel:DWORD dst_unused:UNUSED_PAD src0_sel:WORD_1
	s_waitcnt lgkmcnt(0)
	v_lshrrev_b32_e32 v40, 4, v124
	v_and_b32_e32 v126, 0xf0f0f0f, v124
	v_and_b32_e32 v130, 0xf0f0f0f, v125
	v_mul_f32_e32 v171, 0x41000000, v171
	v_mul_f32_e32 v172, 0x41000000, v172
	v_and_b32_e32 v127, 0xf0f0f0f, v40
	v_lshrrev_b32_e32 v40, 4, v125
	ds_read2_b32 v[124:125], v39 offset0:2 offset1:3
	v_dot4c_i32_i8 v166, v126, v155
	v_and_b32_e32 v131, 0xf0f0f0f, v40
	v_dot4c_i32_i8 v166, v127, v159
	v_dot4c_i32_i8 v166, v130, v156
	;; [unrolled: 1-line block ×3, first 2 shown]
	s_waitcnt lgkmcnt(0)
	v_lshrrev_b32_e32 v40, 4, v124
	v_and_b32_e32 v139, 0xf0f0f0f, v124
	v_add_nc_u32_e32 v124, 0x1080, v39
	v_and_b32_e32 v141, 0xf0f0f0f, v125
	v_and_b32_e32 v140, 0xf0f0f0f, v40
	v_lshrrev_b32_e32 v40, 4, v125
	v_dot4c_i32_i8 v166, v139, v157
	v_and_b32_e32 v142, 0xf0f0f0f, v40
	ds_read_b32 v40, v8
	ds_read2_b32 v[128:129], v124 offset1:1
	ds_read2_b32 v[134:135], v133 offset1:1
	v_dot4c_i32_i8 v166, v140, v161
	v_add_nc_u32_e32 v8, 4, v8
	v_dot4c_i32_i8 v166, v141, v158
	v_dot4c_i32_i8 v166, v142, v162
	v_cvt_f32_i32_e32 v166, v166
	s_waitcnt lgkmcnt(1)
	v_and_b32_e32 v124, 0xf0f0f0f, v128
	v_lshrrev_b32_e32 v125, 4, v128
	v_and_b32_e32 v128, 0xf0f0f0f, v129
	v_lshrrev_b32_e32 v129, 4, v129
	s_waitcnt lgkmcnt(0)
	v_and_b32_e32 v133, 0xf0f0f0f, v134
	v_dot4c_i32_i8 v132, v124, v155
	v_and_b32_e32 v125, 0xf0f0f0f, v125
	v_lshrrev_b32_e32 v134, 4, v134
	v_and_b32_e32 v129, 0xf0f0f0f, v129
	v_and_b32_e32 v136, 0xf0f0f0f, v135
	v_lshrrev_b32_e32 v135, 4, v135
	v_dot4c_i32_i8 v132, v125, v159
	v_and_b32_e32 v134, 0xf0f0f0f, v134
	v_fma_mix_f32 v166, v2, v166, -v171 op_sel_hi:[1,0,0]
	v_and_b32_e32 v138, 0xf0f0f0f, v135
	v_dot4c_i32_i8 v132, v128, v156
	v_add_nc_u32_e32 v135, 0x2100, v39
	v_fmac_f32_e32 v37, v123, v166
	v_mov_b32_e32 v166, 0
	v_add_nc_u32_e32 v39, 16, v39
	v_dot4c_i32_i8 v132, v129, v160
	v_dot4c_i32_i8 v132, v133, v157
	;; [unrolled: 1-line block ×5, first 2 shown]
	v_cvt_f32_i32_e32 v167, v132
	ds_read_b32 v132, v9
	ds_read2_b32 v[143:144], v135 offset1:1
	ds_read2_b32 v[148:149], v146 offset1:1
	v_add_nc_u32_e32 v9, 4, v9
	v_fma_mix_f32 v167, v2, v167, -v171 op_sel_hi:[1,0,0]
	v_fmac_f32_e32 v10, v40, v167
	s_waitcnt lgkmcnt(1)
	v_and_b32_e32 v135, 0xf0f0f0f, v143
	v_lshrrev_b32_e32 v137, 4, v143
	v_and_b32_e32 v143, 0xf0f0f0f, v144
	v_lshrrev_b32_e32 v144, 4, v144
	s_waitcnt lgkmcnt(0)
	v_and_b32_e32 v146, 0xf0f0f0f, v148
	v_dot4c_i32_i8 v145, v135, v155
	v_and_b32_e32 v137, 0xf0f0f0f, v137
	v_lshrrev_b32_e32 v147, 4, v148
	v_and_b32_e32 v144, 0xf0f0f0f, v144
	v_and_b32_e32 v148, 0xf0f0f0f, v149
	v_lshrrev_b32_e32 v149, 4, v149
	v_dot4c_i32_i8 v145, v137, v159
	v_and_b32_e32 v147, 0xf0f0f0f, v147
	v_and_b32_e32 v149, 0xf0f0f0f, v149
	v_dot4c_i32_i8 v145, v143, v156
	v_dot4c_i32_i8 v145, v144, v160
	;; [unrolled: 1-line block ×6, first 2 shown]
	v_cvt_f32_i32_e32 v168, v145
	ds_read_b32 v145, v11
	ds_read2_b32 v[152:153], v150 offset1:1
	v_add_nc_u32_e32 v11, 4, v11
	v_fma_mix_f32 v167, v2, v168, -v171 op_sel_hi:[1,0,0]
	v_mov_b32_e32 v168, 0
	v_fmac_f32_e32 v121, v132, v167
	v_mov_b32_e32 v167, 0
	s_waitcnt lgkmcnt(0)
	v_and_b32_e32 v150, 0xf0f0f0f, v152
	v_lshrrev_b32_e32 v151, 4, v152
	v_and_b32_e32 v152, 0xf0f0f0f, v153
	v_lshrrev_b32_e32 v153, 4, v153
	v_dot4c_i32_i8 v163, v150, v155
	v_and_b32_e32 v151, 0xf0f0f0f, v151
	v_and_b32_e32 v153, 0xf0f0f0f, v153
	v_dot4c_i32_i8 v163, v151, v159
	v_dot4c_i32_i8 v163, v152, v156
	;; [unrolled: 1-line block ×3, first 2 shown]
	ds_read2_b32 v[159:160], v154 offset1:1
	s_waitcnt lgkmcnt(0)
	v_and_b32_e32 v154, 0xf0f0f0f, v159
	v_lshrrev_b32_e32 v155, 4, v159
	v_and_b32_e32 v156, 0xf0f0f0f, v160
	v_dot4c_i32_i8 v163, v154, v157
	v_and_b32_e32 v155, 0xf0f0f0f, v155
	v_lshrrev_b32_e32 v157, 4, v160
	v_dot4c_i32_i8 v163, v155, v161
	v_and_b32_e32 v157, 0xf0f0f0f, v157
	v_dot4c_i32_i8 v163, v156, v158
	v_dot4c_i32_i8 v163, v157, v162
	v_cvt_f32_i32_e32 v169, v163
	ds_read_b128 v[158:161], v5 offset:1024
	ds_read_b128 v[162:165], v5 offset:1040
	v_fma_mix_f32 v2, v2, v169, -v171 op_sel_hi:[1,0,0]
	v_mov_b32_e32 v169, 0
	v_fmac_f32_e32 v122, v145, v2
	v_mov_b32_e32 v2, 0
	s_waitcnt lgkmcnt(1)
	v_dot4c_i32_i8 v2, v124, v158
	v_dot4c_i32_i8 v170, v126, v158
	s_waitcnt lgkmcnt(0)
	v_dot4c_i32_i8 v2, v125, v162
	v_dot4c_i32_i8 v170, v127, v162
	;; [unrolled: 1-line block ×14, first 2 shown]
	v_cvt_f32_i32_e32 v2, v2
	v_cvt_f32_i32_e32 v170, v170
	v_fma_mix_f32 v2, v3, v2, -v172 op_sel_hi:[1,0,0]
	v_fma_mix_f32 v170, v3, v170, -v172 op_sel_hi:[1,0,0]
	v_fmac_f32_e32 v108, v40, v2
	v_mov_b32_e32 v2, 0
	v_fma_f32 v38, v123, v170, v38
	v_mov_b32_e32 v170, 0
	v_dot4c_i32_i8 v2, v135, v158
	v_dot4c_i32_i8 v2, v137, v162
	;; [unrolled: 1-line block ×8, first 2 shown]
	v_cvt_f32_i32_e32 v2, v2
	v_fma_mix_f32 v2, v3, v2, -v172 op_sel_hi:[1,0,0]
	v_fmac_f32_e32 v117, v132, v2
	v_mov_b32_e32 v2, 0
	v_dot4c_i32_i8 v2, v150, v158
	v_dot4c_i32_i8 v2, v151, v162
	;; [unrolled: 1-line block ×8, first 2 shown]
	v_cvt_f32_i32_e32 v2, v2
	v_fma_mix_f32 v2, v3, v2, -v172 op_sel_hi:[1,0,0]
	v_fmac_f32_e32 v119, v145, v2
	ds_read_b128 v[158:161], v5 offset:2048
	ds_read_b128 v[162:165], v5 offset:2064
	ds_read2_b32 v[2:3], v6 offset0:64 offset1:96
	s_waitcnt lgkmcnt(2)
	v_dot4c_i32_i8 v167, v124, v158
	v_dot4c_i32_i8 v166, v126, v158
	;; [unrolled: 1-line block ×4, first 2 shown]
	s_waitcnt lgkmcnt(0)
	v_cvt_f32_f16_sdwa v171, v2 dst_sel:DWORD dst_unused:UNUSED_PAD src0_sel:WORD_1
	v_dot4c_i32_i8 v167, v125, v162
	v_dot4c_i32_i8 v166, v127, v162
	;; [unrolled: 1-line block ×4, first 2 shown]
	v_mul_f32_e32 v171, 0x41000000, v171
	v_dot4c_i32_i8 v167, v128, v159
	v_dot4c_i32_i8 v166, v130, v159
	;; [unrolled: 1-line block ×4, first 2 shown]
	v_cvt_f32_f16_sdwa v172, v3 dst_sel:DWORD dst_unused:UNUSED_PAD src0_sel:WORD_1
	v_dot4c_i32_i8 v167, v129, v163
	v_dot4c_i32_i8 v166, v131, v163
	;; [unrolled: 1-line block ×4, first 2 shown]
	v_mul_f32_e32 v172, 0x41000000, v172
	v_dot4c_i32_i8 v167, v133, v160
	v_dot4c_i32_i8 v166, v139, v160
	;; [unrolled: 1-line block ×16, first 2 shown]
	ds_read_b128 v[158:161], v5 offset:3072
	ds_read_b128 v[162:165], v5 offset:3088
	v_cvt_f32_i32_e32 v167, v167
	v_cvt_f32_i32_e32 v166, v166
	;; [unrolled: 1-line block ×4, first 2 shown]
	v_fma_mix_f32 v167, v2, v167, -v171 op_sel_hi:[1,0,0]
	v_fma_mix_f32 v166, v166, v2, -v171 op_sel_hi:[0,1,0]
	v_fmac_f32_e32 v98, v40, v167
	v_fma_mix_f32 v167, v2, v168, -v171 op_sel_hi:[1,0,0]
	v_fma_mix_f32 v2, v2, v169, -v171 op_sel_hi:[1,0,0]
	v_fmac_f32_e32 v35, v123, v166
	v_mov_b32_e32 v166, 0
	v_mov_b32_e32 v168, 0
	v_fmac_f32_e32 v106, v132, v167
	v_fmac_f32_e32 v115, v145, v2
	v_mov_b32_e32 v2, 0
	s_waitcnt lgkmcnt(1)
	v_dot4c_i32_i8 v170, v126, v158
	v_mov_b32_e32 v167, 0
	v_mov_b32_e32 v169, 0
	v_dot4c_i32_i8 v2, v124, v158
	s_waitcnt lgkmcnt(0)
	v_dot4c_i32_i8 v170, v127, v162
	v_dot4c_i32_i8 v2, v125, v162
	;; [unrolled: 1-line block ×14, first 2 shown]
	v_cvt_f32_i32_e32 v170, v170
	v_cvt_f32_i32_e32 v2, v2
	v_fma_mix_f32 v170, v170, v3, -v172 op_sel_hi:[0,1,0]
	v_fma_mix_f32 v2, v3, v2, -v172 op_sel_hi:[1,0,0]
	v_fma_f32 v36, v123, v170, v36
	v_mov_b32_e32 v170, 0
	v_fmac_f32_e32 v94, v40, v2
	v_mov_b32_e32 v2, 0
	v_dot4c_i32_i8 v2, v135, v158
	v_dot4c_i32_i8 v2, v137, v162
	;; [unrolled: 1-line block ×8, first 2 shown]
	v_cvt_f32_i32_e32 v2, v2
	v_fma_mix_f32 v2, v3, v2, -v172 op_sel_hi:[1,0,0]
	v_fmac_f32_e32 v102, v132, v2
	v_mov_b32_e32 v2, 0
	v_dot4c_i32_i8 v2, v150, v158
	v_dot4c_i32_i8 v2, v151, v162
	;; [unrolled: 1-line block ×8, first 2 shown]
	v_cvt_f32_i32_e32 v2, v2
	v_fma_mix_f32 v2, v3, v2, -v172 op_sel_hi:[1,0,0]
	v_fmac_f32_e32 v103, v145, v2
	ds_read_b128 v[158:161], v5 offset:4096
	ds_read_b128 v[162:165], v5 offset:4112
	ds_read2_b32 v[2:3], v6 offset0:128 offset1:160
	s_waitcnt lgkmcnt(2)
	v_dot4c_i32_i8 v167, v124, v158
	v_dot4c_i32_i8 v166, v126, v158
	;; [unrolled: 1-line block ×4, first 2 shown]
	s_waitcnt lgkmcnt(0)
	v_cvt_f32_f16_sdwa v171, v2 dst_sel:DWORD dst_unused:UNUSED_PAD src0_sel:WORD_1
	v_dot4c_i32_i8 v167, v125, v162
	v_dot4c_i32_i8 v166, v127, v162
	v_dot4c_i32_i8 v168, v137, v162
	v_dot4c_i32_i8 v169, v151, v162
	v_mul_f32_e32 v171, 0x41000000, v171
	v_dot4c_i32_i8 v167, v128, v159
	v_dot4c_i32_i8 v166, v130, v159
	v_dot4c_i32_i8 v168, v143, v159
	v_dot4c_i32_i8 v169, v152, v159
	v_cvt_f32_f16_sdwa v172, v3 dst_sel:DWORD dst_unused:UNUSED_PAD src0_sel:WORD_1
	v_dot4c_i32_i8 v167, v129, v163
	v_dot4c_i32_i8 v166, v131, v163
	v_dot4c_i32_i8 v168, v144, v163
	v_dot4c_i32_i8 v169, v153, v163
	v_mul_f32_e32 v172, 0x41000000, v172
	v_dot4c_i32_i8 v167, v133, v160
	v_dot4c_i32_i8 v166, v139, v160
	;; [unrolled: 1-line block ×16, first 2 shown]
	ds_read_b128 v[158:161], v5 offset:5120
	ds_read_b128 v[162:165], v5 offset:5136
	v_cvt_f32_i32_e32 v167, v167
	v_cvt_f32_i32_e32 v166, v166
	;; [unrolled: 1-line block ×4, first 2 shown]
	v_fma_mix_f32 v167, v2, v167, -v171 op_sel_hi:[1,0,0]
	v_fma_mix_f32 v166, v166, v2, -v171 op_sel_hi:[0,1,0]
	v_fmac_f32_e32 v82, v40, v167
	v_fma_mix_f32 v167, v2, v168, -v171 op_sel_hi:[1,0,0]
	v_fma_mix_f32 v2, v2, v169, -v171 op_sel_hi:[1,0,0]
	v_fmac_f32_e32 v33, v123, v166
	v_mov_b32_e32 v166, 0
	v_mov_b32_e32 v168, 0
	v_fmac_f32_e32 v92, v132, v167
	v_fmac_f32_e32 v101, v145, v2
	v_mov_b32_e32 v2, 0
	s_waitcnt lgkmcnt(1)
	v_dot4c_i32_i8 v170, v126, v158
	v_mov_b32_e32 v167, 0
	v_mov_b32_e32 v169, 0
	v_dot4c_i32_i8 v2, v124, v158
	s_waitcnt lgkmcnt(0)
	v_dot4c_i32_i8 v170, v127, v162
	v_dot4c_i32_i8 v2, v125, v162
	;; [unrolled: 1-line block ×14, first 2 shown]
	v_cvt_f32_i32_e32 v170, v170
	v_cvt_f32_i32_e32 v2, v2
	v_fma_mix_f32 v170, v170, v3, -v172 op_sel_hi:[0,1,0]
	v_fma_mix_f32 v2, v3, v2, -v172 op_sel_hi:[1,0,0]
	v_fma_f32 v34, v123, v170, v34
	v_mov_b32_e32 v170, 0
	v_fmac_f32_e32 v81, v40, v2
	v_mov_b32_e32 v2, 0
	v_dot4c_i32_i8 v2, v135, v158
	v_dot4c_i32_i8 v2, v137, v162
	;; [unrolled: 1-line block ×8, first 2 shown]
	v_cvt_f32_i32_e32 v2, v2
	v_fma_mix_f32 v2, v3, v2, -v172 op_sel_hi:[1,0,0]
	v_fmac_f32_e32 v87, v132, v2
	v_mov_b32_e32 v2, 0
	v_dot4c_i32_i8 v2, v150, v158
	v_dot4c_i32_i8 v2, v151, v162
	v_dot4c_i32_i8 v2, v152, v159
	v_dot4c_i32_i8 v2, v153, v163
	v_dot4c_i32_i8 v2, v154, v160
	v_dot4c_i32_i8 v2, v155, v164
	v_dot4c_i32_i8 v2, v156, v161
	v_dot4c_i32_i8 v2, v157, v165
	v_cvt_f32_i32_e32 v2, v2
	v_fma_mix_f32 v2, v3, v2, -v172 op_sel_hi:[1,0,0]
	v_fmac_f32_e32 v89, v145, v2
	ds_read_b128 v[158:161], v5 offset:6144
	ds_read_b128 v[162:165], v5 offset:6160
	ds_read2_b32 v[2:3], v6 offset0:192 offset1:224
	v_add_nc_u32_e32 v6, 4, v6
	s_waitcnt lgkmcnt(2)
	v_dot4c_i32_i8 v166, v126, v158
	v_dot4c_i32_i8 v167, v124, v158
	;; [unrolled: 1-line block ×4, first 2 shown]
	s_waitcnt lgkmcnt(1)
	v_dot4c_i32_i8 v166, v127, v162
	v_dot4c_i32_i8 v167, v125, v162
	;; [unrolled: 1-line block ×28, first 2 shown]
	ds_read_b128 v[158:161], v5 offset:7168
	ds_read_b128 v[162:165], v5 offset:7184
	v_add_nc_u32_e32 v5, 32, v5
	v_cvt_f32_i32_e32 v167, v167
	v_cvt_f32_i32_e32 v168, v168
	;; [unrolled: 1-line block ×3, first 2 shown]
	s_waitcnt lgkmcnt(1)
	v_dot4c_i32_i8 v170, v126, v158
	v_cvt_f32_f16_sdwa v126, v2 dst_sel:DWORD dst_unused:UNUSED_PAD src0_sel:WORD_1
	s_waitcnt lgkmcnt(0)
	v_dot4c_i32_i8 v170, v127, v162
	v_mul_f32_e32 v126, 0x41000000, v126
	v_cvt_f32_f16_sdwa v127, v3 dst_sel:DWORD dst_unused:UNUSED_PAD src0_sel:WORD_1
	v_dot4c_i32_i8 v170, v130, v159
	v_mul_f32_e32 v127, 0x41000000, v127
	v_dot4c_i32_i8 v170, v131, v163
	v_cvt_f32_i32_e32 v131, v166
	v_dot4c_i32_i8 v170, v139, v160
	v_fma_mix_f32 v139, v2, v167, -v126 op_sel_hi:[1,0,0]
	v_fma_mix_f32 v131, v131, v2, -v126 op_sel_hi:[0,1,0]
	v_dot4c_i32_i8 v170, v140, v164
	v_fmac_f32_e32 v77, v40, v139
	v_fma_mix_f32 v139, v2, v168, -v126 op_sel_hi:[1,0,0]
	v_fma_mix_f32 v2, v2, v169, -v126 op_sel_hi:[1,0,0]
	v_fmac_f32_e32 v31, v123, v131
	v_dot4c_i32_i8 v170, v141, v161
	v_fmac_f32_e32 v80, v132, v139
	v_fmac_f32_e32 v85, v145, v2
	v_mov_b32_e32 v2, 0
	v_dot4c_i32_i8 v170, v142, v165
	v_dot4c_i32_i8 v2, v124, v158
	v_cvt_f32_i32_e32 v130, v170
	v_dot4c_i32_i8 v2, v125, v162
	v_fma_mix_f32 v130, v130, v3, -v127 op_sel_hi:[0,1,0]
	v_dot4c_i32_i8 v2, v128, v159
	v_fma_f32 v32, v123, v130, v32
	v_dot4c_i32_i8 v2, v129, v163
	v_dot4c_i32_i8 v2, v133, v160
	;; [unrolled: 1-line block ×5, first 2 shown]
	v_cvt_f32_i32_e32 v2, v2
	v_fma_mix_f32 v2, v3, v2, -v127 op_sel_hi:[1,0,0]
	v_fmac_f32_e32 v76, v40, v2
	v_mov_b32_e32 v2, 0
	v_dot4c_i32_i8 v2, v135, v158
	v_dot4c_i32_i8 v2, v137, v162
	;; [unrolled: 1-line block ×8, first 2 shown]
	v_cvt_f32_i32_e32 v2, v2
	v_fma_mix_f32 v2, v3, v2, -v127 op_sel_hi:[1,0,0]
	v_fmac_f32_e32 v78, v132, v2
	v_mov_b32_e32 v2, 0
	v_dot4c_i32_i8 v2, v150, v158
	v_dot4c_i32_i8 v2, v151, v162
	;; [unrolled: 1-line block ×8, first 2 shown]
	v_cvt_f32_i32_e32 v2, v2
	v_fma_mix_f32 v2, v3, v2, -v127 op_sel_hi:[1,0,0]
	v_fmac_f32_e32 v83, v145, v2
	s_cbranch_scc1 .LBB138_9
; %bb.10:                               ;   in Loop: Header=BB138_7 Depth=1
	s_and_b32 s0, s9, -4
	s_cmp_eq_u32 s0, 4
	s_barrier
	buffer_gl0_inv
	s_cbranch_scc1 .LBB138_6
; %bb.11:                               ;   in Loop: Header=BB138_7 Depth=1
	v_add_nc_u32_e32 v9, s11, v79
	v_add_nc_u32_e32 v4, 4, v4
	s_mov_b32 s0, 12
	v_add_nc_u32_e32 v2, v9, v67
	v_add_nc_u32_e32 v11, v9, v70
	;; [unrolled: 1-line block ×5, first 2 shown]
	v_mad_u64_u32 v[125:126], null, v4, 36, s[2:3]
	v_mad_i64_i32 v[2:3], null, v2, 36, v[29:30]
	v_mad_i64_i32 v[39:40], null, v11, 36, v[29:30]
	v_add_nc_u32_e32 v11, v9, v72
	v_mad_i64_i32 v[5:6], null, v5, 36, v[29:30]
	v_add_nc_u32_e32 v129, v9, v73
	;; [unrolled: 2-line block ×3, first 2 shown]
	v_mad_i64_i32 v[123:124], null, v123, 36, v[29:30]
	v_mad_i64_i32 v[127:128], null, v11, 36, v[29:30]
	;; [unrolled: 1-line block ×4, first 2 shown]
	s_clause 0x8
	global_load_dword v4, v[125:126], off
	global_load_dword v2, v[2:3], off offset:4
	global_load_dword v3, v[5:6], off offset:4
	;; [unrolled: 1-line block ×8, first 2 shown]
	v_mov_b32_e32 v11, v91
	v_mov_b32_e32 v123, v93
	;; [unrolled: 1-line block ×7, first 2 shown]
	s_waitcnt vmcnt(8)
	ds_write_b32 v66, v4
	s_waitcnt vmcnt(7)
	ds_write_b32 v110, v2
	;; [unrolled: 2-line block ×9, first 2 shown]
	s_waitcnt lgkmcnt(0)
	s_barrier
	buffer_gl0_inv
.LBB138_12:                             ;   Parent Loop BB138_7 Depth=1
                                        ; =>  This Inner Loop Header: Depth=2
	ds_read_b128 v[2:5], v123
	ds_read_b128 v[6:9], v123 offset:16
	ds_read2_b32 v[39:40], v11 offset1:32
	ds_read_b32 v148, v124
	ds_read2_b32 v[129:130], v128 offset1:1
	v_mov_b32_e32 v131, 0
	v_add_nc_u32_e32 v135, 0x2108, v128
	v_add_nc_u32_e32 v157, 0x3180, v128
	v_mov_b32_e32 v161, 0
	v_add_nc_u32_e32 v124, 4, v124
	s_add_i32 s0, s0, 4
	s_cmp_lt_u32 s0, 28
	s_waitcnt lgkmcnt(0)
	v_and_b32_e32 v149, 0xf0f0f0f, v129
	v_lshrrev_b32_e32 v129, 4, v129
	v_and_b32_e32 v151, 0xf0f0f0f, v130
	v_dot4c_i32_i8 v161, v149, v2
	v_and_b32_e32 v150, 0xf0f0f0f, v129
	v_lshrrev_b32_e32 v129, 4, v130
	v_dot4c_i32_i8 v161, v150, v6
	v_and_b32_e32 v152, 0xf0f0f0f, v129
	ds_read2_b32 v[129:130], v128 offset0:2 offset1:3
	v_dot4c_i32_i8 v161, v151, v3
	v_dot4c_i32_i8 v161, v152, v7
	s_waitcnt lgkmcnt(0)
	v_and_b32_e32 v153, 0xf0f0f0f, v129
	v_lshrrev_b32_e32 v129, 4, v129
	v_and_b32_e32 v155, 0xf0f0f0f, v130
	v_dot4c_i32_i8 v161, v153, v4
	v_and_b32_e32 v154, 0xf0f0f0f, v129
	v_lshrrev_b32_e32 v129, 4, v130
	v_dot4c_i32_i8 v161, v154, v8
	v_and_b32_e32 v156, 0xf0f0f0f, v129
	v_add_nc_u32_e32 v129, 0x1080, v128
	ds_read_b32 v137, v125
	ds_read2_b32 v[129:130], v129 offset1:1
	v_dot4c_i32_i8 v161, v155, v5
	v_add_nc_u32_e32 v125, 4, v125
	v_dot4c_i32_i8 v161, v156, v9
	v_cvt_f32_i32_e32 v161, v161
	s_waitcnt lgkmcnt(0)
	v_and_b32_e32 v140, 0xf0f0f0f, v129
	v_lshrrev_b32_e32 v129, 4, v129
	v_and_b32_e32 v142, 0xf0f0f0f, v130
	v_dot4c_i32_i8 v131, v140, v2
	v_and_b32_e32 v141, 0xf0f0f0f, v129
	v_lshrrev_b32_e32 v129, 4, v130
	v_dot4c_i32_i8 v131, v141, v6
	v_and_b32_e32 v143, 0xf0f0f0f, v129
	v_add_nc_u32_e32 v129, 0x1088, v128
	v_dot4c_i32_i8 v131, v142, v3
	ds_read2_b32 v[129:130], v129 offset1:1
	v_dot4c_i32_i8 v131, v143, v7
	s_waitcnt lgkmcnt(0)
	v_and_b32_e32 v144, 0xf0f0f0f, v129
	v_lshrrev_b32_e32 v129, 4, v129
	v_and_b32_e32 v146, 0xf0f0f0f, v130
	v_dot4c_i32_i8 v131, v144, v4
	v_and_b32_e32 v145, 0xf0f0f0f, v129
	v_lshrrev_b32_e32 v129, 4, v130
	v_dot4c_i32_i8 v131, v145, v8
	v_and_b32_e32 v147, 0xf0f0f0f, v129
	v_add_nc_u32_e32 v129, 0x2100, v128
	ds_read_b32 v130, v126
	ds_read2_b32 v[133:134], v129 offset1:1
	v_dot4c_i32_i8 v131, v146, v5
	ds_read2_b32 v[138:139], v135 offset1:1
	v_add_nc_u32_e32 v126, 4, v126
	v_dot4c_i32_i8 v131, v147, v9
	v_cvt_f32_i32_e32 v170, v131
	s_waitcnt lgkmcnt(1)
	v_lshrrev_b32_e32 v129, 4, v133
	v_and_b32_e32 v131, 0xf0f0f0f, v133
	v_and_b32_e32 v133, 0xf0f0f0f, v134
	v_lshrrev_b32_e32 v134, 4, v134
	s_waitcnt lgkmcnt(0)
	v_and_b32_e32 v135, 0xf0f0f0f, v138
	v_and_b32_e32 v132, 0xf0f0f0f, v129
	v_mov_b32_e32 v129, 0
	v_lshrrev_b32_e32 v136, 4, v138
	v_and_b32_e32 v134, 0xf0f0f0f, v134
	v_and_b32_e32 v138, 0xf0f0f0f, v139
	v_lshrrev_b32_e32 v139, 4, v139
	v_dot4c_i32_i8 v129, v131, v2
	v_and_b32_e32 v136, 0xf0f0f0f, v136
	v_and_b32_e32 v139, 0xf0f0f0f, v139
	v_dot4c_i32_i8 v129, v132, v6
	v_dot4c_i32_i8 v129, v133, v3
	;; [unrolled: 1-line block ×7, first 2 shown]
	v_cvt_f32_i32_e32 v171, v129
	ds_read_b32 v129, v127
	ds_read2_b32 v[162:163], v157 offset1:1
	v_add_nc_u32_e32 v127, 4, v127
	s_waitcnt lgkmcnt(0)
	v_and_b32_e32 v159, 0xf0f0f0f, v162
	v_lshrrev_b32_e32 v157, 4, v162
	v_mov_b32_e32 v162, 0
	v_and_b32_e32 v158, 0xf0f0f0f, v157
	v_dot4c_i32_i8 v162, v159, v2
	v_lshrrev_b32_e32 v2, 4, v163
	v_and_b32_e32 v157, 0xf0f0f0f, v163
	v_dot4c_i32_i8 v162, v158, v6
	v_and_b32_e32 v6, 0xf0f0f0f, v2
	v_add_nc_u32_e32 v2, 0x3188, v128
	v_add_nc_u32_e32 v128, 16, v128
	v_dot4c_i32_i8 v162, v157, v3
	ds_read2_b32 v[2:3], v2 offset1:1
	v_dot4c_i32_i8 v162, v6, v7
	s_waitcnt lgkmcnt(0)
	v_and_b32_e32 v7, 0xf0f0f0f, v2
	v_lshrrev_b32_e32 v2, 4, v2
	v_dot4c_i32_i8 v162, v7, v4
	v_and_b32_e32 v160, 0xf0f0f0f, v2
	v_lshrrev_b32_e32 v2, 4, v3
	v_dot4c_i32_i8 v162, v160, v8
	v_and_b32_e32 v8, 0xf0f0f0f, v3
	v_and_b32_e32 v4, 0xf0f0f0f, v2
	v_mov_b32_e32 v3, 0
	v_dot4c_i32_i8 v162, v8, v5
	v_cvt_f32_f16_sdwa v5, v39 dst_sel:DWORD dst_unused:UNUSED_PAD src0_sel:WORD_1
	v_dot4c_i32_i8 v162, v4, v9
	v_mul_f32_e32 v5, 0x41000000, v5
	v_cvt_f32_f16_sdwa v9, v40 dst_sel:DWORD dst_unused:UNUSED_PAD src0_sel:WORD_1
	v_cvt_f32_i32_e32 v2, v162
	ds_read_b128 v[162:165], v123 offset:1024
	ds_read_b128 v[166:169], v123 offset:1040
	v_mul_f32_e32 v9, 0x41000000, v9
	v_fma_mix_f32 v161, v39, v161, -v5 op_sel_hi:[1,0,0]
	v_fma_mix_f32 v170, v39, v170, -v5 op_sel_hi:[1,0,0]
	;; [unrolled: 1-line block ×3, first 2 shown]
	v_fmac_f32_e32 v37, v148, v161
	v_fmac_f32_e32 v10, v137, v170
	;; [unrolled: 1-line block ×3, first 2 shown]
	v_mov_b32_e32 v2, 0
	v_fma_mix_f32 v170, v39, v171, -v5 op_sel_hi:[1,0,0]
	v_mov_b32_e32 v5, 0
	v_mov_b32_e32 v39, 0
	v_fmac_f32_e32 v121, v130, v170
	s_waitcnt lgkmcnt(1)
	v_dot4c_i32_i8 v2, v140, v162
	v_dot4c_i32_i8 v3, v149, v162
	s_waitcnt lgkmcnt(0)
	v_dot4c_i32_i8 v2, v141, v166
	v_dot4c_i32_i8 v3, v150, v166
	;; [unrolled: 1-line block ×14, first 2 shown]
	v_cvt_f32_i32_e32 v2, v2
	v_cvt_f32_i32_e32 v3, v3
	v_fma_mix_f32 v2, v40, v2, -v9 op_sel_hi:[1,0,0]
	v_fma_mix_f32 v3, v40, v3, -v9 op_sel_hi:[1,0,0]
	v_fmac_f32_e32 v108, v137, v2
	v_mov_b32_e32 v2, 0
	v_fma_f32 v38, v148, v3, v38
	v_dot4c_i32_i8 v2, v131, v162
	v_dot4c_i32_i8 v2, v132, v166
	;; [unrolled: 1-line block ×8, first 2 shown]
	v_cvt_f32_i32_e32 v2, v2
	v_fma_mix_f32 v2, v40, v2, -v9 op_sel_hi:[1,0,0]
	v_fmac_f32_e32 v117, v130, v2
	v_mov_b32_e32 v2, 0
	v_dot4c_i32_i8 v2, v159, v162
	v_dot4c_i32_i8 v2, v158, v166
	;; [unrolled: 1-line block ×8, first 2 shown]
	v_mov_b32_e32 v169, 0
	v_cvt_f32_i32_e32 v2, v2
	v_fma_mix_f32 v2, v40, v2, -v9 op_sel_hi:[1,0,0]
	v_mov_b32_e32 v9, 0
	v_mov_b32_e32 v40, 0
	v_fmac_f32_e32 v119, v129, v2
	ds_read_b128 v[161:164], v123 offset:2048
	ds_read_b128 v[165:168], v123 offset:2064
	ds_read2_b32 v[2:3], v11 offset0:64 offset1:96
	s_waitcnt lgkmcnt(2)
	v_dot4c_i32_i8 v9, v140, v161
	v_dot4c_i32_i8 v5, v149, v161
	;; [unrolled: 1-line block ×4, first 2 shown]
	s_waitcnt lgkmcnt(0)
	v_cvt_f32_f16_sdwa v170, v2 dst_sel:DWORD dst_unused:UNUSED_PAD src0_sel:WORD_1
	v_dot4c_i32_i8 v9, v141, v165
	v_dot4c_i32_i8 v5, v150, v165
	;; [unrolled: 1-line block ×4, first 2 shown]
	v_mul_f32_e32 v170, 0x41000000, v170
	v_dot4c_i32_i8 v9, v142, v162
	v_dot4c_i32_i8 v5, v151, v162
	v_dot4c_i32_i8 v39, v133, v162
	v_dot4c_i32_i8 v40, v157, v162
	v_cvt_f32_f16_sdwa v171, v3 dst_sel:DWORD dst_unused:UNUSED_PAD src0_sel:WORD_1
	v_dot4c_i32_i8 v9, v143, v166
	v_dot4c_i32_i8 v5, v152, v166
	;; [unrolled: 1-line block ×4, first 2 shown]
	v_mul_f32_e32 v171, 0x41000000, v171
	v_dot4c_i32_i8 v9, v144, v163
	v_dot4c_i32_i8 v5, v153, v163
	;; [unrolled: 1-line block ×16, first 2 shown]
	ds_read_b128 v[161:164], v123 offset:3072
	ds_read_b128 v[165:168], v123 offset:3088
	v_cvt_f32_i32_e32 v9, v9
	v_cvt_f32_i32_e32 v5, v5
	;; [unrolled: 1-line block ×4, first 2 shown]
	v_fma_mix_f32 v9, v2, v9, -v170 op_sel_hi:[1,0,0]
	v_fma_mix_f32 v5, v5, v2, -v170 op_sel_hi:[0,1,0]
	v_fmac_f32_e32 v98, v137, v9
	v_fma_mix_f32 v9, v2, v39, -v170 op_sel_hi:[1,0,0]
	v_fma_mix_f32 v2, v2, v40, -v170 op_sel_hi:[1,0,0]
	v_fmac_f32_e32 v35, v148, v5
	v_mov_b32_e32 v5, 0
	v_mov_b32_e32 v39, 0
	v_fmac_f32_e32 v106, v130, v9
	v_fmac_f32_e32 v115, v129, v2
	v_mov_b32_e32 v2, 0
	s_waitcnt lgkmcnt(1)
	v_dot4c_i32_i8 v169, v149, v161
	v_mov_b32_e32 v9, 0
	v_mov_b32_e32 v40, 0
	v_dot4c_i32_i8 v2, v140, v161
	s_waitcnt lgkmcnt(0)
	v_dot4c_i32_i8 v169, v150, v165
	v_dot4c_i32_i8 v2, v141, v165
	;; [unrolled: 1-line block ×14, first 2 shown]
	v_cvt_f32_i32_e32 v169, v169
	v_cvt_f32_i32_e32 v2, v2
	v_fma_mix_f32 v169, v169, v3, -v171 op_sel_hi:[0,1,0]
	v_fma_mix_f32 v2, v3, v2, -v171 op_sel_hi:[1,0,0]
	v_fma_f32 v36, v148, v169, v36
	v_mov_b32_e32 v169, 0
	v_fmac_f32_e32 v94, v137, v2
	v_mov_b32_e32 v2, 0
	v_dot4c_i32_i8 v2, v131, v161
	v_dot4c_i32_i8 v2, v132, v165
	;; [unrolled: 1-line block ×8, first 2 shown]
	v_cvt_f32_i32_e32 v2, v2
	v_fma_mix_f32 v2, v3, v2, -v171 op_sel_hi:[1,0,0]
	v_fmac_f32_e32 v102, v130, v2
	v_mov_b32_e32 v2, 0
	v_dot4c_i32_i8 v2, v159, v161
	v_dot4c_i32_i8 v2, v158, v165
	;; [unrolled: 1-line block ×8, first 2 shown]
	v_cvt_f32_i32_e32 v2, v2
	v_fma_mix_f32 v2, v3, v2, -v171 op_sel_hi:[1,0,0]
	v_fmac_f32_e32 v103, v129, v2
	ds_read_b128 v[161:164], v123 offset:4096
	ds_read_b128 v[165:168], v123 offset:4112
	ds_read2_b32 v[2:3], v11 offset0:128 offset1:160
	s_waitcnt lgkmcnt(2)
	v_dot4c_i32_i8 v9, v140, v161
	v_dot4c_i32_i8 v5, v149, v161
	;; [unrolled: 1-line block ×4, first 2 shown]
	s_waitcnt lgkmcnt(0)
	v_cvt_f32_f16_sdwa v170, v2 dst_sel:DWORD dst_unused:UNUSED_PAD src0_sel:WORD_1
	v_dot4c_i32_i8 v9, v141, v165
	v_dot4c_i32_i8 v5, v150, v165
	;; [unrolled: 1-line block ×4, first 2 shown]
	v_mul_f32_e32 v170, 0x41000000, v170
	v_dot4c_i32_i8 v9, v142, v162
	v_dot4c_i32_i8 v5, v151, v162
	;; [unrolled: 1-line block ×4, first 2 shown]
	v_cvt_f32_f16_sdwa v171, v3 dst_sel:DWORD dst_unused:UNUSED_PAD src0_sel:WORD_1
	v_dot4c_i32_i8 v9, v143, v166
	v_dot4c_i32_i8 v5, v152, v166
	;; [unrolled: 1-line block ×4, first 2 shown]
	v_mul_f32_e32 v171, 0x41000000, v171
	v_dot4c_i32_i8 v9, v144, v163
	v_dot4c_i32_i8 v5, v153, v163
	;; [unrolled: 1-line block ×16, first 2 shown]
	ds_read_b128 v[161:164], v123 offset:5120
	ds_read_b128 v[165:168], v123 offset:5136
	v_cvt_f32_i32_e32 v9, v9
	v_cvt_f32_i32_e32 v5, v5
	;; [unrolled: 1-line block ×4, first 2 shown]
	v_fma_mix_f32 v9, v2, v9, -v170 op_sel_hi:[1,0,0]
	v_fma_mix_f32 v5, v5, v2, -v170 op_sel_hi:[0,1,0]
	v_fmac_f32_e32 v82, v137, v9
	v_fma_mix_f32 v9, v2, v39, -v170 op_sel_hi:[1,0,0]
	v_fma_mix_f32 v2, v2, v40, -v170 op_sel_hi:[1,0,0]
	v_fmac_f32_e32 v33, v148, v5
	v_mov_b32_e32 v5, 0
	v_mov_b32_e32 v39, 0
	v_fmac_f32_e32 v92, v130, v9
	v_fmac_f32_e32 v101, v129, v2
	v_mov_b32_e32 v2, 0
	s_waitcnt lgkmcnt(1)
	v_dot4c_i32_i8 v169, v149, v161
	v_mov_b32_e32 v9, 0
	v_mov_b32_e32 v40, 0
	v_dot4c_i32_i8 v2, v140, v161
	s_waitcnt lgkmcnt(0)
	v_dot4c_i32_i8 v169, v150, v165
	v_dot4c_i32_i8 v2, v141, v165
	;; [unrolled: 1-line block ×14, first 2 shown]
	v_cvt_f32_i32_e32 v169, v169
	v_cvt_f32_i32_e32 v2, v2
	v_fma_mix_f32 v169, v169, v3, -v171 op_sel_hi:[0,1,0]
	v_fma_mix_f32 v2, v3, v2, -v171 op_sel_hi:[1,0,0]
	v_fma_f32 v34, v148, v169, v34
	v_mov_b32_e32 v169, 0
	v_fmac_f32_e32 v81, v137, v2
	v_mov_b32_e32 v2, 0
	v_dot4c_i32_i8 v2, v131, v161
	v_dot4c_i32_i8 v2, v132, v165
	;; [unrolled: 1-line block ×8, first 2 shown]
	v_cvt_f32_i32_e32 v2, v2
	v_fma_mix_f32 v2, v3, v2, -v171 op_sel_hi:[1,0,0]
	v_fmac_f32_e32 v87, v130, v2
	v_mov_b32_e32 v2, 0
	v_dot4c_i32_i8 v2, v159, v161
	v_dot4c_i32_i8 v2, v158, v165
	;; [unrolled: 1-line block ×8, first 2 shown]
	v_cvt_f32_i32_e32 v2, v2
	v_fma_mix_f32 v2, v3, v2, -v171 op_sel_hi:[1,0,0]
	v_fmac_f32_e32 v89, v129, v2
	ds_read_b128 v[161:164], v123 offset:6144
	ds_read_b128 v[165:168], v123 offset:6160
	ds_read2_b32 v[2:3], v11 offset0:192 offset1:224
	v_add_nc_u32_e32 v11, 4, v11
	s_waitcnt lgkmcnt(2)
	v_dot4c_i32_i8 v5, v149, v161
	v_dot4c_i32_i8 v9, v140, v161
	;; [unrolled: 1-line block ×4, first 2 shown]
	s_waitcnt lgkmcnt(1)
	v_dot4c_i32_i8 v5, v150, v165
	v_dot4c_i32_i8 v9, v141, v165
	;; [unrolled: 1-line block ×28, first 2 shown]
	ds_read_b128 v[161:164], v123 offset:7168
	ds_read_b128 v[165:168], v123 offset:7184
	v_cvt_f32_i32_e32 v5, v5
	v_cvt_f32_i32_e32 v9, v9
	;; [unrolled: 1-line block ×4, first 2 shown]
	v_add_nc_u32_e32 v123, 32, v123
	s_waitcnt lgkmcnt(1)
	v_dot4c_i32_i8 v169, v149, v161
	v_cvt_f32_f16_sdwa v149, v2 dst_sel:DWORD dst_unused:UNUSED_PAD src0_sel:WORD_1
	s_waitcnt lgkmcnt(0)
	v_dot4c_i32_i8 v169, v150, v165
	v_mul_f32_e32 v149, 0x41000000, v149
	v_cvt_f32_f16_sdwa v150, v3 dst_sel:DWORD dst_unused:UNUSED_PAD src0_sel:WORD_1
	v_dot4c_i32_i8 v169, v151, v162
	v_fma_mix_f32 v9, v2, v9, -v149 op_sel_hi:[1,0,0]
	v_fma_mix_f32 v5, v5, v2, -v149 op_sel_hi:[0,1,0]
	v_mul_f32_e32 v150, 0x41000000, v150
	v_dot4c_i32_i8 v169, v152, v166
	v_fmac_f32_e32 v77, v137, v9
	v_fma_mix_f32 v9, v2, v39, -v149 op_sel_hi:[1,0,0]
	v_fma_mix_f32 v2, v2, v40, -v149 op_sel_hi:[1,0,0]
	v_fmac_f32_e32 v31, v148, v5
	v_dot4c_i32_i8 v169, v153, v163
	v_fmac_f32_e32 v80, v130, v9
	v_fmac_f32_e32 v85, v129, v2
	v_mov_b32_e32 v2, 0
	v_dot4c_i32_i8 v169, v154, v167
	v_dot4c_i32_i8 v2, v140, v161
	v_dot4c_i32_i8 v169, v155, v164
	v_dot4c_i32_i8 v2, v141, v165
	v_dot4c_i32_i8 v169, v156, v168
	v_dot4c_i32_i8 v2, v142, v162
	v_cvt_f32_i32_e32 v151, v169
	v_dot4c_i32_i8 v2, v143, v166
	v_fma_mix_f32 v151, v151, v3, -v150 op_sel_hi:[0,1,0]
	v_dot4c_i32_i8 v2, v144, v163
	v_fma_f32 v32, v148, v151, v32
	v_dot4c_i32_i8 v2, v145, v167
	v_dot4c_i32_i8 v2, v146, v164
	;; [unrolled: 1-line block ×3, first 2 shown]
	v_cvt_f32_i32_e32 v2, v2
	v_fma_mix_f32 v2, v3, v2, -v150 op_sel_hi:[1,0,0]
	v_fmac_f32_e32 v76, v137, v2
	v_mov_b32_e32 v2, 0
	v_dot4c_i32_i8 v2, v131, v161
	v_dot4c_i32_i8 v2, v132, v165
	;; [unrolled: 1-line block ×8, first 2 shown]
	v_cvt_f32_i32_e32 v2, v2
	v_fma_mix_f32 v2, v3, v2, -v150 op_sel_hi:[1,0,0]
	v_fmac_f32_e32 v78, v130, v2
	v_mov_b32_e32 v2, 0
	v_dot4c_i32_i8 v2, v159, v161
	v_dot4c_i32_i8 v2, v158, v165
	;; [unrolled: 1-line block ×8, first 2 shown]
	v_cvt_f32_i32_e32 v2, v2
	v_fma_mix_f32 v2, v3, v2, -v150 op_sel_hi:[1,0,0]
	v_fmac_f32_e32 v83, v129, v2
	s_cbranch_scc1 .LBB138_12
; %bb.13:                               ;   in Loop: Header=BB138_7 Depth=1
	s_barrier
	buffer_gl0_inv
	s_branch .LBB138_6
.LBB138_14:
	v_cvt_f16_f32_e32 v2, v38
	v_cvt_f16_f32_e32 v3, v37
	v_cvt_f16_f32_e32 v11, v10
	v_cvt_f16_f32_e32 v12, v121
	v_cvt_f16_f32_e32 v30, v122
	v_cvt_f16_f32_e32 v29, v108
	v_pack_b32_f16 v28, v3, v2
	v_cvt_f16_f32_e32 v2, v36
	v_cvt_f16_f32_e32 v3, v35
	v_cvt_f16_f32_e32 v27, v117
	v_cvt_f16_f32_e32 v26, v119
	v_cvt_f16_f32_e32 v25, v98
	v_cvt_f16_f32_e32 v24, v106
	v_pack_b32_f16 v21, v3, v2
	;; [unrolled: 7-line block ×3, first 2 shown]
	v_cvt_f16_f32_e32 v2, v32
	v_cvt_f16_f32_e32 v3, v31
	;; [unrolled: 1-line block ×11, first 2 shown]
	v_pack_b32_f16 v4, v3, v2
	v_cvt_f16_f32_e32 v5, v76
	v_cvt_f16_f32_e32 v3, v78
	;; [unrolled: 1-line block ×3, first 2 shown]
	v_mov_b32_e32 v10, v41
	s_mov_b32 s0, exec_lo
	v_cmpx_gt_u32_e64 s10, v10
	s_cbranch_execz .LBB138_3
.LBB138_15:
	v_add_nc_u32_e32 v0, s6, v0
	v_mul_lo_u32 v31, v10, s14
	v_cmp_gt_u32_e32 vcc_lo, s14, v0
	s_and_saveexec_b32 s1, vcc_lo
	s_cbranch_execz .LBB138_17
; %bb.16:
	v_add_nc_u32_e32 v32, v0, v31
	v_mov_b32_e32 v33, 0
	v_lshlrev_b64 v[32:33], 1, v[32:33]
	s_waitcnt lgkmcnt(0)
	v_add_co_u32 v32, s0, s12, v32
	v_add_co_ci_u32_e64 v33, null, s13, v33, s0
	global_store_short v[32:33], v28, off
.LBB138_17:
	s_or_b32 exec_lo, exec_lo, s1
	v_add_nc_u32_e32 v10, 32, v0
	v_cmp_gt_u32_e64 s0, s14, v10
	s_and_saveexec_b32 s2, s0
	s_cbranch_execz .LBB138_19
; %bb.18:
	v_add_nc_u32_e32 v32, v10, v31
	v_mov_b32_e32 v33, 0
	v_lshlrev_b64 v[32:33], 1, v[32:33]
	s_waitcnt lgkmcnt(0)
	v_add_co_u32 v32, s1, s12, v32
	v_add_co_ci_u32_e64 v33, null, s13, v33, s1
	global_store_short v[32:33], v11, off
.LBB138_19:
	s_or_b32 exec_lo, exec_lo, s2
	v_add_nc_u32_e32 v11, 64, v0
	v_cmp_gt_u32_e64 s1, s14, v11
	s_and_saveexec_b32 s3, s1
	;; [unrolled: 14-line block ×3, first 2 shown]
	s_cbranch_execz .LBB138_23
; %bb.22:
	v_add_nc_u32_e32 v31, v12, v31
	v_mov_b32_e32 v32, 0
	v_lshlrev_b64 v[31:32], 1, v[31:32]
	s_waitcnt lgkmcnt(0)
	v_add_co_u32 v31, s3, s12, v31
	v_add_co_ci_u32_e64 v32, null, s13, v32, s3
	global_store_short v[31:32], v30, off
.LBB138_23:
	s_or_b32 exec_lo, exec_lo, s4
	v_add3_u32 v30, v1, s7, 8
	v_cmp_gt_u32_e64 s3, s10, v30
	s_and_b32 exec_lo, exec_lo, s3
	s_cbranch_execz .LBB138_3
; %bb.24:
	v_mul_lo_u32 v30, v30, s14
	s_and_saveexec_b32 s4, vcc_lo
	s_cbranch_execnz .LBB138_64
; %bb.25:
	s_or_b32 exec_lo, exec_lo, s4
	s_and_saveexec_b32 s4, s0
	s_cbranch_execnz .LBB138_65
.LBB138_26:
	s_or_b32 exec_lo, exec_lo, s4
	s_and_saveexec_b32 s4, s1
	s_cbranch_execnz .LBB138_66
.LBB138_27:
	s_or_b32 exec_lo, exec_lo, s4
	s_and_saveexec_b32 s4, s2
	s_cbranch_execz .LBB138_29
.LBB138_28:
	v_add_nc_u32_e32 v27, v30, v12
	v_mov_b32_e32 v28, 0
	v_lshlrev_b64 v[27:28], 1, v[27:28]
	s_waitcnt lgkmcnt(0)
	v_add_co_u32 v27, s3, s12, v27
	v_add_co_ci_u32_e64 v28, null, s13, v28, s3
	global_store_short v[27:28], v26, off
.LBB138_29:
	s_or_b32 exec_lo, exec_lo, s4
	v_add3_u32 v26, v1, s7, 16
	v_cmp_gt_u32_e64 s3, s10, v26
	s_and_b32 exec_lo, exec_lo, s3
	s_cbranch_execz .LBB138_3
; %bb.30:
	v_mul_lo_u32 v26, v26, s14
	s_and_saveexec_b32 s4, vcc_lo
	s_cbranch_execnz .LBB138_67
; %bb.31:
	s_or_b32 exec_lo, exec_lo, s4
	s_and_saveexec_b32 s4, s0
	s_cbranch_execnz .LBB138_68
.LBB138_32:
	s_or_b32 exec_lo, exec_lo, s4
	s_and_saveexec_b32 s4, s1
	s_cbranch_execnz .LBB138_69
.LBB138_33:
	s_or_b32 exec_lo, exec_lo, s4
	s_and_saveexec_b32 s4, s2
	s_cbranch_execz .LBB138_35
.LBB138_34:
	v_add_nc_u32_e32 v24, v26, v12
	v_mov_b32_e32 v25, 0
	v_lshlrev_b64 v[24:25], 1, v[24:25]
	s_waitcnt lgkmcnt(0)
	v_add_co_u32 v24, s3, s12, v24
	v_add_co_ci_u32_e64 v25, null, s13, v25, s3
	global_store_short v[24:25], v23, off
.LBB138_35:
	s_or_b32 exec_lo, exec_lo, s4
	v_add3_u32 v23, v1, s7, 24
	v_cmp_gt_u32_e64 s3, s10, v23
	s_and_b32 exec_lo, exec_lo, s3
	s_cbranch_execz .LBB138_3
; %bb.36:
	v_mul_lo_u32 v23, v23, s14
	s_and_saveexec_b32 s4, vcc_lo
	s_cbranch_execnz .LBB138_70
; %bb.37:
	s_or_b32 exec_lo, exec_lo, s4
	s_and_saveexec_b32 s4, s0
	s_cbranch_execnz .LBB138_71
.LBB138_38:
	s_or_b32 exec_lo, exec_lo, s4
	s_and_saveexec_b32 s4, s1
	s_cbranch_execnz .LBB138_72
.LBB138_39:
	s_or_b32 exec_lo, exec_lo, s4
	s_and_saveexec_b32 s4, s2
	s_cbranch_execz .LBB138_41
.LBB138_40:
	v_add_nc_u32_e32 v20, v23, v12
	v_mov_b32_e32 v21, 0
	v_lshlrev_b64 v[20:21], 1, v[20:21]
	s_waitcnt lgkmcnt(0)
	v_add_co_u32 v20, s3, s12, v20
	v_add_co_ci_u32_e64 v21, null, s13, v21, s3
	global_store_short v[20:21], v19, off
.LBB138_41:
	s_or_b32 exec_lo, exec_lo, s4
	v_add3_u32 v19, v1, s7, 32
	v_cmp_gt_u32_e64 s3, s10, v19
	s_and_b32 exec_lo, exec_lo, s3
	s_cbranch_execz .LBB138_3
; %bb.42:
	v_mul_lo_u32 v19, v19, s14
	s_and_saveexec_b32 s4, vcc_lo
	s_cbranch_execnz .LBB138_73
; %bb.43:
	s_or_b32 exec_lo, exec_lo, s4
	s_and_saveexec_b32 s4, s0
	s_cbranch_execnz .LBB138_74
.LBB138_44:
	s_or_b32 exec_lo, exec_lo, s4
	s_and_saveexec_b32 s4, s1
	s_cbranch_execnz .LBB138_75
.LBB138_45:
	s_or_b32 exec_lo, exec_lo, s4
	s_and_saveexec_b32 s4, s2
	s_cbranch_execz .LBB138_47
.LBB138_46:
	v_add_nc_u32_e32 v17, v19, v12
	v_mov_b32_e32 v18, 0
	v_lshlrev_b64 v[17:18], 1, v[17:18]
	s_waitcnt lgkmcnt(0)
	v_add_co_u32 v17, s3, s12, v17
	v_add_co_ci_u32_e64 v18, null, s13, v18, s3
	global_store_short v[17:18], v16, off
.LBB138_47:
	s_or_b32 exec_lo, exec_lo, s4
	v_add3_u32 v16, v1, s7, 40
	v_cmp_gt_u32_e64 s3, s10, v16
	s_and_b32 exec_lo, exec_lo, s3
	s_cbranch_execz .LBB138_3
; %bb.48:
	v_mul_lo_u32 v16, v16, s14
	s_and_saveexec_b32 s4, vcc_lo
	s_cbranch_execnz .LBB138_76
; %bb.49:
	s_or_b32 exec_lo, exec_lo, s4
	s_and_saveexec_b32 s4, s0
	s_cbranch_execnz .LBB138_77
.LBB138_50:
	s_or_b32 exec_lo, exec_lo, s4
	s_and_saveexec_b32 s4, s1
	s_cbranch_execnz .LBB138_78
.LBB138_51:
	s_or_b32 exec_lo, exec_lo, s4
	s_and_saveexec_b32 s4, s2
	s_cbranch_execz .LBB138_53
.LBB138_52:
	v_add_nc_u32_e32 v13, v16, v12
	v_mov_b32_e32 v14, 0
	v_lshlrev_b64 v[13:14], 1, v[13:14]
	s_waitcnt lgkmcnt(0)
	v_add_co_u32 v13, s3, s12, v13
	v_add_co_ci_u32_e64 v14, null, s13, v14, s3
	global_store_short v[13:14], v9, off
.LBB138_53:
	s_or_b32 exec_lo, exec_lo, s4
	v_add3_u32 v9, v1, s7, 48
	v_cmp_gt_u32_e64 s3, s10, v9
	s_and_b32 exec_lo, exec_lo, s3
	s_cbranch_execz .LBB138_3
; %bb.54:
	v_mul_lo_u32 v9, v9, s14
	s_and_saveexec_b32 s4, vcc_lo
	s_cbranch_execnz .LBB138_79
; %bb.55:
	s_or_b32 exec_lo, exec_lo, s4
	s_and_saveexec_b32 s4, s0
	s_cbranch_execnz .LBB138_80
.LBB138_56:
	s_or_b32 exec_lo, exec_lo, s4
	s_and_saveexec_b32 s4, s1
	s_cbranch_execnz .LBB138_81
.LBB138_57:
	s_or_b32 exec_lo, exec_lo, s4
	s_and_saveexec_b32 s4, s2
	s_cbranch_execz .LBB138_59
.LBB138_58:
	v_add_nc_u32_e32 v7, v9, v12
	v_mov_b32_e32 v8, 0
	v_lshlrev_b64 v[7:8], 1, v[7:8]
	s_waitcnt lgkmcnt(0)
	v_add_co_u32 v7, s3, s12, v7
	v_add_co_ci_u32_e64 v8, null, s13, v8, s3
	global_store_short v[7:8], v6, off
.LBB138_59:
	s_or_b32 exec_lo, exec_lo, s4
	v_add3_u32 v1, v1, s7, 56
	v_cmp_gt_u32_e64 s3, s10, v1
	s_and_b32 exec_lo, exec_lo, s3
	s_cbranch_execz .LBB138_3
; %bb.60:
	v_mul_lo_u32 v1, v1, s14
	s_and_saveexec_b32 s3, vcc_lo
	s_cbranch_execnz .LBB138_82
; %bb.61:
	s_or_b32 exec_lo, exec_lo, s3
	s_and_saveexec_b32 s3, s0
	s_cbranch_execnz .LBB138_83
.LBB138_62:
	s_or_b32 exec_lo, exec_lo, s3
	s_and_saveexec_b32 s0, s1
	s_cbranch_execnz .LBB138_84
.LBB138_63:
	s_or_b32 exec_lo, exec_lo, s0
	s_and_b32 exec_lo, exec_lo, s2
	s_cbranch_execz .LBB138_3
	s_branch .LBB138_85
.LBB138_64:
	v_add_nc_u32_e32 v31, v30, v0
	v_mov_b32_e32 v32, 0
	v_lshlrev_b64 v[31:32], 1, v[31:32]
	s_waitcnt lgkmcnt(0)
	v_add_co_u32 v31, s3, s12, v31
	v_add_co_ci_u32_e64 v32, null, s13, v32, s3
	global_store_short_d16_hi v[31:32], v28, off
	s_or_b32 exec_lo, exec_lo, s4
	s_and_saveexec_b32 s4, s0
	s_cbranch_execz .LBB138_26
.LBB138_65:
	v_add_nc_u32_e32 v31, v30, v10
	v_mov_b32_e32 v32, 0
	v_lshlrev_b64 v[31:32], 1, v[31:32]
	s_waitcnt lgkmcnt(0)
	v_add_co_u32 v31, s3, s12, v31
	v_add_co_ci_u32_e64 v32, null, s13, v32, s3
	global_store_short v[31:32], v29, off
	s_or_b32 exec_lo, exec_lo, s4
	s_and_saveexec_b32 s4, s1
	s_cbranch_execz .LBB138_27
.LBB138_66:
	v_add_nc_u32_e32 v28, v30, v11
	v_mov_b32_e32 v29, 0
	v_lshlrev_b64 v[28:29], 1, v[28:29]
	s_waitcnt lgkmcnt(0)
	v_add_co_u32 v28, s3, s12, v28
	v_add_co_ci_u32_e64 v29, null, s13, v29, s3
	global_store_short v[28:29], v27, off
	s_or_b32 exec_lo, exec_lo, s4
	s_and_saveexec_b32 s4, s2
	s_cbranch_execnz .LBB138_28
	s_branch .LBB138_29
.LBB138_67:
	v_add_nc_u32_e32 v27, v26, v0
	v_mov_b32_e32 v28, 0
	v_lshlrev_b64 v[27:28], 1, v[27:28]
	s_waitcnt lgkmcnt(0)
	v_add_co_u32 v27, s3, s12, v27
	v_add_co_ci_u32_e64 v28, null, s13, v28, s3
	global_store_short v[27:28], v21, off
	s_or_b32 exec_lo, exec_lo, s4
	s_and_saveexec_b32 s4, s0
	s_cbranch_execz .LBB138_32
.LBB138_68:
	v_add_nc_u32_e32 v27, v26, v10
	v_mov_b32_e32 v28, 0
	v_lshlrev_b64 v[27:28], 1, v[27:28]
	s_waitcnt lgkmcnt(0)
	v_add_co_u32 v27, s3, s12, v27
	v_add_co_ci_u32_e64 v28, null, s13, v28, s3
	global_store_short v[27:28], v25, off
	s_or_b32 exec_lo, exec_lo, s4
	s_and_saveexec_b32 s4, s1
	s_cbranch_execz .LBB138_33
.LBB138_69:
	v_add_nc_u32_e32 v27, v26, v11
	v_mov_b32_e32 v28, 0
	v_lshlrev_b64 v[27:28], 1, v[27:28]
	s_waitcnt lgkmcnt(0)
	v_add_co_u32 v27, s3, s12, v27
	v_add_co_ci_u32_e64 v28, null, s13, v28, s3
	global_store_short v[27:28], v24, off
	s_or_b32 exec_lo, exec_lo, s4
	s_and_saveexec_b32 s4, s2
	s_cbranch_execnz .LBB138_34
	s_branch .LBB138_35
.LBB138_70:
	v_add_nc_u32_e32 v24, v23, v0
	v_mov_b32_e32 v25, 0
	v_lshlrev_b64 v[24:25], 1, v[24:25]
	s_waitcnt lgkmcnt(0)
	v_add_co_u32 v24, s3, s12, v24
	v_add_co_ci_u32_e64 v25, null, s13, v25, s3
	global_store_short_d16_hi v[24:25], v21, off
	s_or_b32 exec_lo, exec_lo, s4
	s_and_saveexec_b32 s4, s0
	s_cbranch_execz .LBB138_38
.LBB138_71:
	v_add_nc_u32_e32 v24, v23, v10
	v_mov_b32_e32 v25, 0
	v_lshlrev_b64 v[24:25], 1, v[24:25]
	s_waitcnt lgkmcnt(0)
	v_add_co_u32 v24, s3, s12, v24
	v_add_co_ci_u32_e64 v25, null, s13, v25, s3
	global_store_short v[24:25], v22, off
	s_or_b32 exec_lo, exec_lo, s4
	s_and_saveexec_b32 s4, s1
	s_cbranch_execz .LBB138_39
.LBB138_72:
	v_add_nc_u32_e32 v21, v23, v11
	v_mov_b32_e32 v22, 0
	v_lshlrev_b64 v[21:22], 1, v[21:22]
	s_waitcnt lgkmcnt(0)
	v_add_co_u32 v21, s3, s12, v21
	v_add_co_ci_u32_e64 v22, null, s13, v22, s3
	global_store_short v[21:22], v20, off
	s_or_b32 exec_lo, exec_lo, s4
	s_and_saveexec_b32 s4, s2
	s_cbranch_execnz .LBB138_40
	s_branch .LBB138_41
.LBB138_73:
	v_add_nc_u32_e32 v20, v19, v0
	v_mov_b32_e32 v21, 0
	v_lshlrev_b64 v[20:21], 1, v[20:21]
	s_waitcnt lgkmcnt(0)
	v_add_co_u32 v20, s3, s12, v20
	v_add_co_ci_u32_e64 v21, null, s13, v21, s3
	global_store_short v[20:21], v14, off
	s_or_b32 exec_lo, exec_lo, s4
	s_and_saveexec_b32 s4, s0
	s_cbranch_execz .LBB138_44
.LBB138_74:
	v_add_nc_u32_e32 v20, v19, v10
	v_mov_b32_e32 v21, 0
	v_lshlrev_b64 v[20:21], 1, v[20:21]
	s_waitcnt lgkmcnt(0)
	v_add_co_u32 v20, s3, s12, v20
	v_add_co_ci_u32_e64 v21, null, s13, v21, s3
	global_store_short v[20:21], v18, off
	s_or_b32 exec_lo, exec_lo, s4
	s_and_saveexec_b32 s4, s1
	s_cbranch_execz .LBB138_45
.LBB138_75:
	v_add_nc_u32_e32 v20, v19, v11
	v_mov_b32_e32 v21, 0
	v_lshlrev_b64 v[20:21], 1, v[20:21]
	s_waitcnt lgkmcnt(0)
	v_add_co_u32 v20, s3, s12, v20
	v_add_co_ci_u32_e64 v21, null, s13, v21, s3
	global_store_short v[20:21], v17, off
	s_or_b32 exec_lo, exec_lo, s4
	s_and_saveexec_b32 s4, s2
	s_cbranch_execnz .LBB138_46
	s_branch .LBB138_47
.LBB138_76:
	v_add_nc_u32_e32 v17, v16, v0
	v_mov_b32_e32 v18, 0
	v_lshlrev_b64 v[17:18], 1, v[17:18]
	s_waitcnt lgkmcnt(0)
	v_add_co_u32 v17, s3, s12, v17
	v_add_co_ci_u32_e64 v18, null, s13, v18, s3
	global_store_short_d16_hi v[17:18], v14, off
	s_or_b32 exec_lo, exec_lo, s4
	s_and_saveexec_b32 s4, s0
	s_cbranch_execz .LBB138_50
.LBB138_77:
	v_add_nc_u32_e32 v17, v16, v10
	v_mov_b32_e32 v18, 0
	v_lshlrev_b64 v[17:18], 1, v[17:18]
	s_waitcnt lgkmcnt(0)
	v_add_co_u32 v17, s3, s12, v17
	v_add_co_ci_u32_e64 v18, null, s13, v18, s3
	global_store_short v[17:18], v15, off
	s_or_b32 exec_lo, exec_lo, s4
	s_and_saveexec_b32 s4, s1
	s_cbranch_execz .LBB138_51
.LBB138_78:
	v_add_nc_u32_e32 v14, v16, v11
	v_mov_b32_e32 v15, 0
	v_lshlrev_b64 v[14:15], 1, v[14:15]
	s_waitcnt lgkmcnt(0)
	v_add_co_u32 v14, s3, s12, v14
	v_add_co_ci_u32_e64 v15, null, s13, v15, s3
	global_store_short v[14:15], v13, off
	s_or_b32 exec_lo, exec_lo, s4
	s_and_saveexec_b32 s4, s2
	s_cbranch_execnz .LBB138_52
	s_branch .LBB138_53
.LBB138_79:
	v_add_nc_u32_e32 v13, v9, v0
	v_mov_b32_e32 v14, 0
	v_lshlrev_b64 v[13:14], 1, v[13:14]
	s_waitcnt lgkmcnt(0)
	v_add_co_u32 v13, s3, s12, v13
	v_add_co_ci_u32_e64 v14, null, s13, v14, s3
	global_store_short v[13:14], v4, off
	s_or_b32 exec_lo, exec_lo, s4
	s_and_saveexec_b32 s4, s0
	s_cbranch_execz .LBB138_56
.LBB138_80:
	v_add_nc_u32_e32 v13, v9, v10
	v_mov_b32_e32 v14, 0
	v_lshlrev_b64 v[13:14], 1, v[13:14]
	s_waitcnt lgkmcnt(0)
	v_add_co_u32 v13, s3, s12, v13
	v_add_co_ci_u32_e64 v14, null, s13, v14, s3
	global_store_short v[13:14], v8, off
	s_or_b32 exec_lo, exec_lo, s4
	s_and_saveexec_b32 s4, s1
	s_cbranch_execz .LBB138_57
.LBB138_81:
	v_add_nc_u32_e32 v13, v9, v11
	v_mov_b32_e32 v14, 0
	v_lshlrev_b64 v[13:14], 1, v[13:14]
	s_waitcnt lgkmcnt(0)
	v_add_co_u32 v13, s3, s12, v13
	v_add_co_ci_u32_e64 v14, null, s13, v14, s3
	global_store_short v[13:14], v7, off
	s_or_b32 exec_lo, exec_lo, s4
	s_and_saveexec_b32 s4, s2
	s_cbranch_execnz .LBB138_58
	s_branch .LBB138_59
.LBB138_82:
	v_add_nc_u32_e32 v6, v1, v0
	v_mov_b32_e32 v7, 0
	v_lshlrev_b64 v[6:7], 1, v[6:7]
	s_waitcnt lgkmcnt(0)
	v_add_co_u32 v6, vcc_lo, s12, v6
	v_add_co_ci_u32_e64 v7, null, s13, v7, vcc_lo
	global_store_short_d16_hi v[6:7], v4, off
	s_or_b32 exec_lo, exec_lo, s3
	s_and_saveexec_b32 s3, s0
	s_cbranch_execz .LBB138_62
.LBB138_83:
	v_add_nc_u32_e32 v6, v1, v10
	v_mov_b32_e32 v7, 0
	v_lshlrev_b64 v[6:7], 1, v[6:7]
	s_waitcnt lgkmcnt(0)
	v_add_co_u32 v6, vcc_lo, s12, v6
	v_add_co_ci_u32_e64 v7, null, s13, v7, vcc_lo
	global_store_short v[6:7], v5, off
	s_or_b32 exec_lo, exec_lo, s3
	s_and_saveexec_b32 s0, s1
	s_cbranch_execz .LBB138_63
.LBB138_84:
	v_add_nc_u32_e32 v4, v1, v11
	v_mov_b32_e32 v5, 0
	v_lshlrev_b64 v[4:5], 1, v[4:5]
	s_waitcnt lgkmcnt(0)
	v_add_co_u32 v4, vcc_lo, s12, v4
	v_add_co_ci_u32_e64 v5, null, s13, v5, vcc_lo
	global_store_short v[4:5], v3, off
	s_or_b32 exec_lo, exec_lo, s0
	s_and_b32 exec_lo, exec_lo, s2
	s_cbranch_execz .LBB138_3
.LBB138_85:
	v_add_nc_u32_e32 v0, v1, v12
	v_mov_b32_e32 v1, 0
	v_lshlrev_b64 v[0:1], 1, v[0:1]
	s_waitcnt lgkmcnt(0)
	v_add_co_u32 v0, vcc_lo, s12, v0
	v_add_co_ci_u32_e64 v1, null, s13, v1, vcc_lo
	global_store_short v[0:1], v2, off
	s_endpgm
	.section	.rodata,"a",@progbits
	.p2align	6, 0x0
	.amdhsa_kernel _ZL12mul_mat_q4_0IN3c104HalfELb1EEvPKvS3_PT_iiiii
		.amdhsa_group_segment_fixed_size 30336
		.amdhsa_private_segment_fixed_size 0
		.amdhsa_kernarg_size 44
		.amdhsa_user_sgpr_count 6
		.amdhsa_user_sgpr_private_segment_buffer 1
		.amdhsa_user_sgpr_dispatch_ptr 0
		.amdhsa_user_sgpr_queue_ptr 0
		.amdhsa_user_sgpr_kernarg_segment_ptr 1
		.amdhsa_user_sgpr_dispatch_id 0
		.amdhsa_user_sgpr_flat_scratch_init 0
		.amdhsa_user_sgpr_private_segment_size 0
		.amdhsa_wavefront_size32 1
		.amdhsa_uses_dynamic_stack 0
		.amdhsa_system_sgpr_private_segment_wavefront_offset 0
		.amdhsa_system_sgpr_workgroup_id_x 1
		.amdhsa_system_sgpr_workgroup_id_y 1
		.amdhsa_system_sgpr_workgroup_id_z 0
		.amdhsa_system_sgpr_workgroup_info 0
		.amdhsa_system_vgpr_workitem_id 1
		.amdhsa_next_free_vgpr 173
		.amdhsa_next_free_sgpr 15
		.amdhsa_reserve_vcc 1
		.amdhsa_reserve_flat_scratch 0
		.amdhsa_float_round_mode_32 0
		.amdhsa_float_round_mode_16_64 0
		.amdhsa_float_denorm_mode_32 3
		.amdhsa_float_denorm_mode_16_64 3
		.amdhsa_dx10_clamp 1
		.amdhsa_ieee_mode 1
		.amdhsa_fp16_overflow 0
		.amdhsa_workgroup_processor_mode 1
		.amdhsa_memory_ordered 1
		.amdhsa_forward_progress 1
		.amdhsa_shared_vgpr_count 0
		.amdhsa_exception_fp_ieee_invalid_op 0
		.amdhsa_exception_fp_denorm_src 0
		.amdhsa_exception_fp_ieee_div_zero 0
		.amdhsa_exception_fp_ieee_overflow 0
		.amdhsa_exception_fp_ieee_underflow 0
		.amdhsa_exception_fp_ieee_inexact 0
		.amdhsa_exception_int_div_zero 0
	.end_amdhsa_kernel
	.section	.text._ZL12mul_mat_q4_0IN3c104HalfELb1EEvPKvS3_PT_iiiii,"axG",@progbits,_ZL12mul_mat_q4_0IN3c104HalfELb1EEvPKvS3_PT_iiiii,comdat
.Lfunc_end138:
	.size	_ZL12mul_mat_q4_0IN3c104HalfELb1EEvPKvS3_PT_iiiii, .Lfunc_end138-_ZL12mul_mat_q4_0IN3c104HalfELb1EEvPKvS3_PT_iiiii
                                        ; -- End function
	.set _ZL12mul_mat_q4_0IN3c104HalfELb1EEvPKvS3_PT_iiiii.num_vgpr, 173
	.set _ZL12mul_mat_q4_0IN3c104HalfELb1EEvPKvS3_PT_iiiii.num_agpr, 0
	.set _ZL12mul_mat_q4_0IN3c104HalfELb1EEvPKvS3_PT_iiiii.numbered_sgpr, 15
	.set _ZL12mul_mat_q4_0IN3c104HalfELb1EEvPKvS3_PT_iiiii.num_named_barrier, 0
	.set _ZL12mul_mat_q4_0IN3c104HalfELb1EEvPKvS3_PT_iiiii.private_seg_size, 0
	.set _ZL12mul_mat_q4_0IN3c104HalfELb1EEvPKvS3_PT_iiiii.uses_vcc, 1
	.set _ZL12mul_mat_q4_0IN3c104HalfELb1EEvPKvS3_PT_iiiii.uses_flat_scratch, 0
	.set _ZL12mul_mat_q4_0IN3c104HalfELb1EEvPKvS3_PT_iiiii.has_dyn_sized_stack, 0
	.set _ZL12mul_mat_q4_0IN3c104HalfELb1EEvPKvS3_PT_iiiii.has_recursion, 0
	.set _ZL12mul_mat_q4_0IN3c104HalfELb1EEvPKvS3_PT_iiiii.has_indirect_call, 0
	.section	.AMDGPU.csdata,"",@progbits
; Kernel info:
; codeLenInByte = 10964
; TotalNumSgprs: 17
; NumVgprs: 173
; ScratchSize: 0
; MemoryBound: 0
; FloatMode: 240
; IeeeMode: 1
; LDSByteSize: 30336 bytes/workgroup (compile time only)
; SGPRBlocks: 0
; VGPRBlocks: 21
; NumSGPRsForWavesPerEU: 17
; NumVGPRsForWavesPerEU: 173
; Occupancy: 5
; WaveLimiterHint : 0
; COMPUTE_PGM_RSRC2:SCRATCH_EN: 0
; COMPUTE_PGM_RSRC2:USER_SGPR: 6
; COMPUTE_PGM_RSRC2:TRAP_HANDLER: 0
; COMPUTE_PGM_RSRC2:TGID_X_EN: 1
; COMPUTE_PGM_RSRC2:TGID_Y_EN: 1
; COMPUTE_PGM_RSRC2:TGID_Z_EN: 0
; COMPUTE_PGM_RSRC2:TIDIG_COMP_CNT: 1
	.section	.text._ZL12mul_mat_q4_1IN3c104HalfELb0EEvPKvS3_PT_iiiii,"axG",@progbits,_ZL12mul_mat_q4_1IN3c104HalfELb0EEvPKvS3_PT_iiiii,comdat
	.globl	_ZL12mul_mat_q4_1IN3c104HalfELb0EEvPKvS3_PT_iiiii ; -- Begin function _ZL12mul_mat_q4_1IN3c104HalfELb0EEvPKvS3_PT_iiiii
	.p2align	8
	.type	_ZL12mul_mat_q4_1IN3c104HalfELb0EEvPKvS3_PT_iiiii,@function
_ZL12mul_mat_q4_1IN3c104HalfELb0EEvPKvS3_PT_iiiii: ; @_ZL12mul_mat_q4_1IN3c104HalfELb0EEvPKvS3_PT_iiiii
; %bb.0:
	s_clause 0x1
	s_load_dword s14, s[4:5], 0x18
	s_load_dwordx4 s[8:11], s[4:5], 0x20
	s_lshl_b32 s7, s7, 6
	v_add_nc_u32_e32 v15, s7, v1
	s_waitcnt lgkmcnt(0)
	s_cmp_gt_i32 s14, 31
	s_cbranch_scc1 .LBB139_2
; %bb.1:
	v_add_nc_u32_e32 v35, s7, v1
	s_mov_b32 s0, 0
	s_branch .LBB139_3
.LBB139_2:
	s_mov_b32 s0, -1
                                        ; implicit-def: $vgpr35
.LBB139_3:
	s_load_dwordx2 s[12:13], s[4:5], 0x10
	v_mov_b32_e32 v2, 0
	v_mov_b32_e32 v6, 0
	;; [unrolled: 1-line block ×32, first 2 shown]
	s_andn2_b32 vcc_lo, exec_lo, s0
	s_lshl_b32 s6, s6, 7
	s_cbranch_vccnz .LBB139_14
; %bb.4:
	s_load_dwordx4 s[0:3], s[4:5], 0x0
	s_ashr_i32 s4, s14, 31
	s_ashr_i32 s5, s9, 31
	s_lshr_b32 s4, s4, 27
	s_lshr_b32 s5, s5, 27
	s_add_i32 s11, s14, s4
	s_add_i32 s5, s9, s5
	s_ashr_i32 s4, s11, 5
	s_ashr_i32 s14, s5, 5
	s_mul_i32 s9, s4, s6
	v_add_nc_u32_e32 v12, 40, v15
	s_mul_i32 s5, s9, 20
	s_mul_hi_i32 s9, s9, 20
	v_add_nc_u32_e32 v27, 48, v15
	v_cvt_f64_u32_e32 v[2:3], v15
	v_cvt_f64_u32_e32 v[12:13], v12
	v_mul_lo_u32 v20, s4, v1
	v_add_nc_u32_e32 v4, 8, v15
	v_cvt_f64_u32_e32 v[43:44], v27
	v_add_nc_u32_e32 v6, 16, v15
	s_waitcnt lgkmcnt(0)
	s_add_u32 s5, s0, s5
	s_addc_u32 s9, s1, s9
	s_add_i32 s1, s8, -1
	v_add_nc_u32_e32 v8, 24, v15
	v_cvt_f64_i32_e32 v[47:48], s1
	v_add_nc_u32_e32 v10, 32, v15
	s_lshl_b32 s0, s4, 3
	v_add_nc_u32_e32 v28, 56, v15
	v_add_nc_u32_e32 v21, s0, v20
	v_cvt_f64_u32_e32 v[4:5], v4
	v_cvt_f64_u32_e32 v[6:7], v6
	;; [unrolled: 1-line block ×5, first 2 shown]
	v_add_nc_u32_e32 v22, s0, v21
	v_lshrrev_b32_e32 v19, 3, v0
	v_lshrrev_b32_e32 v17, 2, v0
	v_and_b32_e32 v18, 7, v0
	v_lshlrev_b32_e32 v14, 2, v0
	v_add_nc_u32_e32 v25, s0, v22
	v_lshl_add_u32 v38, v1, 2, v19
	v_lshl_add_u32 v39, v1, 3, v17
	v_lshlrev_b32_e32 v53, 2, v18
	s_andn2_b32 s11, s11, 31
	v_add_nc_u32_e32 v26, s0, v25
	v_add_nc_u32_e32 v41, 32, v38
	v_min_f64 v[2:3], v[2:3], v[47:48]
	v_min_f64 v[12:13], v[12:13], v[47:48]
	;; [unrolled: 1-line block ×3, first 2 shown]
	v_add_nc_u32_e32 v27, s0, v26
	v_mul_lo_u32 v36, s4, v38
	v_min_f64 v[4:5], v[4:5], v[47:48]
	v_min_f64 v[6:7], v[6:7], v[47:48]
	v_min_f64 v[8:9], v[8:9], v[47:48]
	v_min_f64 v[10:11], v[10:11], v[47:48]
	v_add_nc_u32_e32 v28, s0, v27
	v_min_f64 v[51:52], v[45:46], v[47:48]
	v_and_b32_e32 v40, 0x7fc, v38
	v_lshlrev_b32_e32 v61, 5, v38
	v_add_nc_u32_e32 v54, 64, v38
	v_add_nc_u32_e32 v33, s0, v28
	;; [unrolled: 1-line block ×3, first 2 shown]
	v_and_b32_e32 v56, 63, v39
	v_and_b32_e32 v57, 0xffc, v41
	v_add3_u32 v65, v40, v53, 0x6200
	v_add_nc_u32_e32 v37, s0, v33
	v_lshlrev_b32_e32 v69, 5, v41
	v_and_b32_e32 v58, 0xffc, v54
	v_cvt_i32_f64_e32 v3, v[2:3]
	v_cvt_i32_f64_e32 v12, v[12:13]
	;; [unrolled: 1-line block ×3, first 2 shown]
	v_add_nc_u32_e32 v38, s0, v37
	v_and_b32_e32 v2, 3, v0
	v_cvt_i32_f64_e32 v4, v[4:5]
	v_cvt_i32_f64_e32 v5, v[6:7]
	;; [unrolled: 1-line block ×3, first 2 shown]
	v_add_nc_u32_e32 v39, s0, v38
	v_cvt_i32_f64_e32 v8, v[10:11]
	v_or_b32_e32 v9, s7, v56
	v_add3_u32 v74, v57, v53, 0x6200
	v_cvt_i32_f64_e32 v57, v[51:52]
	v_add_nc_u32_e32 v40, s0, v39
	v_lshlrev_b32_e32 v10, 2, v2
	v_and_b32_e32 v11, 31, v0
	v_min_i32_e32 v9, s1, v9
	v_and_b32_e32 v59, 0xffc, v55
	v_add_nc_u32_e32 v41, s0, v40
	v_lshl_or_b32 v48, v56, 4, v10
	v_lshl_or_b32 v80, v11, 2, 0x4200
	v_lshlrev_b32_e32 v71, 5, v54
	v_mad_u64_u32 v[10:11], null, v9, s14, v[2:3]
	v_lshlrev_b32_e32 v7, 5, v55
	v_mul_lo_u32 v54, s14, v12
	v_mul_lo_u32 v55, s14, v13
	v_add_nc_u32_e32 v11, 0x60, v0
	v_add_nc_u32_e32 v12, 64, v0
	;; [unrolled: 1-line block ×5, first 2 shown]
	v_add3_u32 v78, v59, v53, 0x6200
	v_lshlrev_b32_e32 v82, 7, v1
	v_lshlrev_b32_e32 v59, 5, v0
	v_and_b32_e32 v11, 0x1fc, v11
	v_and_b32_e32 v12, 0x1fc, v12
	;; [unrolled: 1-line block ×5, first 2 shown]
	v_mad_u32_u24 v24, 0x84, v1, v14
	v_add_nc_u32_e32 v45, s0, v43
	v_and_b32_e32 v14, 28, v14
	v_add_nc_u32_e32 v44, s11, v42
	v_add3_u32 v75, v58, v53, 0x6200
	v_mul_lo_u32 v49, s14, v3
	v_mul_lo_u32 v50, s14, v4
	v_add_nc_u32_e32 v2, 0x400, v82
	v_mul_lo_u32 v51, s14, v5
	v_add_nc_u32_e32 v3, 0x800, v82
	;; [unrolled: 2-line block ×4, first 2 shown]
	v_add_nc_u32_e32 v6, 0x1400, v82
	v_add_nc_u32_e32 v8, 0x1800, v82
	;; [unrolled: 1-line block ×3, first 2 shown]
	v_lshrrev_b32_e32 v58, 3, v13
	v_add_nc_u32_e32 v13, v59, v11
	v_add_nc_u32_e32 v70, v59, v12
	;; [unrolled: 1-line block ×4, first 2 shown]
	v_mul_lo_u32 v56, s14, v57
	v_add_nc_u32_e32 v47, s0, v45
	v_add_co_u32 v11, s0, s2, v14
	v_mov_b32_e32 v16, 0
	v_add_nc_u32_e32 v29, 0x2940, v24
	v_add_nc_u32_e32 v30, 0x2d60, v24
	;; [unrolled: 1-line block ×8, first 2 shown]
	v_mul_u32_u24_e32 v57, 0x84, v0
	v_add_co_ci_u32_e64 v12, null, s3, 0, s0
	v_add_nc_u32_e32 v59, 0x6e00, v13
	v_add_nc_u32_e32 v60, 0x6a00, v70
	;; [unrolled: 1-line block ×4, first 2 shown]
	v_lshl_add_u32 v64, v1, 4, 0x7280
	v_add_nc_u32_e32 v66, 0x4200, v82
	v_mad_u32_u24 v67, 0x84, v0, 64
	v_add_nc_u32_e32 v68, 0x6e10, v13
	v_add_nc_u32_e32 v70, 0x6a10, v70
	;; [unrolled: 1-line block ×16, first 2 shown]
	v_mov_b32_e32 v90, 0
	v_mov_b32_e32 v84, 0
	;; [unrolled: 1-line block ×31, first 2 shown]
	s_add_i32 s11, s4, 3
	s_mov_b32 s14, 0
	s_branch .LBB139_6
.LBB139_5:                              ;   in Loop: Header=BB139_6 Depth=1
	s_add_i32 s14, s14, 8
	s_add_i32 s11, s11, -8
	s_cmp_ge_i32 s14, s4
	s_cbranch_scc1 .LBB139_13
.LBB139_6:                              ; =>This Loop Header: Depth=1
                                        ;     Child Loop BB139_8 Depth 2
                                        ;     Child Loop BB139_11 Depth 2
	s_mul_i32 s0, s14, 20
	s_mul_hi_u32 s1, s14, 20
	s_add_u32 s0, s5, s0
	s_addc_u32 s1, s9, s1
	s_cmp_gt_u32 s11, 3
	v_mad_u64_u32 v[2:3], null, v17, 20, s[0:1]
	v_mad_u64_u32 v[4:5], null, v20, 20, v[2:3]
	v_add_co_u32 v4, vcc_lo, v4, v23
	v_add_co_ci_u32_e64 v5, null, 0, v5, vcc_lo
	global_load_dword v4, v[4:5], off offset:4
	s_waitcnt vmcnt(0)
	ds_write_b32 v24, v4
	v_mad_u64_u32 v[4:5], null, v21, 20, v[2:3]
	v_add_co_u32 v4, vcc_lo, v4, v23
	v_add_co_ci_u32_e64 v5, null, 0, v5, vcc_lo
	global_load_dword v4, v[4:5], off offset:4
	v_add_nc_u32_e32 v5, 0x420, v24
	s_waitcnt vmcnt(0)
	ds_write_b32 v5, v4
	v_mad_u64_u32 v[4:5], null, v22, 20, v[2:3]
	v_add_co_u32 v4, vcc_lo, v4, v23
	v_add_co_ci_u32_e64 v5, null, 0, v5, vcc_lo
	global_load_dword v4, v[4:5], off offset:4
	v_add_nc_u32_e32 v5, 0x840, v24
	s_waitcnt vmcnt(0)
	ds_write_b32 v5, v4
	v_mad_u64_u32 v[4:5], null, v25, 20, v[2:3]
	v_add_co_u32 v4, vcc_lo, v4, v23
	v_add_co_ci_u32_e64 v5, null, 0, v5, vcc_lo
	global_load_dword v4, v[4:5], off offset:4
	v_add_nc_u32_e32 v5, 0xc60, v24
	s_waitcnt vmcnt(0)
	ds_write_b32 v5, v4
	v_mad_u64_u32 v[4:5], null, v26, 20, v[2:3]
	v_add_co_u32 v4, vcc_lo, v4, v23
	v_add_co_ci_u32_e64 v5, null, 0, v5, vcc_lo
	global_load_dword v4, v[4:5], off offset:4
	v_add_nc_u32_e32 v5, 0x1080, v24
	s_waitcnt vmcnt(0)
	ds_write_b32 v5, v4
	v_mad_u64_u32 v[4:5], null, v27, 20, v[2:3]
	v_add_co_u32 v4, vcc_lo, v4, v23
	v_add_co_ci_u32_e64 v5, null, 0, v5, vcc_lo
	global_load_dword v4, v[4:5], off offset:4
	v_add_nc_u32_e32 v5, 0x14a0, v24
	s_waitcnt vmcnt(0)
	ds_write_b32 v5, v4
	v_mad_u64_u32 v[4:5], null, v28, 20, v[2:3]
	v_add_co_u32 v4, vcc_lo, v4, v23
	v_add_co_ci_u32_e64 v5, null, 0, v5, vcc_lo
	global_load_dword v4, v[4:5], off offset:4
	v_add_nc_u32_e32 v5, 0x18c0, v24
	s_waitcnt vmcnt(0)
	ds_write_b32 v5, v4
	v_mad_u64_u32 v[4:5], null, v33, 20, v[2:3]
	v_add_co_u32 v4, vcc_lo, v4, v23
	v_add_co_ci_u32_e64 v5, null, 0, v5, vcc_lo
	global_load_dword v4, v[4:5], off offset:4
	v_add_nc_u32_e32 v5, 0x1ce0, v24
	s_waitcnt vmcnt(0)
	ds_write_b32 v5, v4
	v_mad_u64_u32 v[4:5], null, v37, 20, v[2:3]
	v_add_co_u32 v4, vcc_lo, v4, v23
	v_add_co_ci_u32_e64 v5, null, 0, v5, vcc_lo
	global_load_dword v4, v[4:5], off offset:4
	v_add_nc_u32_e32 v5, 0x2100, v24
	s_waitcnt vmcnt(0)
	ds_write_b32 v5, v4
	v_mad_u64_u32 v[4:5], null, v38, 20, v[2:3]
	v_add_co_u32 v4, vcc_lo, v4, v23
	v_add_co_ci_u32_e64 v5, null, 0, v5, vcc_lo
	global_load_dword v4, v[4:5], off offset:4
	v_add_nc_u32_e32 v5, 0x2520, v24
	s_waitcnt vmcnt(0)
	ds_write_b32 v5, v4
	v_mad_u64_u32 v[4:5], null, v39, 20, v[2:3]
	v_add_co_u32 v4, vcc_lo, v4, v23
	v_add_co_ci_u32_e64 v5, null, 0, v5, vcc_lo
	global_load_dword v4, v[4:5], off offset:4
	s_waitcnt vmcnt(0)
	ds_write_b32 v29, v4
	v_mad_u64_u32 v[4:5], null, v40, 20, v[2:3]
	v_add_co_u32 v4, vcc_lo, v4, v23
	v_add_co_ci_u32_e64 v5, null, 0, v5, vcc_lo
	global_load_dword v4, v[4:5], off offset:4
	;; [unrolled: 6-line block ×4, first 2 shown]
	s_waitcnt vmcnt(0)
	ds_write_b32 v32, v4
	v_mad_u64_u32 v[4:5], null, v45, 20, v[2:3]
	v_mad_u64_u32 v[2:3], null, v47, 20, v[2:3]
	v_add_co_u32 v4, vcc_lo, v4, v23
	v_add_co_ci_u32_e64 v5, null, 0, v5, vcc_lo
	v_add_co_u32 v2, vcc_lo, v2, v23
	v_add_co_ci_u32_e64 v3, null, 0, v3, vcc_lo
	s_clause 0x1
	global_load_dword v4, v[4:5], off offset:4
	global_load_dword v2, v[2:3], off offset:4
	s_waitcnt vmcnt(1)
	ds_write_b32 v34, v4
	s_waitcnt vmcnt(0)
	ds_write_b32 v35, v2
	v_mad_u64_u32 v[2:3], null, v18, 20, s[0:1]
	v_mad_u64_u32 v[4:5], null, v36, 20, v[2:3]
	global_load_dword v4, v[4:5], off
	s_waitcnt vmcnt(0)
	ds_write_b32 v76, v4
	v_mad_u64_u32 v[4:5], null, v42, 20, v[2:3]
	global_load_dword v4, v[4:5], off
	s_waitcnt vmcnt(0)
	ds_write_b32 v77, v4
	v_mad_u64_u32 v[4:5], null, v44, 20, v[2:3]
	v_mad_u64_u32 v[2:3], null, v46, 20, v[2:3]
	s_clause 0x1
	global_load_dword v4, v[4:5], off
	global_load_dword v2, v[2:3], off
	s_waitcnt vmcnt(1)
	ds_write_b32 v79, v4
	s_waitcnt vmcnt(0)
	ds_write_b32 v81, v2
	s_cbranch_scc0 .LBB139_5
; %bb.7:                                ;   in Loop: Header=BB139_6 Depth=1
	v_add_nc_u32_e32 v116, s14, v19
	v_add_nc_u32_e32 v113, s14, v10
	s_mov_b32 s0, -4
	v_add_nc_u32_e32 v2, v116, v49
	v_add_nc_u32_e32 v4, v116, v50
	;; [unrolled: 1-line block ×5, first 2 shown]
	v_mad_u64_u32 v[114:115], null, v113, 36, s[2:3]
	v_mad_i64_i32 v[2:3], null, v2, 36, v[11:12]
	v_add_nc_u32_e32 v117, v116, v54
	v_mad_i64_i32 v[4:5], null, v4, 36, v[11:12]
	v_add_nc_u32_e32 v118, v116, v55
	;; [unrolled: 2-line block ×3, first 2 shown]
	v_mad_i64_i32 v[8:9], null, v8, 36, v[11:12]
	v_mad_i64_i32 v[13:14], null, v13, 36, v[11:12]
	v_mad_i64_i32 v[116:117], null, v117, 36, v[11:12]
	v_mad_i64_i32 v[118:119], null, v118, 36, v[11:12]
	v_mad_i64_i32 v[120:121], null, v120, 36, v[11:12]
	s_clause 0x8
	global_load_dword v122, v[114:115], off
	global_load_dword v2, v[2:3], off offset:4
	global_load_dword v3, v[4:5], off offset:4
	;; [unrolled: 1-line block ×8, first 2 shown]
	v_mov_b32_e32 v114, v66
	v_mov_b32_e32 v115, v64
	;; [unrolled: 1-line block ×7, first 2 shown]
	s_waitcnt vmcnt(8)
	ds_write_b32 v48, v122
	s_waitcnt vmcnt(7)
	ds_write_b32 v83, v2
	;; [unrolled: 2-line block ×9, first 2 shown]
	s_waitcnt lgkmcnt(0)
	s_barrier
	buffer_gl0_inv
.LBB139_8:                              ;   Parent Loop BB139_6 Depth=1
                                        ; =>  This Inner Loop Header: Depth=2
	ds_read_b128 v[2:5], v114
	ds_read_b128 v[6:9], v114 offset:16
	ds_read2_b32 v[13:14], v115 offset1:32
	ds_read_b32 v139, v116
	ds_read2_b32 v[121:122], v120 offset1:1
	v_mov_b32_e32 v123, 0
	v_add_nc_u32_e32 v126, 0x2108, v120
	v_mov_b32_e32 v140, 0
	v_mov_b32_e32 v155, 0
	v_add_nc_u32_e32 v116, 4, v116
	s_add_i32 s0, s0, 4
	s_cmp_lt_u32 s0, 12
	s_waitcnt lgkmcnt(0)
	v_and_b32_e32 v141, 0xf0f0f0f, v121
	v_lshrrev_b32_e32 v121, 4, v121
	v_and_b32_e32 v143, 0xf0f0f0f, v122
	v_dot4c_i32_i8 v123, v141, v2
	v_and_b32_e32 v142, 0xf0f0f0f, v121
	v_lshrrev_b32_e32 v121, 4, v122
	v_dot4c_i32_i8 v123, v142, v6
	v_and_b32_e32 v144, 0xf0f0f0f, v121
	ds_read2_b32 v[121:122], v120 offset0:2 offset1:3
	v_dot4c_i32_i8 v123, v143, v3
	v_dot4c_i32_i8 v123, v144, v7
	s_waitcnt lgkmcnt(0)
	v_and_b32_e32 v145, 0xf0f0f0f, v121
	v_lshrrev_b32_e32 v121, 4, v121
	v_and_b32_e32 v147, 0xf0f0f0f, v122
	v_dot4c_i32_i8 v123, v145, v4
	v_and_b32_e32 v146, 0xf0f0f0f, v121
	v_lshrrev_b32_e32 v121, 4, v122
	v_dot4c_i32_i8 v123, v146, v8
	v_and_b32_e32 v148, 0xf0f0f0f, v121
	v_pk_mul_f16 v121, v13, v139
	v_dot4c_i32_i8 v123, v147, v5
	v_dot4c_i32_i8 v123, v148, v9
	v_cvt_f32_i32_e32 v122, v123
	v_mov_b32_e32 v123, 0
	v_fma_mix_f32 v121, v121, v122, v121 op_sel:[0,0,1] op_sel_hi:[1,0,1]
	v_add_f32_e32 v16, v16, v121
	v_add_nc_u32_e32 v121, 0x1080, v120
	ds_read_b32 v130, v117
	ds_read2_b32 v[121:122], v121 offset1:1
	v_add_nc_u32_e32 v117, 4, v117
	s_waitcnt lgkmcnt(0)
	v_and_b32_e32 v131, 0xf0f0f0f, v121
	v_lshrrev_b32_e32 v121, 4, v121
	v_and_b32_e32 v133, 0xf0f0f0f, v122
	v_dot4c_i32_i8 v123, v131, v2
	v_and_b32_e32 v132, 0xf0f0f0f, v121
	v_lshrrev_b32_e32 v121, 4, v122
	v_dot4c_i32_i8 v123, v132, v6
	v_and_b32_e32 v134, 0xf0f0f0f, v121
	v_add_nc_u32_e32 v121, 0x1088, v120
	v_dot4c_i32_i8 v123, v133, v3
	ds_read2_b32 v[121:122], v121 offset1:1
	v_dot4c_i32_i8 v123, v134, v7
	s_waitcnt lgkmcnt(0)
	v_and_b32_e32 v135, 0xf0f0f0f, v121
	v_lshrrev_b32_e32 v121, 4, v121
	v_and_b32_e32 v137, 0xf0f0f0f, v122
	v_dot4c_i32_i8 v123, v135, v4
	v_and_b32_e32 v136, 0xf0f0f0f, v121
	v_lshrrev_b32_e32 v121, 4, v122
	v_dot4c_i32_i8 v123, v136, v8
	v_and_b32_e32 v138, 0xf0f0f0f, v121
	v_pk_mul_f16 v121, v13, v130
	v_dot4c_i32_i8 v123, v137, v5
	v_dot4c_i32_i8 v123, v138, v9
	v_cvt_f32_i32_e32 v122, v123
	v_fma_mix_f32 v121, v121, v122, v121 op_sel:[0,0,1] op_sel_hi:[1,0,1]
	v_add_nc_u32_e32 v122, 0x2100, v120
	v_add_f32_e32 v104, v104, v121
	ds_read_b32 v121, v118
	ds_read2_b32 v[124:125], v122 offset1:1
	ds_read2_b32 v[128:129], v126 offset1:1
	v_add_nc_u32_e32 v118, 4, v118
	s_waitcnt lgkmcnt(2)
	v_pk_mul_f16 v149, v13, v121
	s_waitcnt lgkmcnt(1)
	v_and_b32_e32 v122, 0xf0f0f0f, v124
	v_lshrrev_b32_e32 v123, 4, v124
	v_and_b32_e32 v124, 0xf0f0f0f, v125
	v_lshrrev_b32_e32 v125, 4, v125
	s_waitcnt lgkmcnt(0)
	v_and_b32_e32 v126, 0xf0f0f0f, v128
	v_dot4c_i32_i8 v140, v122, v2
	v_and_b32_e32 v123, 0xf0f0f0f, v123
	v_lshrrev_b32_e32 v127, 4, v128
	v_and_b32_e32 v125, 0xf0f0f0f, v125
	v_and_b32_e32 v128, 0xf0f0f0f, v129
	v_lshrrev_b32_e32 v129, 4, v129
	v_dot4c_i32_i8 v140, v123, v6
	v_and_b32_e32 v127, 0xf0f0f0f, v127
	v_and_b32_e32 v129, 0xf0f0f0f, v129
	v_dot4c_i32_i8 v140, v124, v3
	v_dot4c_i32_i8 v140, v125, v7
	;; [unrolled: 1-line block ×6, first 2 shown]
	v_cvt_f32_i32_e32 v140, v140
	v_fma_mix_f32 v140, v149, v140, v149 op_sel:[0,0,1] op_sel_hi:[1,0,1]
	v_add_nc_u32_e32 v149, 0x3180, v120
	v_add_f32_e32 v109, v109, v140
	ds_read_b32 v140, v119
	ds_read2_b32 v[153:154], v149 offset1:1
	v_add_nc_u32_e32 v119, 4, v119
	s_waitcnt lgkmcnt(0)
	v_and_b32_e32 v152, 0xf0f0f0f, v153
	v_lshrrev_b32_e32 v149, 4, v153
	v_and_b32_e32 v151, 0xf0f0f0f, v154
	v_dot4c_i32_i8 v155, v152, v2
	v_and_b32_e32 v150, 0xf0f0f0f, v149
	v_lshrrev_b32_e32 v2, 4, v154
	v_dot4c_i32_i8 v155, v150, v6
	v_and_b32_e32 v149, 0xf0f0f0f, v2
	v_add_nc_u32_e32 v2, 0x3188, v120
	v_mov_b32_e32 v6, 0
	v_add_nc_u32_e32 v120, 16, v120
	v_dot4c_i32_i8 v155, v151, v3
	ds_read2_b32 v[2:3], v2 offset1:1
	v_dot4c_i32_i8 v155, v149, v7
	s_waitcnt lgkmcnt(0)
	v_and_b32_e32 v7, 0xf0f0f0f, v2
	v_lshrrev_b32_e32 v2, 4, v2
	v_and_b32_e32 v154, 0xf0f0f0f, v3
	v_dot4c_i32_i8 v155, v7, v4
	v_and_b32_e32 v153, 0xf0f0f0f, v2
	v_lshrrev_b32_e32 v2, 4, v3
	v_dot4c_i32_i8 v155, v153, v8
	v_and_b32_e32 v8, 0xf0f0f0f, v2
	v_pk_mul_f16 v2, v13, v140
	v_dot4c_i32_i8 v155, v154, v5
	v_dot4c_i32_i8 v155, v8, v9
	v_pk_mul_f16 v9, v139, v14
	v_cvt_f32_i32_e32 v3, v155
	v_fma_mix_f32 v2, v2, v3, v2 op_sel:[0,0,1] op_sel_hi:[1,0,1]
	v_add_f32_e32 v112, v112, v2
	ds_read_b128 v[2:5], v114 offset:1024
	ds_read_b128 v[155:158], v114 offset:1040
	s_waitcnt lgkmcnt(1)
	v_dot4c_i32_i8 v6, v141, v2
	s_waitcnt lgkmcnt(0)
	v_dot4c_i32_i8 v6, v142, v155
	v_dot4c_i32_i8 v6, v143, v3
	;; [unrolled: 1-line block ×7, first 2 shown]
	v_cvt_f32_i32_e32 v6, v6
	v_fma_mix_f32 v6, v6, v9, v9 op_sel:[0,0,1] op_sel_hi:[0,1,1]
	v_pk_mul_f16 v9, v130, v14
	v_add_f32_e32 v90, v90, v6
	v_mov_b32_e32 v6, 0
	v_dot4c_i32_i8 v6, v131, v2
	v_dot4c_i32_i8 v6, v132, v155
	;; [unrolled: 1-line block ×8, first 2 shown]
	v_cvt_f32_i32_e32 v6, v6
	v_fma_mix_f32 v6, v6, v9, v9 op_sel:[0,0,1] op_sel_hi:[0,1,1]
	v_pk_mul_f16 v9, v121, v14
	v_add_f32_e32 v101, v101, v6
	v_mov_b32_e32 v6, 0
	v_dot4c_i32_i8 v6, v122, v2
	v_dot4c_i32_i8 v6, v123, v155
	;; [unrolled: 1-line block ×8, first 2 shown]
	v_cvt_f32_i32_e32 v6, v6
	v_fma_mix_f32 v6, v6, v9, v9 op_sel:[0,0,1] op_sel_hi:[0,1,1]
	v_mov_b32_e32 v9, 0
	v_add_f32_e32 v107, v107, v6
	v_mov_b32_e32 v6, 0
	v_dot4c_i32_i8 v6, v152, v2
	v_pk_mul_f16 v2, v140, v14
	v_dot4c_i32_i8 v6, v150, v155
	v_dot4c_i32_i8 v6, v151, v3
	v_dot4c_i32_i8 v6, v149, v156
	v_dot4c_i32_i8 v6, v7, v4
	v_mov_b32_e32 v4, 0
	v_dot4c_i32_i8 v6, v153, v157
	v_dot4c_i32_i8 v6, v154, v5
	;; [unrolled: 1-line block ×3, first 2 shown]
	v_cvt_f32_i32_e32 v3, v6
	v_fma_mix_f32 v2, v3, v2, v2 op_sel:[0,0,1] op_sel_hi:[0,1,1]
	v_add_f32_e32 v111, v111, v2
	ds_read_b128 v[155:158], v114 offset:2048
	ds_read_b128 v[159:162], v114 offset:2064
	ds_read2_b32 v[2:3], v115 offset0:64 offset1:96
	s_waitcnt lgkmcnt(2)
	v_dot4c_i32_i8 v4, v141, v155
	s_waitcnt lgkmcnt(0)
	v_pk_mul_f16 v5, v139, v2
	v_dot4c_i32_i8 v4, v142, v159
	v_dot4c_i32_i8 v4, v143, v156
	;; [unrolled: 1-line block ×7, first 2 shown]
	v_cvt_f32_i32_e32 v4, v4
	v_fma_mix_f32 v4, v4, v5, v5 op_sel:[0,0,1] op_sel_hi:[0,1,1]
	v_pk_mul_f16 v5, v130, v2
	v_add_f32_e32 v84, v84, v4
	v_mov_b32_e32 v4, 0
	v_dot4c_i32_i8 v4, v131, v155
	v_dot4c_i32_i8 v4, v132, v159
	;; [unrolled: 1-line block ×8, first 2 shown]
	v_cvt_f32_i32_e32 v4, v4
	v_fma_mix_f32 v4, v4, v5, v5 op_sel:[0,0,1] op_sel_hi:[0,1,1]
	v_pk_mul_f16 v5, v121, v2
	v_pk_mul_f16 v2, v140, v2
	v_add_f32_e32 v98, v98, v4
	v_mov_b32_e32 v4, 0
	v_dot4c_i32_i8 v4, v122, v155
	v_dot4c_i32_i8 v4, v123, v159
	;; [unrolled: 1-line block ×8, first 2 shown]
	v_cvt_f32_i32_e32 v4, v4
	v_fma_mix_f32 v4, v4, v5, v5 op_sel:[0,0,1] op_sel_hi:[0,1,1]
	v_add_f32_e32 v105, v105, v4
	v_mov_b32_e32 v4, 0
	v_dot4c_i32_i8 v4, v152, v155
	v_dot4c_i32_i8 v4, v150, v159
	;; [unrolled: 1-line block ×8, first 2 shown]
	ds_read_b128 v[155:158], v114 offset:3072
	ds_read_b128 v[159:162], v114 offset:3088
	v_cvt_f32_i32_e32 v4, v4
	v_fma_mix_f32 v2, v4, v2, v2 op_sel:[0,0,1] op_sel_hi:[0,1,1]
	v_pk_mul_f16 v4, v139, v3
	v_add_f32_e32 v110, v110, v2
	v_mov_b32_e32 v2, 0
	s_waitcnt lgkmcnt(1)
	v_dot4c_i32_i8 v2, v141, v155
	s_waitcnt lgkmcnt(0)
	v_dot4c_i32_i8 v2, v142, v159
	v_dot4c_i32_i8 v2, v143, v156
	;; [unrolled: 1-line block ×7, first 2 shown]
	v_cvt_f32_i32_e32 v2, v2
	v_fma_mix_f32 v2, v2, v4, v4 op_sel:[0,0,1] op_sel_hi:[0,1,1]
	v_pk_mul_f16 v4, v130, v3
	v_add_f32_e32 v78, v78, v2
	v_mov_b32_e32 v2, 0
	v_dot4c_i32_i8 v2, v131, v155
	v_dot4c_i32_i8 v2, v132, v159
	;; [unrolled: 1-line block ×8, first 2 shown]
	v_cvt_f32_i32_e32 v2, v2
	v_fma_mix_f32 v2, v2, v4, v4 op_sel:[0,0,1] op_sel_hi:[0,1,1]
	v_pk_mul_f16 v4, v121, v3
	v_pk_mul_f16 v3, v140, v3
	v_add_f32_e32 v92, v92, v2
	v_mov_b32_e32 v2, 0
	v_dot4c_i32_i8 v2, v122, v155
	v_dot4c_i32_i8 v2, v123, v159
	;; [unrolled: 1-line block ×8, first 2 shown]
	v_cvt_f32_i32_e32 v2, v2
	v_fma_mix_f32 v2, v2, v4, v4 op_sel:[0,0,1] op_sel_hi:[0,1,1]
	v_mov_b32_e32 v4, 0
	v_add_f32_e32 v102, v102, v2
	v_mov_b32_e32 v2, 0
	v_dot4c_i32_i8 v2, v152, v155
	v_dot4c_i32_i8 v2, v150, v159
	;; [unrolled: 1-line block ×8, first 2 shown]
	v_cvt_f32_i32_e32 v2, v2
	v_fma_mix_f32 v2, v2, v3, v3 op_sel:[0,0,1] op_sel_hi:[0,1,1]
	v_add_f32_e32 v108, v108, v2
	ds_read_b128 v[155:158], v114 offset:4096
	ds_read_b128 v[159:162], v114 offset:4112
	ds_read2_b32 v[2:3], v115 offset0:128 offset1:160
	s_waitcnt lgkmcnt(2)
	v_dot4c_i32_i8 v4, v141, v155
	s_waitcnt lgkmcnt(0)
	v_pk_mul_f16 v5, v139, v2
	v_dot4c_i32_i8 v4, v142, v159
	v_dot4c_i32_i8 v4, v143, v156
	;; [unrolled: 1-line block ×7, first 2 shown]
	v_cvt_f32_i32_e32 v4, v4
	v_fma_mix_f32 v4, v4, v5, v5 op_sel:[0,0,1] op_sel_hi:[0,1,1]
	v_pk_mul_f16 v5, v130, v2
	v_add_f32_e32 v74, v74, v4
	v_mov_b32_e32 v4, 0
	v_dot4c_i32_i8 v4, v131, v155
	v_dot4c_i32_i8 v4, v132, v159
	;; [unrolled: 1-line block ×8, first 2 shown]
	v_cvt_f32_i32_e32 v4, v4
	v_fma_mix_f32 v4, v4, v5, v5 op_sel:[0,0,1] op_sel_hi:[0,1,1]
	v_pk_mul_f16 v5, v121, v2
	v_pk_mul_f16 v2, v140, v2
	v_add_f32_e32 v86, v86, v4
	v_mov_b32_e32 v4, 0
	v_dot4c_i32_i8 v4, v122, v155
	v_dot4c_i32_i8 v4, v123, v159
	v_dot4c_i32_i8 v4, v124, v156
	v_dot4c_i32_i8 v4, v125, v160
	v_dot4c_i32_i8 v4, v126, v157
	v_dot4c_i32_i8 v4, v127, v161
	v_dot4c_i32_i8 v4, v128, v158
	v_dot4c_i32_i8 v4, v129, v162
	v_cvt_f32_i32_e32 v4, v4
	v_fma_mix_f32 v4, v4, v5, v5 op_sel:[0,0,1] op_sel_hi:[0,1,1]
	v_add_f32_e32 v99, v99, v4
	v_mov_b32_e32 v4, 0
	v_dot4c_i32_i8 v4, v152, v155
	v_dot4c_i32_i8 v4, v150, v159
	;; [unrolled: 1-line block ×8, first 2 shown]
	ds_read_b128 v[155:158], v114 offset:5120
	ds_read_b128 v[159:162], v114 offset:5136
	v_cvt_f32_i32_e32 v4, v4
	v_fma_mix_f32 v2, v4, v2, v2 op_sel:[0,0,1] op_sel_hi:[0,1,1]
	v_pk_mul_f16 v4, v139, v3
	v_add_f32_e32 v106, v106, v2
	v_mov_b32_e32 v2, 0
	s_waitcnt lgkmcnt(1)
	v_dot4c_i32_i8 v2, v141, v155
	s_waitcnt lgkmcnt(0)
	v_dot4c_i32_i8 v2, v142, v159
	v_dot4c_i32_i8 v2, v143, v156
	;; [unrolled: 1-line block ×7, first 2 shown]
	v_cvt_f32_i32_e32 v2, v2
	v_fma_mix_f32 v2, v2, v4, v4 op_sel:[0,0,1] op_sel_hi:[0,1,1]
	v_pk_mul_f16 v4, v130, v3
	v_add_f32_e32 v69, v69, v2
	v_mov_b32_e32 v2, 0
	v_dot4c_i32_i8 v2, v131, v155
	v_dot4c_i32_i8 v2, v132, v159
	;; [unrolled: 1-line block ×8, first 2 shown]
	v_cvt_f32_i32_e32 v2, v2
	v_fma_mix_f32 v2, v2, v4, v4 op_sel:[0,0,1] op_sel_hi:[0,1,1]
	v_pk_mul_f16 v4, v121, v3
	v_pk_mul_f16 v3, v140, v3
	v_add_f32_e32 v80, v80, v2
	v_mov_b32_e32 v2, 0
	v_dot4c_i32_i8 v2, v122, v155
	v_dot4c_i32_i8 v2, v123, v159
	;; [unrolled: 1-line block ×8, first 2 shown]
	v_cvt_f32_i32_e32 v2, v2
	v_fma_mix_f32 v2, v2, v4, v4 op_sel:[0,0,1] op_sel_hi:[0,1,1]
	v_add_f32_e32 v94, v94, v2
	v_mov_b32_e32 v2, 0
	v_dot4c_i32_i8 v2, v152, v155
	v_dot4c_i32_i8 v2, v150, v159
	;; [unrolled: 1-line block ×8, first 2 shown]
	ds_read_b128 v[155:158], v114 offset:6144
	ds_read_b128 v[159:162], v114 offset:6160
	ds_read2_b32 v[5:6], v115 offset0:192 offset1:224
	v_add_nc_u32_e32 v115, 4, v115
	v_cvt_f32_i32_e32 v2, v2
	v_fma_mix_f32 v2, v2, v3, v3 op_sel:[0,0,1] op_sel_hi:[0,1,1]
	v_add_f32_e32 v103, v103, v2
	v_mov_b32_e32 v2, 0
	s_waitcnt lgkmcnt(2)
	v_dot4c_i32_i8 v2, v141, v155
	s_waitcnt lgkmcnt(0)
	v_pk_mul_f16 v3, v139, v5
	v_pk_mul_f16 v13, v139, v6
	v_dot4c_i32_i8 v2, v142, v159
	v_dot4c_i32_i8 v2, v143, v156
	v_dot4c_i32_i8 v2, v144, v160
	v_dot4c_i32_i8 v2, v145, v157
	v_dot4c_i32_i8 v2, v146, v161
	v_dot4c_i32_i8 v2, v147, v158
	v_dot4c_i32_i8 v2, v148, v162
	v_cvt_f32_i32_e32 v2, v2
	v_fma_mix_f32 v2, v2, v3, v3 op_sel:[0,0,1] op_sel_hi:[0,1,1]
	v_pk_mul_f16 v3, v130, v5
	v_add_f32_e32 v65, v65, v2
	v_mov_b32_e32 v2, 0
	v_dot4c_i32_i8 v2, v131, v155
	v_dot4c_i32_i8 v2, v132, v159
	v_dot4c_i32_i8 v2, v133, v156
	v_dot4c_i32_i8 v2, v134, v160
	v_dot4c_i32_i8 v2, v135, v157
	v_dot4c_i32_i8 v2, v136, v161
	v_dot4c_i32_i8 v2, v137, v158
	v_dot4c_i32_i8 v2, v138, v162
	v_cvt_f32_i32_e32 v2, v2
	v_fma_mix_f32 v2, v2, v3, v3 op_sel:[0,0,1] op_sel_hi:[0,1,1]
	v_pk_mul_f16 v3, v121, v5
	v_add_f32_e32 v75, v75, v2
	v_mov_b32_e32 v2, 0
	v_dot4c_i32_i8 v2, v122, v155
	;; [unrolled: 13-line block ×3, first 2 shown]
	v_dot4c_i32_i8 v2, v150, v159
	v_dot4c_i32_i8 v2, v151, v156
	;; [unrolled: 1-line block ×7, first 2 shown]
	v_cvt_f32_i32_e32 v2, v2
	v_fma_mix_f32 v2, v2, v3, v3 op_sel:[0,0,1] op_sel_hi:[0,1,1]
	v_add_f32_e32 v100, v100, v2
	ds_read_b128 v[155:158], v114 offset:7168
	ds_read_b128 v[2:5], v114 offset:7184
	v_add_nc_u32_e32 v114, 32, v114
	s_waitcnt lgkmcnt(1)
	v_dot4c_i32_i8 v9, v141, v155
	s_waitcnt lgkmcnt(0)
	v_dot4c_i32_i8 v9, v142, v2
	v_dot4c_i32_i8 v9, v143, v156
	;; [unrolled: 1-line block ×7, first 2 shown]
	v_cvt_f32_i32_e32 v9, v9
	v_fma_mix_f32 v9, v9, v13, v13 op_sel:[0,0,1] op_sel_hi:[0,1,1]
	v_pk_mul_f16 v13, v130, v6
	v_add_f32_e32 v61, v61, v9
	v_mov_b32_e32 v9, 0
	v_dot4c_i32_i8 v9, v131, v155
	v_dot4c_i32_i8 v9, v132, v2
	;; [unrolled: 1-line block ×8, first 2 shown]
	v_cvt_f32_i32_e32 v9, v9
	v_fma_mix_f32 v9, v9, v13, v13 op_sel:[0,0,1] op_sel_hi:[0,1,1]
	v_pk_mul_f16 v13, v121, v6
	v_add_f32_e32 v71, v71, v9
	v_mov_b32_e32 v9, 0
	v_dot4c_i32_i8 v9, v122, v155
	v_dot4c_i32_i8 v9, v123, v2
	;; [unrolled: 1-line block ×8, first 2 shown]
	v_cvt_f32_i32_e32 v9, v9
	v_fma_mix_f32 v9, v9, v13, v13 op_sel:[0,0,1] op_sel_hi:[0,1,1]
	v_add_f32_e32 v82, v82, v9
	v_mov_b32_e32 v9, 0
	v_dot4c_i32_i8 v9, v152, v155
	v_dot4c_i32_i8 v9, v150, v2
	v_pk_mul_f16 v2, v140, v6
	v_dot4c_i32_i8 v9, v151, v156
	v_dot4c_i32_i8 v9, v149, v3
	;; [unrolled: 1-line block ×6, first 2 shown]
	v_cvt_f32_i32_e32 v3, v9
	v_fma_mix_f32 v2, v3, v2, v2 op_sel:[0,0,1] op_sel_hi:[0,1,1]
	v_add_f32_e32 v96, v96, v2
	s_cbranch_scc1 .LBB139_8
; %bb.9:                                ;   in Loop: Header=BB139_6 Depth=1
	s_and_b32 s0, s11, -4
	s_cmp_eq_u32 s0, 4
	s_barrier
	buffer_gl0_inv
	s_cbranch_scc1 .LBB139_5
; %bb.10:                               ;   in Loop: Header=BB139_6 Depth=1
	v_add_nc_u32_e32 v115, s14, v58
	v_add_nc_u32_e32 v113, 4, v113
	s_mov_b32 s0, 12
	v_add_nc_u32_e32 v2, v115, v49
	v_add_nc_u32_e32 v4, v115, v50
	;; [unrolled: 1-line block ×5, first 2 shown]
	v_mad_u64_u32 v[113:114], null, v113, 36, s[2:3]
	v_mad_i64_i32 v[2:3], null, v2, 36, v[11:12]
	v_add_nc_u32_e32 v116, v115, v54
	v_mad_i64_i32 v[4:5], null, v4, 36, v[11:12]
	v_add_nc_u32_e32 v117, v115, v55
	;; [unrolled: 2-line block ×3, first 2 shown]
	v_mad_i64_i32 v[8:9], null, v8, 36, v[11:12]
	v_mad_i64_i32 v[13:14], null, v13, 36, v[11:12]
	v_mad_i64_i32 v[115:116], null, v116, 36, v[11:12]
	v_mad_i64_i32 v[117:118], null, v117, 36, v[11:12]
	v_mad_i64_i32 v[119:120], null, v119, 36, v[11:12]
	s_clause 0x8
	global_load_dword v121, v[113:114], off
	global_load_dword v2, v[2:3], off offset:4
	global_load_dword v3, v[4:5], off offset:4
	;; [unrolled: 1-line block ×8, first 2 shown]
	v_mov_b32_e32 v113, v64
	v_mov_b32_e32 v114, v66
	v_mov_b32_e32 v115, v73
	v_mov_b32_e32 v116, v72
	v_mov_b32_e32 v117, v70
	v_mov_b32_e32 v118, v68
	v_mov_b32_e32 v119, v67
	s_waitcnt vmcnt(8)
	ds_write_b32 v48, v121
	s_waitcnt vmcnt(7)
	ds_write_b32 v83, v2
	;; [unrolled: 2-line block ×9, first 2 shown]
	s_waitcnt lgkmcnt(0)
	s_barrier
	buffer_gl0_inv
.LBB139_11:                             ;   Parent Loop BB139_6 Depth=1
                                        ; =>  This Inner Loop Header: Depth=2
	ds_read_b128 v[2:5], v114
	ds_read_b128 v[6:9], v114 offset:16
	ds_read2_b32 v[13:14], v113 offset1:32
	ds_read_b32 v139, v115
	ds_read2_b32 v[120:121], v119 offset1:1
	v_mov_b32_e32 v122, 0
	v_add_nc_u32_e32 v125, 0x2108, v119
	v_mov_b32_e32 v136, 0
	v_mov_b32_e32 v153, 0
	v_add_nc_u32_e32 v115, 4, v115
	s_add_i32 s0, s0, 4
	s_cmp_lt_u32 s0, 28
	s_waitcnt lgkmcnt(0)
	v_and_b32_e32 v140, 0xf0f0f0f, v120
	v_lshrrev_b32_e32 v120, 4, v120
	v_and_b32_e32 v142, 0xf0f0f0f, v121
	v_dot4c_i32_i8 v122, v140, v2
	v_and_b32_e32 v141, 0xf0f0f0f, v120
	v_lshrrev_b32_e32 v120, 4, v121
	v_dot4c_i32_i8 v122, v141, v6
	v_and_b32_e32 v143, 0xf0f0f0f, v120
	ds_read2_b32 v[120:121], v119 offset0:2 offset1:3
	v_dot4c_i32_i8 v122, v142, v3
	v_dot4c_i32_i8 v122, v143, v7
	s_waitcnt lgkmcnt(0)
	v_and_b32_e32 v144, 0xf0f0f0f, v120
	v_lshrrev_b32_e32 v120, 4, v120
	v_and_b32_e32 v146, 0xf0f0f0f, v121
	v_dot4c_i32_i8 v122, v144, v4
	v_and_b32_e32 v145, 0xf0f0f0f, v120
	v_lshrrev_b32_e32 v120, 4, v121
	v_dot4c_i32_i8 v122, v145, v8
	v_and_b32_e32 v147, 0xf0f0f0f, v120
	v_pk_mul_f16 v120, v13, v139
	v_dot4c_i32_i8 v122, v146, v5
	v_dot4c_i32_i8 v122, v147, v9
	v_cvt_f32_i32_e32 v121, v122
	v_mov_b32_e32 v122, 0
	v_fma_mix_f32 v120, v120, v121, v120 op_sel:[0,0,1] op_sel_hi:[1,0,1]
	v_add_f32_e32 v16, v16, v120
	v_add_nc_u32_e32 v120, 0x1080, v119
	ds_read_b32 v129, v116
	ds_read2_b32 v[120:121], v120 offset1:1
	v_add_nc_u32_e32 v116, 4, v116
	s_waitcnt lgkmcnt(0)
	v_and_b32_e32 v130, 0xf0f0f0f, v120
	v_lshrrev_b32_e32 v120, 4, v120
	v_and_b32_e32 v132, 0xf0f0f0f, v121
	v_dot4c_i32_i8 v122, v130, v2
	v_and_b32_e32 v131, 0xf0f0f0f, v120
	v_lshrrev_b32_e32 v120, 4, v121
	v_dot4c_i32_i8 v122, v131, v6
	v_and_b32_e32 v133, 0xf0f0f0f, v120
	v_add_nc_u32_e32 v120, 0x1088, v119
	v_dot4c_i32_i8 v122, v132, v3
	ds_read2_b32 v[120:121], v120 offset1:1
	v_dot4c_i32_i8 v122, v133, v7
	s_waitcnt lgkmcnt(0)
	v_and_b32_e32 v134, 0xf0f0f0f, v120
	v_lshrrev_b32_e32 v120, 4, v120
	v_and_b32_e32 v137, 0xf0f0f0f, v121
	v_dot4c_i32_i8 v122, v134, v4
	v_and_b32_e32 v135, 0xf0f0f0f, v120
	v_lshrrev_b32_e32 v120, 4, v121
	v_dot4c_i32_i8 v122, v135, v8
	v_and_b32_e32 v138, 0xf0f0f0f, v120
	v_pk_mul_f16 v120, v13, v129
	v_dot4c_i32_i8 v122, v137, v5
	v_dot4c_i32_i8 v122, v138, v9
	v_cvt_f32_i32_e32 v121, v122
	v_fma_mix_f32 v120, v120, v121, v120 op_sel:[0,0,1] op_sel_hi:[1,0,1]
	v_add_nc_u32_e32 v121, 0x2100, v119
	v_add_f32_e32 v104, v104, v120
	ds_read_b32 v120, v117
	ds_read2_b32 v[123:124], v121 offset1:1
	ds_read2_b32 v[127:128], v125 offset1:1
	v_add_nc_u32_e32 v117, 4, v117
	s_waitcnt lgkmcnt(2)
	v_pk_mul_f16 v148, v13, v120
	s_waitcnt lgkmcnt(1)
	v_and_b32_e32 v121, 0xf0f0f0f, v123
	v_lshrrev_b32_e32 v122, 4, v123
	v_and_b32_e32 v123, 0xf0f0f0f, v124
	v_lshrrev_b32_e32 v124, 4, v124
	s_waitcnt lgkmcnt(0)
	v_and_b32_e32 v125, 0xf0f0f0f, v127
	v_dot4c_i32_i8 v136, v121, v2
	v_and_b32_e32 v122, 0xf0f0f0f, v122
	v_lshrrev_b32_e32 v126, 4, v127
	v_and_b32_e32 v124, 0xf0f0f0f, v124
	v_and_b32_e32 v127, 0xf0f0f0f, v128
	v_lshrrev_b32_e32 v128, 4, v128
	v_dot4c_i32_i8 v136, v122, v6
	v_and_b32_e32 v126, 0xf0f0f0f, v126
	v_and_b32_e32 v128, 0xf0f0f0f, v128
	v_dot4c_i32_i8 v136, v123, v3
	v_dot4c_i32_i8 v136, v124, v7
	;; [unrolled: 1-line block ×6, first 2 shown]
	v_cvt_f32_i32_e32 v136, v136
	v_fma_mix_f32 v136, v148, v136, v148 op_sel:[0,0,1] op_sel_hi:[1,0,1]
	v_add_nc_u32_e32 v148, 0x3180, v119
	v_add_f32_e32 v109, v109, v136
	ds_read_b32 v136, v118
	ds_read2_b32 v[151:152], v148 offset1:1
	v_add_nc_u32_e32 v118, 4, v118
	s_waitcnt lgkmcnt(0)
	v_and_b32_e32 v150, 0xf0f0f0f, v151
	v_lshrrev_b32_e32 v148, 4, v151
	v_dot4c_i32_i8 v153, v150, v2
	v_and_b32_e32 v149, 0xf0f0f0f, v148
	v_lshrrev_b32_e32 v2, 4, v152
	v_and_b32_e32 v148, 0xf0f0f0f, v152
	v_dot4c_i32_i8 v153, v149, v6
	v_and_b32_e32 v6, 0xf0f0f0f, v2
	v_add_nc_u32_e32 v2, 0x3188, v119
	v_add_nc_u32_e32 v119, 16, v119
	v_dot4c_i32_i8 v153, v148, v3
	ds_read2_b32 v[2:3], v2 offset1:1
	v_dot4c_i32_i8 v153, v6, v7
	s_waitcnt lgkmcnt(0)
	v_and_b32_e32 v7, 0xf0f0f0f, v2
	v_lshrrev_b32_e32 v2, 4, v2
	v_dot4c_i32_i8 v153, v7, v4
	v_and_b32_e32 v151, 0xf0f0f0f, v2
	v_lshrrev_b32_e32 v2, 4, v3
	v_dot4c_i32_i8 v153, v151, v8
	v_and_b32_e32 v8, 0xf0f0f0f, v3
	v_and_b32_e32 v4, 0xf0f0f0f, v2
	v_pk_mul_f16 v2, v13, v136
	v_dot4c_i32_i8 v153, v8, v5
	v_mov_b32_e32 v5, 0
	v_dot4c_i32_i8 v153, v4, v9
	v_cvt_f32_i32_e32 v3, v153
	ds_read_b128 v[152:155], v114 offset:1024
	ds_read_b128 v[156:159], v114 offset:1040
	v_fma_mix_f32 v2, v2, v3, v2 op_sel:[0,0,1] op_sel_hi:[1,0,1]
	v_pk_mul_f16 v3, v139, v14
	v_add_f32_e32 v112, v112, v2
	v_mov_b32_e32 v2, 0
	s_waitcnt lgkmcnt(1)
	v_dot4c_i32_i8 v2, v140, v152
	s_waitcnt lgkmcnt(0)
	v_dot4c_i32_i8 v2, v141, v156
	v_dot4c_i32_i8 v2, v142, v153
	v_dot4c_i32_i8 v2, v143, v157
	v_dot4c_i32_i8 v2, v144, v154
	v_dot4c_i32_i8 v2, v145, v158
	v_dot4c_i32_i8 v2, v146, v155
	v_dot4c_i32_i8 v2, v147, v159
	v_cvt_f32_i32_e32 v2, v2
	v_fma_mix_f32 v2, v2, v3, v3 op_sel:[0,0,1] op_sel_hi:[0,1,1]
	v_pk_mul_f16 v3, v129, v14
	v_add_f32_e32 v90, v90, v2
	v_mov_b32_e32 v2, 0
	v_dot4c_i32_i8 v2, v130, v152
	v_dot4c_i32_i8 v2, v131, v156
	v_dot4c_i32_i8 v2, v132, v153
	v_dot4c_i32_i8 v2, v133, v157
	v_dot4c_i32_i8 v2, v134, v154
	v_dot4c_i32_i8 v2, v135, v158
	v_dot4c_i32_i8 v2, v137, v155
	v_dot4c_i32_i8 v2, v138, v159
	v_cvt_f32_i32_e32 v2, v2
	v_fma_mix_f32 v2, v2, v3, v3 op_sel:[0,0,1] op_sel_hi:[0,1,1]
	v_pk_mul_f16 v3, v120, v14
	v_add_f32_e32 v101, v101, v2
	v_mov_b32_e32 v2, 0
	v_dot4c_i32_i8 v2, v121, v152
	;; [unrolled: 13-line block ×3, first 2 shown]
	v_dot4c_i32_i8 v2, v149, v156
	v_dot4c_i32_i8 v2, v148, v153
	;; [unrolled: 1-line block ×7, first 2 shown]
	v_cvt_f32_i32_e32 v2, v2
	v_fma_mix_f32 v2, v2, v3, v3 op_sel:[0,0,1] op_sel_hi:[0,1,1]
	v_add_f32_e32 v111, v111, v2
	ds_read_b128 v[152:155], v114 offset:2048
	ds_read_b128 v[156:159], v114 offset:2064
	ds_read2_b32 v[2:3], v113 offset0:64 offset1:96
	s_waitcnt lgkmcnt(2)
	v_dot4c_i32_i8 v5, v140, v152
	s_waitcnt lgkmcnt(0)
	v_pk_mul_f16 v9, v139, v2
	v_dot4c_i32_i8 v5, v141, v156
	v_dot4c_i32_i8 v5, v142, v153
	;; [unrolled: 1-line block ×7, first 2 shown]
	v_cvt_f32_i32_e32 v5, v5
	v_fma_mix_f32 v5, v5, v9, v9 op_sel:[0,0,1] op_sel_hi:[0,1,1]
	v_pk_mul_f16 v9, v129, v2
	v_add_f32_e32 v84, v84, v5
	v_mov_b32_e32 v5, 0
	v_dot4c_i32_i8 v5, v130, v152
	v_dot4c_i32_i8 v5, v131, v156
	;; [unrolled: 1-line block ×8, first 2 shown]
	v_cvt_f32_i32_e32 v5, v5
	v_fma_mix_f32 v5, v5, v9, v9 op_sel:[0,0,1] op_sel_hi:[0,1,1]
	v_pk_mul_f16 v9, v120, v2
	v_pk_mul_f16 v2, v136, v2
	v_add_f32_e32 v98, v98, v5
	v_mov_b32_e32 v5, 0
	v_dot4c_i32_i8 v5, v121, v152
	v_dot4c_i32_i8 v5, v122, v156
	;; [unrolled: 1-line block ×8, first 2 shown]
	v_cvt_f32_i32_e32 v5, v5
	v_fma_mix_f32 v5, v5, v9, v9 op_sel:[0,0,1] op_sel_hi:[0,1,1]
	v_add_f32_e32 v105, v105, v5
	v_mov_b32_e32 v5, 0
	v_dot4c_i32_i8 v5, v150, v152
	v_dot4c_i32_i8 v5, v149, v156
	;; [unrolled: 1-line block ×8, first 2 shown]
	ds_read_b128 v[152:155], v114 offset:3072
	ds_read_b128 v[156:159], v114 offset:3088
	v_cvt_f32_i32_e32 v5, v5
	v_fma_mix_f32 v2, v5, v2, v2 op_sel:[0,0,1] op_sel_hi:[0,1,1]
	v_pk_mul_f16 v5, v139, v3
	v_add_f32_e32 v110, v110, v2
	v_mov_b32_e32 v2, 0
	s_waitcnt lgkmcnt(1)
	v_dot4c_i32_i8 v2, v140, v152
	s_waitcnt lgkmcnt(0)
	v_dot4c_i32_i8 v2, v141, v156
	v_dot4c_i32_i8 v2, v142, v153
	v_dot4c_i32_i8 v2, v143, v157
	v_dot4c_i32_i8 v2, v144, v154
	v_dot4c_i32_i8 v2, v145, v158
	v_dot4c_i32_i8 v2, v146, v155
	v_dot4c_i32_i8 v2, v147, v159
	v_cvt_f32_i32_e32 v2, v2
	v_fma_mix_f32 v2, v2, v5, v5 op_sel:[0,0,1] op_sel_hi:[0,1,1]
	v_pk_mul_f16 v5, v129, v3
	v_add_f32_e32 v78, v78, v2
	v_mov_b32_e32 v2, 0
	v_dot4c_i32_i8 v2, v130, v152
	v_dot4c_i32_i8 v2, v131, v156
	;; [unrolled: 1-line block ×8, first 2 shown]
	v_cvt_f32_i32_e32 v2, v2
	v_fma_mix_f32 v2, v2, v5, v5 op_sel:[0,0,1] op_sel_hi:[0,1,1]
	v_pk_mul_f16 v5, v120, v3
	v_pk_mul_f16 v3, v136, v3
	v_add_f32_e32 v92, v92, v2
	v_mov_b32_e32 v2, 0
	v_dot4c_i32_i8 v2, v121, v152
	v_dot4c_i32_i8 v2, v122, v156
	;; [unrolled: 1-line block ×8, first 2 shown]
	v_cvt_f32_i32_e32 v2, v2
	v_fma_mix_f32 v2, v2, v5, v5 op_sel:[0,0,1] op_sel_hi:[0,1,1]
	v_mov_b32_e32 v5, 0
	v_add_f32_e32 v102, v102, v2
	v_mov_b32_e32 v2, 0
	v_dot4c_i32_i8 v2, v150, v152
	v_dot4c_i32_i8 v2, v149, v156
	v_dot4c_i32_i8 v2, v148, v153
	v_dot4c_i32_i8 v2, v6, v157
	v_dot4c_i32_i8 v2, v7, v154
	v_dot4c_i32_i8 v2, v151, v158
	v_dot4c_i32_i8 v2, v8, v155
	v_dot4c_i32_i8 v2, v4, v159
	v_cvt_f32_i32_e32 v2, v2
	v_fma_mix_f32 v2, v2, v3, v3 op_sel:[0,0,1] op_sel_hi:[0,1,1]
	v_add_f32_e32 v108, v108, v2
	ds_read_b128 v[152:155], v114 offset:4096
	ds_read_b128 v[156:159], v114 offset:4112
	ds_read2_b32 v[2:3], v113 offset0:128 offset1:160
	s_waitcnt lgkmcnt(2)
	v_dot4c_i32_i8 v5, v140, v152
	s_waitcnt lgkmcnt(0)
	v_pk_mul_f16 v9, v139, v2
	v_dot4c_i32_i8 v5, v141, v156
	v_dot4c_i32_i8 v5, v142, v153
	;; [unrolled: 1-line block ×7, first 2 shown]
	v_cvt_f32_i32_e32 v5, v5
	v_fma_mix_f32 v5, v5, v9, v9 op_sel:[0,0,1] op_sel_hi:[0,1,1]
	v_pk_mul_f16 v9, v129, v2
	v_add_f32_e32 v74, v74, v5
	v_mov_b32_e32 v5, 0
	v_dot4c_i32_i8 v5, v130, v152
	v_dot4c_i32_i8 v5, v131, v156
	;; [unrolled: 1-line block ×8, first 2 shown]
	v_cvt_f32_i32_e32 v5, v5
	v_fma_mix_f32 v5, v5, v9, v9 op_sel:[0,0,1] op_sel_hi:[0,1,1]
	v_pk_mul_f16 v9, v120, v2
	v_pk_mul_f16 v2, v136, v2
	v_add_f32_e32 v86, v86, v5
	v_mov_b32_e32 v5, 0
	v_dot4c_i32_i8 v5, v121, v152
	v_dot4c_i32_i8 v5, v122, v156
	;; [unrolled: 1-line block ×8, first 2 shown]
	v_cvt_f32_i32_e32 v5, v5
	v_fma_mix_f32 v5, v5, v9, v9 op_sel:[0,0,1] op_sel_hi:[0,1,1]
	v_add_f32_e32 v99, v99, v5
	v_mov_b32_e32 v5, 0
	v_dot4c_i32_i8 v5, v150, v152
	v_dot4c_i32_i8 v5, v149, v156
	v_dot4c_i32_i8 v5, v148, v153
	v_dot4c_i32_i8 v5, v6, v157
	v_dot4c_i32_i8 v5, v7, v154
	v_dot4c_i32_i8 v5, v151, v158
	v_dot4c_i32_i8 v5, v8, v155
	v_dot4c_i32_i8 v5, v4, v159
	ds_read_b128 v[152:155], v114 offset:5120
	ds_read_b128 v[156:159], v114 offset:5136
	v_cvt_f32_i32_e32 v5, v5
	v_fma_mix_f32 v2, v5, v2, v2 op_sel:[0,0,1] op_sel_hi:[0,1,1]
	v_pk_mul_f16 v5, v139, v3
	v_add_f32_e32 v106, v106, v2
	v_mov_b32_e32 v2, 0
	s_waitcnt lgkmcnt(1)
	v_dot4c_i32_i8 v2, v140, v152
	s_waitcnt lgkmcnt(0)
	v_dot4c_i32_i8 v2, v141, v156
	v_dot4c_i32_i8 v2, v142, v153
	;; [unrolled: 1-line block ×7, first 2 shown]
	v_cvt_f32_i32_e32 v2, v2
	v_fma_mix_f32 v2, v2, v5, v5 op_sel:[0,0,1] op_sel_hi:[0,1,1]
	v_pk_mul_f16 v5, v129, v3
	v_add_f32_e32 v69, v69, v2
	v_mov_b32_e32 v2, 0
	v_dot4c_i32_i8 v2, v130, v152
	v_dot4c_i32_i8 v2, v131, v156
	;; [unrolled: 1-line block ×8, first 2 shown]
	v_cvt_f32_i32_e32 v2, v2
	v_fma_mix_f32 v2, v2, v5, v5 op_sel:[0,0,1] op_sel_hi:[0,1,1]
	v_pk_mul_f16 v5, v120, v3
	v_pk_mul_f16 v3, v136, v3
	v_add_f32_e32 v80, v80, v2
	v_mov_b32_e32 v2, 0
	v_dot4c_i32_i8 v2, v121, v152
	v_dot4c_i32_i8 v2, v122, v156
	;; [unrolled: 1-line block ×8, first 2 shown]
	v_cvt_f32_i32_e32 v2, v2
	v_fma_mix_f32 v2, v2, v5, v5 op_sel:[0,0,1] op_sel_hi:[0,1,1]
	v_mov_b32_e32 v5, 0
	v_add_f32_e32 v94, v94, v2
	v_mov_b32_e32 v2, 0
	v_dot4c_i32_i8 v2, v150, v152
	v_dot4c_i32_i8 v2, v149, v156
	;; [unrolled: 1-line block ×8, first 2 shown]
	v_cvt_f32_i32_e32 v2, v2
	v_fma_mix_f32 v2, v2, v3, v3 op_sel:[0,0,1] op_sel_hi:[0,1,1]
	v_add_f32_e32 v103, v103, v2
	ds_read_b128 v[152:155], v114 offset:6144
	ds_read_b128 v[156:159], v114 offset:6160
	ds_read2_b32 v[2:3], v113 offset0:192 offset1:224
	v_add_nc_u32_e32 v113, 4, v113
	s_waitcnt lgkmcnt(2)
	v_dot4c_i32_i8 v5, v140, v152
	s_waitcnt lgkmcnt(0)
	v_pk_mul_f16 v9, v139, v2
	v_dot4c_i32_i8 v5, v141, v156
	v_dot4c_i32_i8 v5, v142, v153
	;; [unrolled: 1-line block ×7, first 2 shown]
	v_cvt_f32_i32_e32 v5, v5
	v_fma_mix_f32 v5, v5, v9, v9 op_sel:[0,0,1] op_sel_hi:[0,1,1]
	v_pk_mul_f16 v9, v129, v2
	v_add_f32_e32 v65, v65, v5
	v_mov_b32_e32 v5, 0
	v_dot4c_i32_i8 v5, v130, v152
	v_dot4c_i32_i8 v5, v131, v156
	;; [unrolled: 1-line block ×8, first 2 shown]
	v_cvt_f32_i32_e32 v5, v5
	v_fma_mix_f32 v5, v5, v9, v9 op_sel:[0,0,1] op_sel_hi:[0,1,1]
	v_pk_mul_f16 v9, v120, v2
	v_pk_mul_f16 v2, v136, v2
	v_add_f32_e32 v75, v75, v5
	v_mov_b32_e32 v5, 0
	v_dot4c_i32_i8 v5, v121, v152
	v_dot4c_i32_i8 v5, v122, v156
	;; [unrolled: 1-line block ×8, first 2 shown]
	v_cvt_f32_i32_e32 v5, v5
	v_fma_mix_f32 v5, v5, v9, v9 op_sel:[0,0,1] op_sel_hi:[0,1,1]
	v_add_f32_e32 v88, v88, v5
	v_mov_b32_e32 v5, 0
	v_dot4c_i32_i8 v5, v150, v152
	v_dot4c_i32_i8 v5, v149, v156
	;; [unrolled: 1-line block ×8, first 2 shown]
	ds_read_b128 v[152:155], v114 offset:7168
	ds_read_b128 v[156:159], v114 offset:7184
	v_add_nc_u32_e32 v114, 32, v114
	v_cvt_f32_i32_e32 v5, v5
	v_fma_mix_f32 v2, v5, v2, v2 op_sel:[0,0,1] op_sel_hi:[0,1,1]
	v_pk_mul_f16 v5, v139, v3
	v_add_f32_e32 v100, v100, v2
	v_mov_b32_e32 v2, 0
	s_waitcnt lgkmcnt(1)
	v_dot4c_i32_i8 v2, v140, v152
	s_waitcnt lgkmcnt(0)
	v_dot4c_i32_i8 v2, v141, v156
	v_dot4c_i32_i8 v2, v142, v153
	;; [unrolled: 1-line block ×7, first 2 shown]
	v_cvt_f32_i32_e32 v2, v2
	v_fma_mix_f32 v2, v2, v5, v5 op_sel:[0,0,1] op_sel_hi:[0,1,1]
	v_pk_mul_f16 v5, v129, v3
	v_add_f32_e32 v61, v61, v2
	v_mov_b32_e32 v2, 0
	v_dot4c_i32_i8 v2, v130, v152
	v_dot4c_i32_i8 v2, v131, v156
	;; [unrolled: 1-line block ×8, first 2 shown]
	v_cvt_f32_i32_e32 v2, v2
	v_fma_mix_f32 v2, v2, v5, v5 op_sel:[0,0,1] op_sel_hi:[0,1,1]
	v_pk_mul_f16 v5, v120, v3
	v_pk_mul_f16 v3, v136, v3
	v_add_f32_e32 v71, v71, v2
	v_mov_b32_e32 v2, 0
	v_dot4c_i32_i8 v2, v121, v152
	v_dot4c_i32_i8 v2, v122, v156
	;; [unrolled: 1-line block ×8, first 2 shown]
	v_cvt_f32_i32_e32 v2, v2
	v_fma_mix_f32 v2, v2, v5, v5 op_sel:[0,0,1] op_sel_hi:[0,1,1]
	v_add_f32_e32 v82, v82, v2
	v_mov_b32_e32 v2, 0
	v_dot4c_i32_i8 v2, v150, v152
	v_dot4c_i32_i8 v2, v149, v156
	;; [unrolled: 1-line block ×8, first 2 shown]
	v_cvt_f32_i32_e32 v2, v2
	v_fma_mix_f32 v2, v2, v3, v3 op_sel:[0,0,1] op_sel_hi:[0,1,1]
	v_add_f32_e32 v96, v96, v2
	s_cbranch_scc1 .LBB139_11
; %bb.12:                               ;   in Loop: Header=BB139_6 Depth=1
	s_barrier
	buffer_gl0_inv
	s_branch .LBB139_5
.LBB139_13:
	v_cvt_f16_f32_e32 v12, v16
	v_cvt_f16_f32_e32 v13, v104
	;; [unrolled: 1-line block ×32, first 2 shown]
	v_mov_b32_e32 v35, v15
.LBB139_14:
	s_mov_b32 s0, exec_lo
	v_cmpx_gt_u32_e64 s8, v35
	s_cbranch_execz .LBB139_65
; %bb.15:
	v_add_nc_u32_e32 v0, s6, v0
	v_mul_lo_u32 v15, v35, s10
	v_cmp_gt_u32_e32 vcc_lo, s10, v0
	s_and_saveexec_b32 s1, vcc_lo
	s_cbranch_execz .LBB139_17
; %bb.16:
	v_add_nc_u32_e32 v35, v0, v15
	v_mov_b32_e32 v36, 0
	v_lshlrev_b64 v[35:36], 1, v[35:36]
	s_waitcnt lgkmcnt(0)
	v_add_co_u32 v35, s0, s12, v35
	v_add_co_ci_u32_e64 v36, null, s13, v36, s0
	global_store_short v[35:36], v12, off
.LBB139_17:
	s_or_b32 exec_lo, exec_lo, s1
	v_add_nc_u32_e32 v12, 32, v0
	v_cmp_gt_u32_e64 s0, s10, v12
	s_and_saveexec_b32 s2, s0
	s_cbranch_execz .LBB139_19
; %bb.18:
	v_add_nc_u32_e32 v35, v12, v15
	v_mov_b32_e32 v36, 0
	v_lshlrev_b64 v[35:36], 1, v[35:36]
	s_waitcnt lgkmcnt(0)
	v_add_co_u32 v35, s1, s12, v35
	v_add_co_ci_u32_e64 v36, null, s13, v36, s1
	global_store_short v[35:36], v13, off
.LBB139_19:
	s_or_b32 exec_lo, exec_lo, s2
	v_add_nc_u32_e32 v13, 64, v0
	v_cmp_gt_u32_e64 s1, s10, v13
	s_and_saveexec_b32 s3, s1
	;; [unrolled: 14-line block ×3, first 2 shown]
	s_cbranch_execz .LBB139_23
; %bb.22:
	v_add_nc_u32_e32 v35, v14, v15
	v_mov_b32_e32 v36, 0
	v_lshlrev_b64 v[35:36], 1, v[35:36]
	s_waitcnt lgkmcnt(0)
	v_add_co_u32 v35, s3, s12, v35
	v_add_co_ci_u32_e64 v36, null, s13, v36, s3
	global_store_short v[35:36], v34, off
.LBB139_23:
	s_or_b32 exec_lo, exec_lo, s4
	v_add3_u32 v15, v1, s7, 8
	v_cmp_gt_u32_e64 s3, s8, v15
	s_and_b32 exec_lo, exec_lo, s3
	s_cbranch_execz .LBB139_65
; %bb.24:
	v_mul_lo_u32 v15, v15, s10
	s_and_saveexec_b32 s4, vcc_lo
	s_cbranch_execnz .LBB139_66
; %bb.25:
	s_or_b32 exec_lo, exec_lo, s4
	s_and_saveexec_b32 s4, s0
	s_cbranch_execnz .LBB139_67
.LBB139_26:
	s_or_b32 exec_lo, exec_lo, s4
	s_and_saveexec_b32 s4, s1
	s_cbranch_execnz .LBB139_68
.LBB139_27:
	s_or_b32 exec_lo, exec_lo, s4
	s_and_saveexec_b32 s4, s2
	s_cbranch_execz .LBB139_29
.LBB139_28:
	v_add_nc_u32_e32 v31, v15, v14
	v_mov_b32_e32 v32, 0
	v_lshlrev_b64 v[31:32], 1, v[31:32]
	s_waitcnt lgkmcnt(0)
	v_add_co_u32 v31, s3, s12, v31
	v_add_co_ci_u32_e64 v32, null, s13, v32, s3
	global_store_short v[31:32], v30, off
.LBB139_29:
	s_or_b32 exec_lo, exec_lo, s4
	v_add3_u32 v15, v1, s7, 16
	v_cmp_gt_u32_e64 s3, s8, v15
	s_and_b32 exec_lo, exec_lo, s3
	s_cbranch_execz .LBB139_65
; %bb.30:
	v_mul_lo_u32 v15, v15, s10
	s_and_saveexec_b32 s4, vcc_lo
	s_cbranch_execnz .LBB139_69
; %bb.31:
	s_or_b32 exec_lo, exec_lo, s4
	s_and_saveexec_b32 s4, s0
	s_cbranch_execnz .LBB139_70
.LBB139_32:
	s_or_b32 exec_lo, exec_lo, s4
	s_and_saveexec_b32 s4, s1
	s_cbranch_execnz .LBB139_71
.LBB139_33:
	s_or_b32 exec_lo, exec_lo, s4
	s_and_saveexec_b32 s4, s2
	s_cbranch_execz .LBB139_35
.LBB139_34:
	v_add_nc_u32_e32 v27, v15, v14
	v_mov_b32_e32 v28, 0
	v_lshlrev_b64 v[27:28], 1, v[27:28]
	s_waitcnt lgkmcnt(0)
	v_add_co_u32 v27, s3, s12, v27
	v_add_co_ci_u32_e64 v28, null, s13, v28, s3
	global_store_short v[27:28], v26, off
.LBB139_35:
	s_or_b32 exec_lo, exec_lo, s4
	v_add3_u32 v15, v1, s7, 24
	v_cmp_gt_u32_e64 s3, s8, v15
	s_and_b32 exec_lo, exec_lo, s3
	s_cbranch_execz .LBB139_65
; %bb.36:
	v_mul_lo_u32 v15, v15, s10
	s_and_saveexec_b32 s4, vcc_lo
	s_cbranch_execnz .LBB139_72
; %bb.37:
	s_or_b32 exec_lo, exec_lo, s4
	s_and_saveexec_b32 s4, s0
	s_cbranch_execnz .LBB139_73
.LBB139_38:
	s_or_b32 exec_lo, exec_lo, s4
	s_and_saveexec_b32 s4, s1
	s_cbranch_execnz .LBB139_74
.LBB139_39:
	s_or_b32 exec_lo, exec_lo, s4
	s_and_saveexec_b32 s4, s2
	s_cbranch_execz .LBB139_41
.LBB139_40:
	v_add_nc_u32_e32 v23, v15, v14
	v_mov_b32_e32 v24, 0
	v_lshlrev_b64 v[23:24], 1, v[23:24]
	s_waitcnt lgkmcnt(0)
	v_add_co_u32 v23, s3, s12, v23
	v_add_co_ci_u32_e64 v24, null, s13, v24, s3
	global_store_short v[23:24], v22, off
.LBB139_41:
	s_or_b32 exec_lo, exec_lo, s4
	v_add3_u32 v15, v1, s7, 32
	v_cmp_gt_u32_e64 s3, s8, v15
	s_and_b32 exec_lo, exec_lo, s3
	s_cbranch_execz .LBB139_65
; %bb.42:
	v_mul_lo_u32 v15, v15, s10
	s_and_saveexec_b32 s4, vcc_lo
	s_cbranch_execnz .LBB139_75
; %bb.43:
	s_or_b32 exec_lo, exec_lo, s4
	s_and_saveexec_b32 s4, s0
	s_cbranch_execnz .LBB139_76
.LBB139_44:
	s_or_b32 exec_lo, exec_lo, s4
	s_and_saveexec_b32 s4, s1
	s_cbranch_execnz .LBB139_77
.LBB139_45:
	s_or_b32 exec_lo, exec_lo, s4
	s_and_saveexec_b32 s4, s2
	s_cbranch_execz .LBB139_47
.LBB139_46:
	v_add_nc_u32_e32 v19, v15, v14
	v_mov_b32_e32 v20, 0
	v_lshlrev_b64 v[19:20], 1, v[19:20]
	s_waitcnt lgkmcnt(0)
	v_add_co_u32 v19, s3, s12, v19
	v_add_co_ci_u32_e64 v20, null, s13, v20, s3
	global_store_short v[19:20], v18, off
.LBB139_47:
	s_or_b32 exec_lo, exec_lo, s4
	v_add3_u32 v15, v1, s7, 40
	v_cmp_gt_u32_e64 s3, s8, v15
	s_and_b32 exec_lo, exec_lo, s3
	s_cbranch_execz .LBB139_65
; %bb.48:
	v_mul_lo_u32 v15, v15, s10
	s_and_saveexec_b32 s4, vcc_lo
	s_cbranch_execnz .LBB139_78
; %bb.49:
	s_or_b32 exec_lo, exec_lo, s4
	s_and_saveexec_b32 s4, s0
	s_cbranch_execnz .LBB139_79
.LBB139_50:
	s_or_b32 exec_lo, exec_lo, s4
	s_and_saveexec_b32 s4, s1
	s_cbranch_execnz .LBB139_80
.LBB139_51:
	s_or_b32 exec_lo, exec_lo, s4
	s_and_saveexec_b32 s4, s2
	s_cbranch_execz .LBB139_53
.LBB139_52:
	v_add_nc_u32_e32 v15, v15, v14
	v_mov_b32_e32 v16, 0
	v_lshlrev_b64 v[15:16], 1, v[15:16]
	s_waitcnt lgkmcnt(0)
	v_add_co_u32 v15, s3, s12, v15
	v_add_co_ci_u32_e64 v16, null, s13, v16, s3
	global_store_short v[15:16], v10, off
.LBB139_53:
	s_or_b32 exec_lo, exec_lo, s4
	v_add3_u32 v10, v1, s7, 48
	v_cmp_gt_u32_e64 s3, s8, v10
	s_and_b32 exec_lo, exec_lo, s3
	s_cbranch_execz .LBB139_65
; %bb.54:
	v_mul_lo_u32 v10, v10, s10
	s_and_saveexec_b32 s4, vcc_lo
	s_cbranch_execnz .LBB139_81
; %bb.55:
	s_or_b32 exec_lo, exec_lo, s4
	s_and_saveexec_b32 s4, s0
	s_cbranch_execnz .LBB139_82
.LBB139_56:
	s_or_b32 exec_lo, exec_lo, s4
	s_and_saveexec_b32 s4, s1
	s_cbranch_execnz .LBB139_83
.LBB139_57:
	s_or_b32 exec_lo, exec_lo, s4
	s_and_saveexec_b32 s4, s2
	s_cbranch_execz .LBB139_59
.LBB139_58:
	v_add_nc_u32_e32 v7, v10, v14
	v_mov_b32_e32 v8, 0
	v_lshlrev_b64 v[7:8], 1, v[7:8]
	s_waitcnt lgkmcnt(0)
	v_add_co_u32 v7, s3, s12, v7
	v_add_co_ci_u32_e64 v8, null, s13, v8, s3
	global_store_short v[7:8], v6, off
.LBB139_59:
	s_or_b32 exec_lo, exec_lo, s4
	v_add3_u32 v1, v1, s7, 56
	v_cmp_gt_u32_e64 s3, s8, v1
	s_and_b32 exec_lo, exec_lo, s3
	s_cbranch_execz .LBB139_65
; %bb.60:
	v_mul_lo_u32 v1, v1, s10
	s_and_saveexec_b32 s3, vcc_lo
	s_cbranch_execnz .LBB139_84
; %bb.61:
	s_or_b32 exec_lo, exec_lo, s3
	s_and_saveexec_b32 s3, s0
	s_cbranch_execnz .LBB139_85
.LBB139_62:
	s_or_b32 exec_lo, exec_lo, s3
	s_and_saveexec_b32 s0, s1
	s_cbranch_execnz .LBB139_86
.LBB139_63:
	s_or_b32 exec_lo, exec_lo, s0
	s_and_b32 exec_lo, exec_lo, s2
	s_cbranch_execz .LBB139_65
.LBB139_64:
	v_add_nc_u32_e32 v0, v1, v14
	v_mov_b32_e32 v1, 0
	v_lshlrev_b64 v[0:1], 1, v[0:1]
	s_waitcnt lgkmcnt(0)
	v_add_co_u32 v0, vcc_lo, s12, v0
	v_add_co_ci_u32_e64 v1, null, s13, v1, vcc_lo
	global_store_short v[0:1], v2, off
.LBB139_65:
	s_endpgm
.LBB139_66:
	v_add_nc_u32_e32 v34, v15, v0
	v_mov_b32_e32 v35, 0
	v_lshlrev_b64 v[34:35], 1, v[34:35]
	s_waitcnt lgkmcnt(0)
	v_add_co_u32 v34, s3, s12, v34
	v_add_co_ci_u32_e64 v35, null, s13, v35, s3
	global_store_short v[34:35], v33, off
	s_or_b32 exec_lo, exec_lo, s4
	s_and_saveexec_b32 s4, s0
	s_cbranch_execz .LBB139_26
.LBB139_67:
	v_add_nc_u32_e32 v33, v15, v12
	v_mov_b32_e32 v34, 0
	v_lshlrev_b64 v[33:34], 1, v[33:34]
	s_waitcnt lgkmcnt(0)
	v_add_co_u32 v33, s3, s12, v33
	v_add_co_ci_u32_e64 v34, null, s13, v34, s3
	global_store_short v[33:34], v32, off
	s_or_b32 exec_lo, exec_lo, s4
	s_and_saveexec_b32 s4, s1
	s_cbranch_execz .LBB139_27
.LBB139_68:
	v_add_nc_u32_e32 v32, v15, v13
	v_mov_b32_e32 v33, 0
	v_lshlrev_b64 v[32:33], 1, v[32:33]
	s_waitcnt lgkmcnt(0)
	v_add_co_u32 v32, s3, s12, v32
	v_add_co_ci_u32_e64 v33, null, s13, v33, s3
	global_store_short v[32:33], v31, off
	s_or_b32 exec_lo, exec_lo, s4
	s_and_saveexec_b32 s4, s2
	s_cbranch_execnz .LBB139_28
	s_branch .LBB139_29
.LBB139_69:
	v_add_nc_u32_e32 v30, v15, v0
	v_mov_b32_e32 v31, 0
	v_lshlrev_b64 v[30:31], 1, v[30:31]
	s_waitcnt lgkmcnt(0)
	v_add_co_u32 v30, s3, s12, v30
	v_add_co_ci_u32_e64 v31, null, s13, v31, s3
	global_store_short v[30:31], v29, off
	s_or_b32 exec_lo, exec_lo, s4
	s_and_saveexec_b32 s4, s0
	s_cbranch_execz .LBB139_32
.LBB139_70:
	v_add_nc_u32_e32 v29, v15, v12
	v_mov_b32_e32 v30, 0
	v_lshlrev_b64 v[29:30], 1, v[29:30]
	s_waitcnt lgkmcnt(0)
	v_add_co_u32 v29, s3, s12, v29
	v_add_co_ci_u32_e64 v30, null, s13, v30, s3
	global_store_short v[29:30], v28, off
	s_or_b32 exec_lo, exec_lo, s4
	s_and_saveexec_b32 s4, s1
	s_cbranch_execz .LBB139_33
.LBB139_71:
	v_add_nc_u32_e32 v28, v15, v13
	v_mov_b32_e32 v29, 0
	v_lshlrev_b64 v[28:29], 1, v[28:29]
	s_waitcnt lgkmcnt(0)
	v_add_co_u32 v28, s3, s12, v28
	v_add_co_ci_u32_e64 v29, null, s13, v29, s3
	global_store_short v[28:29], v27, off
	s_or_b32 exec_lo, exec_lo, s4
	s_and_saveexec_b32 s4, s2
	s_cbranch_execnz .LBB139_34
	s_branch .LBB139_35
.LBB139_72:
	v_add_nc_u32_e32 v26, v15, v0
	v_mov_b32_e32 v27, 0
	v_lshlrev_b64 v[26:27], 1, v[26:27]
	s_waitcnt lgkmcnt(0)
	v_add_co_u32 v26, s3, s12, v26
	v_add_co_ci_u32_e64 v27, null, s13, v27, s3
	global_store_short v[26:27], v25, off
	s_or_b32 exec_lo, exec_lo, s4
	s_and_saveexec_b32 s4, s0
	s_cbranch_execz .LBB139_38
.LBB139_73:
	v_add_nc_u32_e32 v25, v15, v12
	v_mov_b32_e32 v26, 0
	v_lshlrev_b64 v[25:26], 1, v[25:26]
	s_waitcnt lgkmcnt(0)
	v_add_co_u32 v25, s3, s12, v25
	v_add_co_ci_u32_e64 v26, null, s13, v26, s3
	global_store_short v[25:26], v24, off
	s_or_b32 exec_lo, exec_lo, s4
	s_and_saveexec_b32 s4, s1
	s_cbranch_execz .LBB139_39
.LBB139_74:
	v_add_nc_u32_e32 v24, v15, v13
	v_mov_b32_e32 v25, 0
	v_lshlrev_b64 v[24:25], 1, v[24:25]
	s_waitcnt lgkmcnt(0)
	v_add_co_u32 v24, s3, s12, v24
	v_add_co_ci_u32_e64 v25, null, s13, v25, s3
	global_store_short v[24:25], v23, off
	s_or_b32 exec_lo, exec_lo, s4
	s_and_saveexec_b32 s4, s2
	s_cbranch_execnz .LBB139_40
	s_branch .LBB139_41
.LBB139_75:
	v_add_nc_u32_e32 v22, v15, v0
	v_mov_b32_e32 v23, 0
	v_lshlrev_b64 v[22:23], 1, v[22:23]
	s_waitcnt lgkmcnt(0)
	v_add_co_u32 v22, s3, s12, v22
	v_add_co_ci_u32_e64 v23, null, s13, v23, s3
	global_store_short v[22:23], v21, off
	s_or_b32 exec_lo, exec_lo, s4
	s_and_saveexec_b32 s4, s0
	s_cbranch_execz .LBB139_44
.LBB139_76:
	v_add_nc_u32_e32 v21, v15, v12
	v_mov_b32_e32 v22, 0
	v_lshlrev_b64 v[21:22], 1, v[21:22]
	s_waitcnt lgkmcnt(0)
	v_add_co_u32 v21, s3, s12, v21
	v_add_co_ci_u32_e64 v22, null, s13, v22, s3
	global_store_short v[21:22], v20, off
	s_or_b32 exec_lo, exec_lo, s4
	s_and_saveexec_b32 s4, s1
	s_cbranch_execz .LBB139_45
.LBB139_77:
	v_add_nc_u32_e32 v20, v15, v13
	v_mov_b32_e32 v21, 0
	v_lshlrev_b64 v[20:21], 1, v[20:21]
	s_waitcnt lgkmcnt(0)
	v_add_co_u32 v20, s3, s12, v20
	v_add_co_ci_u32_e64 v21, null, s13, v21, s3
	global_store_short v[20:21], v19, off
	s_or_b32 exec_lo, exec_lo, s4
	s_and_saveexec_b32 s4, s2
	s_cbranch_execnz .LBB139_46
	s_branch .LBB139_47
.LBB139_78:
	v_add_nc_u32_e32 v18, v15, v0
	v_mov_b32_e32 v19, 0
	v_lshlrev_b64 v[18:19], 1, v[18:19]
	s_waitcnt lgkmcnt(0)
	v_add_co_u32 v18, s3, s12, v18
	v_add_co_ci_u32_e64 v19, null, s13, v19, s3
	global_store_short v[18:19], v17, off
	s_or_b32 exec_lo, exec_lo, s4
	s_and_saveexec_b32 s4, s0
	s_cbranch_execz .LBB139_50
.LBB139_79:
	v_add_nc_u32_e32 v17, v15, v12
	v_mov_b32_e32 v18, 0
	v_lshlrev_b64 v[17:18], 1, v[17:18]
	s_waitcnt lgkmcnt(0)
	v_add_co_u32 v17, s3, s12, v17
	v_add_co_ci_u32_e64 v18, null, s13, v18, s3
	global_store_short v[17:18], v16, off
	s_or_b32 exec_lo, exec_lo, s4
	s_and_saveexec_b32 s4, s1
	s_cbranch_execz .LBB139_51
.LBB139_80:
	v_add_nc_u32_e32 v16, v15, v13
	v_mov_b32_e32 v17, 0
	v_lshlrev_b64 v[16:17], 1, v[16:17]
	s_waitcnt lgkmcnt(0)
	v_add_co_u32 v16, s3, s12, v16
	v_add_co_ci_u32_e64 v17, null, s13, v17, s3
	global_store_short v[16:17], v11, off
	s_or_b32 exec_lo, exec_lo, s4
	s_and_saveexec_b32 s4, s2
	s_cbranch_execnz .LBB139_52
	s_branch .LBB139_53
.LBB139_81:
	v_add_nc_u32_e32 v15, v10, v0
	v_mov_b32_e32 v16, 0
	v_lshlrev_b64 v[15:16], 1, v[15:16]
	s_waitcnt lgkmcnt(0)
	v_add_co_u32 v15, s3, s12, v15
	v_add_co_ci_u32_e64 v16, null, s13, v16, s3
	global_store_short v[15:16], v9, off
	s_or_b32 exec_lo, exec_lo, s4
	s_and_saveexec_b32 s4, s0
	s_cbranch_execz .LBB139_56
.LBB139_82:
	v_add_nc_u32_e32 v15, v10, v12
	v_mov_b32_e32 v16, 0
	v_lshlrev_b64 v[15:16], 1, v[15:16]
	s_waitcnt lgkmcnt(0)
	v_add_co_u32 v15, s3, s12, v15
	v_add_co_ci_u32_e64 v16, null, s13, v16, s3
	global_store_short v[15:16], v8, off
	s_or_b32 exec_lo, exec_lo, s4
	s_and_saveexec_b32 s4, s1
	s_cbranch_execz .LBB139_57
.LBB139_83:
	v_add_nc_u32_e32 v8, v10, v13
	v_mov_b32_e32 v9, 0
	v_lshlrev_b64 v[8:9], 1, v[8:9]
	s_waitcnt lgkmcnt(0)
	v_add_co_u32 v8, s3, s12, v8
	v_add_co_ci_u32_e64 v9, null, s13, v9, s3
	global_store_short v[8:9], v7, off
	s_or_b32 exec_lo, exec_lo, s4
	s_and_saveexec_b32 s4, s2
	s_cbranch_execnz .LBB139_58
	s_branch .LBB139_59
.LBB139_84:
	v_add_nc_u32_e32 v6, v1, v0
	v_mov_b32_e32 v7, 0
	v_lshlrev_b64 v[6:7], 1, v[6:7]
	s_waitcnt lgkmcnt(0)
	v_add_co_u32 v6, vcc_lo, s12, v6
	v_add_co_ci_u32_e64 v7, null, s13, v7, vcc_lo
	global_store_short v[6:7], v5, off
	s_or_b32 exec_lo, exec_lo, s3
	s_and_saveexec_b32 s3, s0
	s_cbranch_execz .LBB139_62
.LBB139_85:
	v_add_nc_u32_e32 v5, v1, v12
	v_mov_b32_e32 v6, 0
	v_lshlrev_b64 v[5:6], 1, v[5:6]
	s_waitcnt lgkmcnt(0)
	v_add_co_u32 v5, vcc_lo, s12, v5
	v_add_co_ci_u32_e64 v6, null, s13, v6, vcc_lo
	global_store_short v[5:6], v4, off
	s_or_b32 exec_lo, exec_lo, s3
	s_and_saveexec_b32 s0, s1
	s_cbranch_execz .LBB139_63
.LBB139_86:
	v_add_nc_u32_e32 v4, v1, v13
	v_mov_b32_e32 v5, 0
	v_lshlrev_b64 v[4:5], 1, v[4:5]
	s_waitcnt lgkmcnt(0)
	v_add_co_u32 v4, vcc_lo, s12, v4
	v_add_co_ci_u32_e64 v5, null, s13, v5, vcc_lo
	global_store_short v[4:5], v3, off
	s_or_b32 exec_lo, exec_lo, s0
	s_and_b32 exec_lo, exec_lo, s2
	s_cbranch_execnz .LBB139_64
	s_branch .LBB139_65
	.section	.rodata,"a",@progbits
	.p2align	6, 0x0
	.amdhsa_kernel _ZL12mul_mat_q4_1IN3c104HalfELb0EEvPKvS3_PT_iiiii
		.amdhsa_group_segment_fixed_size 30336
		.amdhsa_private_segment_fixed_size 0
		.amdhsa_kernarg_size 44
		.amdhsa_user_sgpr_count 6
		.amdhsa_user_sgpr_private_segment_buffer 1
		.amdhsa_user_sgpr_dispatch_ptr 0
		.amdhsa_user_sgpr_queue_ptr 0
		.amdhsa_user_sgpr_kernarg_segment_ptr 1
		.amdhsa_user_sgpr_dispatch_id 0
		.amdhsa_user_sgpr_flat_scratch_init 0
		.amdhsa_user_sgpr_private_segment_size 0
		.amdhsa_wavefront_size32 1
		.amdhsa_uses_dynamic_stack 0
		.amdhsa_system_sgpr_private_segment_wavefront_offset 0
		.amdhsa_system_sgpr_workgroup_id_x 1
		.amdhsa_system_sgpr_workgroup_id_y 1
		.amdhsa_system_sgpr_workgroup_id_z 0
		.amdhsa_system_sgpr_workgroup_info 0
		.amdhsa_system_vgpr_workitem_id 1
		.amdhsa_next_free_vgpr 163
		.amdhsa_next_free_sgpr 15
		.amdhsa_reserve_vcc 1
		.amdhsa_reserve_flat_scratch 0
		.amdhsa_float_round_mode_32 0
		.amdhsa_float_round_mode_16_64 0
		.amdhsa_float_denorm_mode_32 3
		.amdhsa_float_denorm_mode_16_64 3
		.amdhsa_dx10_clamp 1
		.amdhsa_ieee_mode 1
		.amdhsa_fp16_overflow 0
		.amdhsa_workgroup_processor_mode 1
		.amdhsa_memory_ordered 1
		.amdhsa_forward_progress 1
		.amdhsa_shared_vgpr_count 0
		.amdhsa_exception_fp_ieee_invalid_op 0
		.amdhsa_exception_fp_denorm_src 0
		.amdhsa_exception_fp_ieee_div_zero 0
		.amdhsa_exception_fp_ieee_overflow 0
		.amdhsa_exception_fp_ieee_underflow 0
		.amdhsa_exception_fp_ieee_inexact 0
		.amdhsa_exception_int_div_zero 0
	.end_amdhsa_kernel
	.section	.text._ZL12mul_mat_q4_1IN3c104HalfELb0EEvPKvS3_PT_iiiii,"axG",@progbits,_ZL12mul_mat_q4_1IN3c104HalfELb0EEvPKvS3_PT_iiiii,comdat
.Lfunc_end139:
	.size	_ZL12mul_mat_q4_1IN3c104HalfELb0EEvPKvS3_PT_iiiii, .Lfunc_end139-_ZL12mul_mat_q4_1IN3c104HalfELb0EEvPKvS3_PT_iiiii
                                        ; -- End function
	.set _ZL12mul_mat_q4_1IN3c104HalfELb0EEvPKvS3_PT_iiiii.num_vgpr, 163
	.set _ZL12mul_mat_q4_1IN3c104HalfELb0EEvPKvS3_PT_iiiii.num_agpr, 0
	.set _ZL12mul_mat_q4_1IN3c104HalfELb0EEvPKvS3_PT_iiiii.numbered_sgpr, 15
	.set _ZL12mul_mat_q4_1IN3c104HalfELb0EEvPKvS3_PT_iiiii.num_named_barrier, 0
	.set _ZL12mul_mat_q4_1IN3c104HalfELb0EEvPKvS3_PT_iiiii.private_seg_size, 0
	.set _ZL12mul_mat_q4_1IN3c104HalfELb0EEvPKvS3_PT_iiiii.uses_vcc, 1
	.set _ZL12mul_mat_q4_1IN3c104HalfELb0EEvPKvS3_PT_iiiii.uses_flat_scratch, 0
	.set _ZL12mul_mat_q4_1IN3c104HalfELb0EEvPKvS3_PT_iiiii.has_dyn_sized_stack, 0
	.set _ZL12mul_mat_q4_1IN3c104HalfELb0EEvPKvS3_PT_iiiii.has_recursion, 0
	.set _ZL12mul_mat_q4_1IN3c104HalfELb0EEvPKvS3_PT_iiiii.has_indirect_call, 0
	.section	.AMDGPU.csdata,"",@progbits
; Kernel info:
; codeLenInByte = 10840
; TotalNumSgprs: 17
; NumVgprs: 163
; ScratchSize: 0
; MemoryBound: 0
; FloatMode: 240
; IeeeMode: 1
; LDSByteSize: 30336 bytes/workgroup (compile time only)
; SGPRBlocks: 0
; VGPRBlocks: 20
; NumSGPRsForWavesPerEU: 17
; NumVGPRsForWavesPerEU: 163
; Occupancy: 5
; WaveLimiterHint : 0
; COMPUTE_PGM_RSRC2:SCRATCH_EN: 0
; COMPUTE_PGM_RSRC2:USER_SGPR: 6
; COMPUTE_PGM_RSRC2:TRAP_HANDLER: 0
; COMPUTE_PGM_RSRC2:TGID_X_EN: 1
; COMPUTE_PGM_RSRC2:TGID_Y_EN: 1
; COMPUTE_PGM_RSRC2:TGID_Z_EN: 0
; COMPUTE_PGM_RSRC2:TIDIG_COMP_CNT: 1
	.section	.text._ZL12mul_mat_q4_1IN3c104HalfELb1EEvPKvS3_PT_iiiii,"axG",@progbits,_ZL12mul_mat_q4_1IN3c104HalfELb1EEvPKvS3_PT_iiiii,comdat
	.globl	_ZL12mul_mat_q4_1IN3c104HalfELb1EEvPKvS3_PT_iiiii ; -- Begin function _ZL12mul_mat_q4_1IN3c104HalfELb1EEvPKvS3_PT_iiiii
	.p2align	8
	.type	_ZL12mul_mat_q4_1IN3c104HalfELb1EEvPKvS3_PT_iiiii,@function
_ZL12mul_mat_q4_1IN3c104HalfELb1EEvPKvS3_PT_iiiii: ; @_ZL12mul_mat_q4_1IN3c104HalfELb1EEvPKvS3_PT_iiiii
; %bb.0:
	s_clause 0x1
	s_load_dwordx4 s[8:11], s[4:5], 0x18
	s_load_dword s14, s[4:5], 0x28
	s_lshl_b32 s7, s7, 6
	v_add_nc_u32_e32 v31, s7, v1
	s_waitcnt lgkmcnt(0)
	s_cmp_gt_i32 s8, 31
	s_cbranch_scc1 .LBB140_2
; %bb.1:
	v_add_nc_u32_e32 v35, s7, v1
	s_mov_b32 s0, 0
	s_branch .LBB140_3
.LBB140_2:
	s_mov_b32 s0, -1
                                        ; implicit-def: $vgpr35
.LBB140_3:
	s_load_dwordx2 s[12:13], s[4:5], 0x10
	v_mov_b32_e32 v2, 0
	v_mov_b32_e32 v6, 0
	v_mov_b32_e32 v10, 0
	v_mov_b32_e32 v17, 0
	v_mov_b32_e32 v21, 0
	v_mov_b32_e32 v25, 0
	v_mov_b32_e32 v29, 0
	v_mov_b32_e32 v34, 0
	v_mov_b32_e32 v3, 0
	v_mov_b32_e32 v7, 0
	v_mov_b32_e32 v11, 0
	v_mov_b32_e32 v18, 0
	v_mov_b32_e32 v22, 0
	v_mov_b32_e32 v26, 0
	v_mov_b32_e32 v30, 0
	v_mov_b32_e32 v14, 0
	v_mov_b32_e32 v4, 0
	v_mov_b32_e32 v8, 0
	v_mov_b32_e32 v15, 0
	v_mov_b32_e32 v19, 0
	v_mov_b32_e32 v23, 0
	v_mov_b32_e32 v27, 0
	v_mov_b32_e32 v32, 0
	v_mov_b32_e32 v13, 0
	v_mov_b32_e32 v5, 0
	v_mov_b32_e32 v9, 0
	v_mov_b32_e32 v16, 0
	v_mov_b32_e32 v20, 0
	v_mov_b32_e32 v24, 0
	v_mov_b32_e32 v28, 0
	v_mov_b32_e32 v33, 0
	v_mov_b32_e32 v12, 0
	s_andn2_b32 vcc_lo, exec_lo, s0
	s_lshl_b32 s6, s6, 7
	s_cbranch_vccnz .LBB140_14
; %bb.4:
	s_load_dwordx4 s[0:3], s[4:5], 0x0
	s_ashr_i32 s4, s8, 31
	s_ashr_i32 s5, s11, 31
	s_lshr_b32 s4, s4, 27
	s_lshr_b32 s5, s5, 27
	s_add_i32 s4, s8, s4
	s_add_i32 s5, s11, s5
	s_ashr_i32 s4, s4, 5
	s_ashr_i32 s11, s5, 5
	s_mul_i32 s8, s4, s6
	v_add_nc_u32_e32 v9, 8, v1
	s_mul_i32 s5, s8, 20
	s_mul_hi_i32 s8, s8, 20
	v_lshlrev_b32_e32 v2, 2, v0
	v_add_nc_u32_e32 v30, 16, v1
	v_add_nc_u32_e32 v65, 24, v1
	;; [unrolled: 1-line block ×6, first 2 shown]
	s_waitcnt lgkmcnt(0)
	s_add_u32 s5, s0, s5
	s_addc_u32 s8, s1, s8
	s_not_b32 s0, s6
	v_lshrrev_b32_e32 v45, 3, v0
	s_add_i32 s0, s9, s0
	v_add_nc_u32_e32 v28, 24, v31
	v_min_i32_e32 v3, s0, v1
	v_min_i32_e32 v4, s0, v9
	;; [unrolled: 1-line block ×3, first 2 shown]
	v_lshl_add_u32 v54, v1, 2, v45
	s_add_i32 s1, s10, -1
	v_mad_u64_u32 v[10:11], null, 0x84, v3, v[2:3]
	v_mul_lo_u32 v35, v3, s4
	v_mad_u64_u32 v[11:12], null, 0x84, v4, v[2:3]
	v_min_i32_e32 v3, s0, v65
	v_mul_lo_u32 v36, v4, s4
	v_min_i32_e32 v4, s0, v66
	v_mul_lo_u32 v37, v5, s4
	v_min_i32_e32 v63, s0, v54
	v_mad_u64_u32 v[12:13], null, 0x84, v5, v[2:3]
	v_mul_lo_u32 v38, v3, s4
	v_mad_u64_u32 v[13:14], null, 0x84, v3, v[2:3]
	v_min_i32_e32 v3, s0, v67
	v_mul_lo_u32 v39, v4, s4
	v_add_nc_u32_e32 v5, 64, v1
	v_ashrrev_i32_e32 v6, 31, v63
	v_add_nc_u32_e32 v7, 8, v31
	v_mad_u64_u32 v[14:15], null, 0x84, v4, v[2:3]
	v_min_i32_e32 v4, s0, v68
	v_mul_lo_u32 v40, v3, s4
	v_mad_u64_u32 v[15:16], null, 0x84, v3, v[2:3]
	v_min_i32_e32 v3, s0, v69
	v_mul_lo_u32 v41, v4, s4
	v_min_i32_e32 v5, s0, v5
	v_lshrrev_b32_e32 v6, 30, v6
	v_add_nc_u32_e32 v55, 32, v31
	v_mad_u64_u32 v[16:17], null, 0x84, v4, v[2:3]
	v_add_nc_u32_e32 v4, 0x48, v1
	v_mul_lo_u32 v42, v3, s4
	v_mad_u64_u32 v[17:18], null, 0x84, v3, v[2:3]
	v_mul_lo_u32 v43, v5, s4
	v_min_i32_e32 v3, s0, v4
	v_add_nc_u32_e32 v4, 0x50, v1
	v_add_nc_u32_e32 v57, 40, v31
	v_cvt_f64_u32_e32 v[28:29], v28
	v_add_nc_u32_e32 v59, 48, v31
	v_mad_u64_u32 v[18:19], null, 0x84, v5, v[2:3]
	v_add_nc_u32_e32 v5, 0x58, v1
	v_mul_lo_u32 v44, v3, s4
	v_min_i32_e32 v4, s0, v4
	v_mad_u64_u32 v[19:20], null, 0x84, v3, v[2:3]
	v_min_i32_e32 v3, s0, v5
	v_add_nc_u32_e32 v5, 0x60, v1
	v_mul_lo_u32 v46, v4, s4
	v_add_nc_u32_e32 v62, 56, v31
	v_cvt_f64_u32_e32 v[7:8], v7
	v_mad_u64_u32 v[20:21], null, 0x84, v4, v[2:3]
	v_min_i32_e32 v4, s0, v5
	v_add_nc_u32_e32 v5, 0x68, v1
	v_mul_lo_u32 v47, v3, s4
	v_mad_u64_u32 v[21:22], null, 0x84, v3, v[2:3]
	v_mul_lo_u32 v48, v4, s4
	v_min_i32_e32 v3, s0, v5
	v_add_nc_u32_e32 v5, 0x70, v1
	v_cvt_f64_u32_e32 v[55:56], v55
	v_cvt_f64_u32_e32 v[57:58], v57
	v_cvt_f64_u32_e32 v[59:60], v59
	v_mad_u64_u32 v[22:23], null, 0x84, v4, v[2:3]
	v_min_i32_e32 v4, s0, v5
	v_add_nc_u32_e32 v5, 0x78, v1
	v_mul_lo_u32 v49, v3, s4
	v_mad_u64_u32 v[23:24], null, 0x84, v3, v[2:3]
	v_mul_lo_u32 v50, v4, s4
	v_min_i32_e32 v3, s0, v5
	v_add_nc_u32_e32 v5, v63, v6
	v_add_nc_u32_e32 v6, 32, v54
	v_and_b32_e32 v51, 7, v0
	v_mul_lo_u32 v53, v63, s4
	v_mad_u64_u32 v[24:25], null, 0x84, v4, v[2:3]
	v_add_nc_u32_e32 v4, 64, v54
	v_mad_u64_u32 v[25:26], null, 0x84, v3, v[2:3]
	v_min_i32_e32 v71, s0, v6
	v_add_nc_u32_e32 v26, 16, v31
	v_mul_lo_u32 v52, v3, s4
	v_and_b32_e32 v64, -4, v5
	v_min_i32_e32 v72, s0, v4
	v_cvt_f64_i32_e32 v[3:4], s1
	v_cvt_f64_u32_e32 v[5:6], v31
	v_ashrrev_i32_e32 v61, 31, v71
	v_cvt_f64_u32_e32 v[26:27], v26
	v_lshlrev_b32_e32 v70, 2, v51
	v_add_nc_u32_e32 v54, 0x60, v54
	v_lshlrev_b32_e32 v78, 5, v63
	v_lshrrev_b32_e32 v73, 30, v61
	v_cvt_f64_u32_e32 v[61:62], v62
	v_add3_u32 v74, v64, v70, 0x6200
	v_ashrrev_i32_e32 v64, 31, v72
	v_min_i32_e32 v75, s0, v54
	v_add_nc_u32_e32 v63, v71, v73
	v_lshrrev_b32_e32 v33, 2, v0
	v_mul_lo_u32 v54, v71, s4
	v_lshrrev_b32_e32 v64, 30, v64
	v_ashrrev_i32_e32 v73, 31, v75
	v_and_b32_e32 v76, -4, v63
	v_lshlrev_b32_e32 v83, 5, v71
	v_and_b32_e32 v71, 0xfc, v0
	v_add_nc_u32_e32 v77, v72, v64
	v_lshrrev_b32_e32 v73, 30, v73
	v_min_f64 v[28:29], v[28:29], v[3:4]
	v_min_f64 v[5:6], v[5:6], v[3:4]
	;; [unrolled: 1-line block ×7, first 2 shown]
	v_add_nc_u32_e32 v56, v75, v73
	v_min_f64 v[3:4], v[61:62], v[3:4]
	v_and_b32_e32 v73, -4, v77
	v_add3_u32 v80, v76, v70, 0x6200
	v_lshl_add_u32 v62, v1, 3, v33
	v_and_b32_e32 v61, -4, v56
	v_and_b32_e32 v34, 12, v2
	v_add3_u32 v84, v73, v70, 0x6200
	v_and_b32_e32 v2, 28, v2
	v_lshlrev_b32_e32 v87, 5, v72
	v_add3_u32 v70, v61, v70, 0x6200
	v_mul_lo_u32 v55, v72, s4
	v_mul_lo_u32 v56, v75, s4
	v_mov_b32_e32 v32, 0
	v_lshl_add_u32 v73, v1, 4, 0x7280
	v_cvt_i32_f64_e32 v28, v[28:29]
	v_cvt_i32_f64_e32 v6, v[5:6]
	;; [unrolled: 1-line block ×4, first 2 shown]
	v_and_b32_e32 v8, 63, v62
	v_and_b32_e32 v5, 3, v0
	v_cvt_i32_f64_e32 v62, v[63:64]
	v_cvt_i32_f64_e32 v63, v[57:58]
	v_cvt_i32_f64_e32 v3, v[3:4]
	v_or_b32_e32 v26, s7, v8
	v_cvt_i32_f64_e32 v64, v[59:60]
	v_lshlrev_b32_e32 v27, 2, v5
	v_and_b32_e32 v57, 31, v0
	v_lshlrev_b32_e32 v29, 5, v75
	v_min_i32_e32 v4, s1, v26
	v_mad_u32_u24 v76, 0x84, v0, 64
	v_lshl_or_b32 v8, v8, 4, v27
	v_lshl_or_b32 v89, v57, 2, 0x4200
	v_add_nc_u32_e32 v85, v74, v78
	v_add_nc_u32_e32 v86, v80, v83
	;; [unrolled: 1-line block ×4, first 2 shown]
	v_lshlrev_b32_e32 v8, 7, v66
	v_mad_u64_u32 v[26:27], null, v4, s11, v[5:6]
	v_lshlrev_b32_e32 v5, 7, v9
	v_mul_lo_u32 v60, s11, v61
	v_mul_lo_u32 v61, s11, v28
	v_lshlrev_b32_e32 v9, 7, v67
	v_add_nc_u32_e32 v27, 0x60, v0
	v_add_nc_u32_e32 v28, 64, v0
	v_add_nc_u32_e32 v67, 32, v0
	v_mul_lo_u32 v58, s11, v6
	v_mul_lo_u32 v59, s11, v7
	v_lshlrev_b32_e32 v6, 7, v30
	v_lshlrev_b32_e32 v7, 7, v65
	;; [unrolled: 1-line block ×3, first 2 shown]
	v_mul_lo_u32 v65, s11, v3
	v_lshlrev_b32_e32 v3, 7, v69
	v_lshlrev_b32_e32 v68, 5, v0
	v_and_b32_e32 v27, 0x1fc, v27
	v_and_b32_e32 v28, 0x1fc, v28
	;; [unrolled: 1-line block ×3, first 2 shown]
	v_lshlrev_b32_e32 v4, 7, v1
	v_add_nc_u32_e32 v82, v68, v71
	v_add_nc_u32_e32 v77, v68, v27
	;; [unrolled: 1-line block ×4, first 2 shown]
	v_mul_lo_u32 v62, s11, v62
	v_mul_lo_u32 v63, s11, v63
	;; [unrolled: 1-line block ×3, first 2 shown]
	v_add_co_u32 v27, s0, s2, v2
	v_mul_u32_u24_e32 v66, 0x84, v0
	v_lshrrev_b32_e32 v67, 3, v67
	v_add_co_ci_u32_e64 v28, null, s3, 0, s0
	v_add_nc_u32_e32 v68, 0x6e00, v77
	v_add_nc_u32_e32 v69, 0x6a00, v79
	;; [unrolled: 1-line block ×18, first 2 shown]
	v_mov_b32_e32 v99, 0
	v_mov_b32_e32 v93, 0
	;; [unrolled: 1-line block ×31, first 2 shown]
	s_add_i32 s9, s4, 3
	s_mov_b32 s11, 0
	s_branch .LBB140_6
.LBB140_5:                              ;   in Loop: Header=BB140_6 Depth=1
	s_add_i32 s11, s11, 8
	s_add_i32 s9, s9, -8
	s_cmp_ge_i32 s11, s4
	s_cbranch_scc1 .LBB140_13
.LBB140_6:                              ; =>This Loop Header: Depth=1
                                        ;     Child Loop BB140_8 Depth 2
                                        ;     Child Loop BB140_11 Depth 2
	s_mul_i32 s0, s11, 20
	s_mul_hi_u32 s1, s11, 20
	s_add_u32 s0, s5, s0
	s_addc_u32 s1, s8, s1
	s_cmp_gt_u32 s9, 3
	v_mad_u64_u32 v[2:3], null, v33, 20, s[0:1]
	v_mad_i64_i32 v[4:5], null, v35, 20, v[2:3]
	v_add_co_u32 v4, vcc_lo, v4, v34
	v_add_co_ci_u32_e64 v5, null, 0, v5, vcc_lo
	global_load_dword v4, v[4:5], off offset:4
	s_waitcnt vmcnt(0)
	ds_write_b32 v10, v4
	v_mad_i64_i32 v[4:5], null, v36, 20, v[2:3]
	v_add_co_u32 v4, vcc_lo, v4, v34
	v_add_co_ci_u32_e64 v5, null, 0, v5, vcc_lo
	global_load_dword v4, v[4:5], off offset:4
	s_waitcnt vmcnt(0)
	ds_write_b32 v11, v4
	;; [unrolled: 6-line block ×14, first 2 shown]
	v_mad_i64_i32 v[4:5], null, v50, 20, v[2:3]
	v_mad_i64_i32 v[2:3], null, v52, 20, v[2:3]
	v_add_co_u32 v4, vcc_lo, v4, v34
	v_add_co_ci_u32_e64 v5, null, 0, v5, vcc_lo
	v_add_co_u32 v2, vcc_lo, v2, v34
	v_add_co_ci_u32_e64 v3, null, 0, v3, vcc_lo
	s_clause 0x1
	global_load_dword v4, v[4:5], off offset:4
	global_load_dword v2, v[2:3], off offset:4
	s_waitcnt vmcnt(1)
	ds_write_b32 v24, v4
	s_waitcnt vmcnt(0)
	ds_write_b32 v25, v2
	v_mad_u64_u32 v[2:3], null, v51, 20, s[0:1]
	v_mad_i64_i32 v[4:5], null, v53, 20, v[2:3]
	global_load_dword v4, v[4:5], off
	s_waitcnt vmcnt(0)
	ds_write_b32 v85, v4
	v_mad_i64_i32 v[4:5], null, v54, 20, v[2:3]
	global_load_dword v4, v[4:5], off
	s_waitcnt vmcnt(0)
	ds_write_b32 v86, v4
	v_mad_i64_i32 v[4:5], null, v55, 20, v[2:3]
	v_mad_i64_i32 v[2:3], null, v56, 20, v[2:3]
	s_clause 0x1
	global_load_dword v4, v[4:5], off
	global_load_dword v2, v[2:3], off
	s_waitcnt vmcnt(1)
	ds_write_b32 v88, v4
	s_waitcnt vmcnt(0)
	ds_write_b32 v90, v2
	s_cbranch_scc0 .LBB140_5
; %bb.7:                                ;   in Loop: Header=BB140_6 Depth=1
	v_add_nc_u32_e32 v5, s11, v45
	v_add_nc_u32_e32 v4, s11, v26
	v_mov_b32_e32 v6, v73
	v_mov_b32_e32 v7, v72
	;; [unrolled: 1-line block ×3, first 2 shown]
	v_add_nc_u32_e32 v2, v5, v58
	v_mov_b32_e32 v9, v69
	v_mov_b32_e32 v29, v68
	;; [unrolled: 1-line block ×3, first 2 shown]
	s_mov_b32 s0, -4
	v_mad_i64_i32 v[2:3], null, v2, 36, v[27:28]
	global_load_dword v2, v[2:3], off offset:4
	s_waitcnt vmcnt(0)
	ds_write_b32 v92, v2
	v_add_nc_u32_e32 v2, v5, v59
	v_mad_i64_i32 v[2:3], null, v2, 36, v[27:28]
	global_load_dword v2, v[2:3], off offset:4
	s_waitcnt vmcnt(0)
	ds_write_b32 v94, v2
	v_add_nc_u32_e32 v2, v5, v60
	;; [unrolled: 5-line block ×7, first 2 shown]
	v_mov_b32_e32 v5, v75
	v_mad_i64_i32 v[2:3], null, v2, 36, v[27:28]
	global_load_dword v2, v[2:3], off offset:4
	s_waitcnt vmcnt(0)
	ds_write_b32 v106, v2
	v_mad_u64_u32 v[2:3], null, v4, 36, s[2:3]
	global_load_dword v2, v[2:3], off
	s_waitcnt vmcnt(0)
	ds_write_b32 v57, v2
	s_waitcnt lgkmcnt(0)
	s_barrier
	buffer_gl0_inv
.LBB140_8:                              ;   Parent Loop BB140_6 Depth=1
                                        ; =>  This Inner Loop Header: Depth=2
	ds_read_b128 v[155:158], v5
	ds_read_b128 v[159:162], v5 offset:16
	ds_read2_b32 v[2:3], v6 offset1:32
	ds_read_b32 v122, v7
	ds_read2_b32 v[123:124], v30 offset1:1
	v_mov_b32_e32 v127, 0
	v_add_nc_u32_e32 v146, 0x2108, v30
	v_mov_b32_e32 v163, 0
	v_add_nc_u32_e32 v154, 0x3188, v30
	v_add_nc_u32_e32 v7, 4, v7
	s_add_i32 s0, s0, 4
	s_cmp_lt_u32 s0, 12
	s_waitcnt lgkmcnt(1)
	v_pk_mul_f16 v166, v122, v3
	s_waitcnt lgkmcnt(0)
	v_and_b32_e32 v125, 0xf0f0f0f, v123
	v_lshrrev_b32_e32 v123, 4, v123
	v_and_b32_e32 v130, 0xf0f0f0f, v124
	v_dot4c_i32_i8 v127, v125, v155
	v_and_b32_e32 v126, 0xf0f0f0f, v123
	v_lshrrev_b32_e32 v123, 4, v124
	v_dot4c_i32_i8 v127, v126, v159
	v_and_b32_e32 v131, 0xf0f0f0f, v123
	ds_read2_b32 v[123:124], v30 offset0:2 offset1:3
	v_dot4c_i32_i8 v127, v130, v156
	v_dot4c_i32_i8 v127, v131, v160
	s_waitcnt lgkmcnt(0)
	v_and_b32_e32 v134, 0xf0f0f0f, v123
	v_lshrrev_b32_e32 v123, 4, v123
	v_and_b32_e32 v136, 0xf0f0f0f, v124
	v_dot4c_i32_i8 v127, v134, v157
	v_and_b32_e32 v135, 0xf0f0f0f, v123
	v_lshrrev_b32_e32 v123, 4, v124
	v_dot4c_i32_i8 v127, v135, v161
	v_and_b32_e32 v137, 0xf0f0f0f, v123
	v_pk_mul_f16 v123, v2, v122
	v_dot4c_i32_i8 v127, v136, v158
	v_dot4c_i32_i8 v127, v137, v162
	v_cvt_f32_i32_e32 v124, v127
	v_fma_mix_f32 v123, v123, v124, v123 op_sel:[0,0,1] op_sel_hi:[1,0,1]
	v_add_nc_u32_e32 v124, 0x1080, v30
	v_add_f32_e32 v32, v32, v123
	ds_read_b32 v123, v8
	ds_read2_b32 v[128:129], v124 offset1:1
	v_add_nc_u32_e32 v8, 4, v8
	s_waitcnt lgkmcnt(0)
	v_and_b32_e32 v132, 0xf0f0f0f, v129
	v_lshrrev_b32_e32 v129, 4, v129
	v_lshrrev_b32_e32 v124, 4, v128
	v_and_b32_e32 v127, 0xf0f0f0f, v128
	v_and_b32_e32 v133, 0xf0f0f0f, v129
	v_add_nc_u32_e32 v129, 0x1088, v30
	v_and_b32_e32 v128, 0xf0f0f0f, v124
	v_mov_b32_e32 v124, 0
	ds_read2_b32 v[140:141], v129 offset1:1
	v_dot4c_i32_i8 v124, v127, v155
	v_dot4c_i32_i8 v124, v128, v159
	;; [unrolled: 1-line block ×4, first 2 shown]
	s_waitcnt lgkmcnt(0)
	v_and_b32_e32 v138, 0xf0f0f0f, v140
	v_lshrrev_b32_e32 v129, 4, v140
	v_and_b32_e32 v140, 0xf0f0f0f, v141
	v_dot4c_i32_i8 v124, v138, v157
	v_and_b32_e32 v139, 0xf0f0f0f, v129
	v_lshrrev_b32_e32 v129, 4, v141
	v_dot4c_i32_i8 v124, v139, v161
	v_and_b32_e32 v141, 0xf0f0f0f, v129
	v_pk_mul_f16 v129, v2, v123
	v_dot4c_i32_i8 v124, v140, v158
	v_dot4c_i32_i8 v124, v141, v162
	v_cvt_f32_i32_e32 v124, v124
	v_fma_mix_f32 v124, v129, v124, v129 op_sel:[0,0,1] op_sel_hi:[1,0,1]
	v_add_f32_e32 v113, v113, v124
	v_add_nc_u32_e32 v124, 0x2100, v30
	ds_read_b32 v129, v9
	ds_read2_b32 v[144:145], v124 offset1:1
	ds_read2_b32 v[148:149], v146 offset1:1
	v_add_nc_u32_e32 v9, 4, v9
	s_waitcnt lgkmcnt(2)
	v_pk_mul_f16 v150, v2, v129
	s_waitcnt lgkmcnt(1)
	v_lshrrev_b32_e32 v124, 4, v144
	v_and_b32_e32 v142, 0xf0f0f0f, v144
	v_and_b32_e32 v144, 0xf0f0f0f, v145
	v_lshrrev_b32_e32 v145, 4, v145
	s_waitcnt lgkmcnt(0)
	v_and_b32_e32 v146, 0xf0f0f0f, v148
	v_and_b32_e32 v143, 0xf0f0f0f, v124
	v_mov_b32_e32 v124, 0
	v_lshrrev_b32_e32 v147, 4, v148
	v_and_b32_e32 v145, 0xf0f0f0f, v145
	v_and_b32_e32 v148, 0xf0f0f0f, v149
	v_lshrrev_b32_e32 v149, 4, v149
	v_dot4c_i32_i8 v124, v142, v155
	v_and_b32_e32 v147, 0xf0f0f0f, v147
	v_and_b32_e32 v149, 0xf0f0f0f, v149
	v_dot4c_i32_i8 v124, v143, v159
	v_dot4c_i32_i8 v124, v144, v156
	;; [unrolled: 1-line block ×7, first 2 shown]
	v_cvt_f32_i32_e32 v124, v124
	v_fma_mix_f32 v124, v150, v124, v150 op_sel:[0,0,1] op_sel_hi:[1,0,1]
	v_add_nc_u32_e32 v150, 0x3180, v30
	v_add_nc_u32_e32 v30, 16, v30
	v_add_f32_e32 v118, v118, v124
	ds_read_b32 v124, v29
	ds_read2_b32 v[152:153], v150 offset1:1
	v_add_nc_u32_e32 v29, 4, v29
	s_waitcnt lgkmcnt(1)
	v_pk_mul_f16 v2, v2, v124
	s_waitcnt lgkmcnt(0)
	v_and_b32_e32 v150, 0xf0f0f0f, v152
	v_lshrrev_b32_e32 v151, 4, v152
	v_and_b32_e32 v152, 0xf0f0f0f, v153
	v_lshrrev_b32_e32 v153, 4, v153
	v_dot4c_i32_i8 v163, v150, v155
	v_and_b32_e32 v151, 0xf0f0f0f, v151
	v_and_b32_e32 v153, 0xf0f0f0f, v153
	v_dot4c_i32_i8 v163, v151, v159
	v_dot4c_i32_i8 v163, v152, v156
	;; [unrolled: 1-line block ×3, first 2 shown]
	ds_read2_b32 v[159:160], v154 offset1:1
	s_waitcnt lgkmcnt(0)
	v_and_b32_e32 v154, 0xf0f0f0f, v159
	v_lshrrev_b32_e32 v155, 4, v159
	v_and_b32_e32 v156, 0xf0f0f0f, v160
	v_dot4c_i32_i8 v163, v154, v157
	v_and_b32_e32 v155, 0xf0f0f0f, v155
	v_lshrrev_b32_e32 v157, 4, v160
	v_dot4c_i32_i8 v163, v155, v161
	v_and_b32_e32 v157, 0xf0f0f0f, v157
	v_dot4c_i32_i8 v163, v156, v158
	v_dot4c_i32_i8 v163, v157, v162
	v_cvt_f32_i32_e32 v158, v163
	v_fma_mix_f32 v2, v2, v158, v2 op_sel:[0,0,1] op_sel_hi:[1,0,1]
	ds_read_b128 v[158:161], v5 offset:1024
	ds_read_b128 v[162:165], v5 offset:1040
	v_add_f32_e32 v121, v121, v2
	v_mov_b32_e32 v2, 0
	s_waitcnt lgkmcnt(1)
	v_dot4c_i32_i8 v2, v125, v158
	s_waitcnt lgkmcnt(0)
	v_dot4c_i32_i8 v2, v126, v162
	v_dot4c_i32_i8 v2, v130, v159
	;; [unrolled: 1-line block ×7, first 2 shown]
	v_cvt_f32_i32_e32 v2, v2
	v_fma_mix_f32 v2, v2, v166, v166 op_sel:[0,0,1] op_sel_hi:[0,1,1]
	v_pk_mul_f16 v166, v123, v3
	v_add_f32_e32 v99, v99, v2
	v_mov_b32_e32 v2, 0
	v_dot4c_i32_i8 v2, v127, v158
	v_dot4c_i32_i8 v2, v128, v162
	;; [unrolled: 1-line block ×8, first 2 shown]
	v_cvt_f32_i32_e32 v2, v2
	v_fma_mix_f32 v2, v2, v166, v166 op_sel:[0,0,1] op_sel_hi:[0,1,1]
	v_pk_mul_f16 v166, v129, v3
	v_pk_mul_f16 v3, v124, v3
	v_add_f32_e32 v110, v110, v2
	v_mov_b32_e32 v2, 0
	v_dot4c_i32_i8 v2, v142, v158
	v_dot4c_i32_i8 v2, v143, v162
	;; [unrolled: 1-line block ×8, first 2 shown]
	v_cvt_f32_i32_e32 v2, v2
	v_fma_mix_f32 v2, v2, v166, v166 op_sel:[0,0,1] op_sel_hi:[0,1,1]
	v_mov_b32_e32 v166, 0
	v_add_f32_e32 v116, v116, v2
	v_mov_b32_e32 v2, 0
	v_dot4c_i32_i8 v2, v150, v158
	v_dot4c_i32_i8 v2, v151, v162
	;; [unrolled: 1-line block ×8, first 2 shown]
	v_cvt_f32_i32_e32 v2, v2
	v_fma_mix_f32 v2, v2, v3, v3 op_sel:[0,0,1] op_sel_hi:[0,1,1]
	v_add_f32_e32 v120, v120, v2
	ds_read_b128 v[158:161], v5 offset:2048
	ds_read_b128 v[162:165], v5 offset:2064
	ds_read2_b32 v[2:3], v6 offset0:64 offset1:96
	s_waitcnt lgkmcnt(2)
	v_dot4c_i32_i8 v166, v125, v158
	s_waitcnt lgkmcnt(0)
	v_pk_mul_f16 v167, v122, v2
	v_dot4c_i32_i8 v166, v126, v162
	v_dot4c_i32_i8 v166, v130, v159
	v_dot4c_i32_i8 v166, v131, v163
	v_dot4c_i32_i8 v166, v134, v160
	v_dot4c_i32_i8 v166, v135, v164
	v_dot4c_i32_i8 v166, v136, v161
	v_dot4c_i32_i8 v166, v137, v165
	v_cvt_f32_i32_e32 v166, v166
	v_fma_mix_f32 v166, v166, v167, v167 op_sel:[0,0,1] op_sel_hi:[0,1,1]
	v_pk_mul_f16 v167, v123, v2
	v_add_f32_e32 v93, v93, v166
	v_mov_b32_e32 v166, 0
	v_dot4c_i32_i8 v166, v127, v158
	v_dot4c_i32_i8 v166, v128, v162
	v_dot4c_i32_i8 v166, v132, v159
	v_dot4c_i32_i8 v166, v133, v163
	v_dot4c_i32_i8 v166, v138, v160
	v_dot4c_i32_i8 v166, v139, v164
	v_dot4c_i32_i8 v166, v140, v161
	v_dot4c_i32_i8 v166, v141, v165
	v_cvt_f32_i32_e32 v166, v166
	v_fma_mix_f32 v166, v166, v167, v167 op_sel:[0,0,1] op_sel_hi:[0,1,1]
	v_pk_mul_f16 v167, v129, v2
	v_pk_mul_f16 v2, v124, v2
	v_add_f32_e32 v107, v107, v166
	v_mov_b32_e32 v166, 0
	v_dot4c_i32_i8 v166, v142, v158
	v_dot4c_i32_i8 v166, v143, v162
	;; [unrolled: 1-line block ×8, first 2 shown]
	v_cvt_f32_i32_e32 v166, v166
	v_fma_mix_f32 v166, v166, v167, v167 op_sel:[0,0,1] op_sel_hi:[0,1,1]
	v_add_f32_e32 v114, v114, v166
	v_mov_b32_e32 v166, 0
	v_dot4c_i32_i8 v166, v150, v158
	v_dot4c_i32_i8 v166, v151, v162
	;; [unrolled: 1-line block ×8, first 2 shown]
	v_cvt_f32_i32_e32 v158, v166
	v_pk_mul_f16 v166, v122, v3
	v_fma_mix_f32 v2, v158, v2, v2 op_sel:[0,0,1] op_sel_hi:[0,1,1]
	ds_read_b128 v[158:161], v5 offset:3072
	ds_read_b128 v[162:165], v5 offset:3088
	v_add_f32_e32 v119, v119, v2
	v_mov_b32_e32 v2, 0
	s_waitcnt lgkmcnt(1)
	v_dot4c_i32_i8 v2, v125, v158
	s_waitcnt lgkmcnt(0)
	v_dot4c_i32_i8 v2, v126, v162
	v_dot4c_i32_i8 v2, v130, v159
	;; [unrolled: 1-line block ×7, first 2 shown]
	v_cvt_f32_i32_e32 v2, v2
	v_fma_mix_f32 v2, v2, v166, v166 op_sel:[0,0,1] op_sel_hi:[0,1,1]
	v_pk_mul_f16 v166, v123, v3
	v_add_f32_e32 v87, v87, v2
	v_mov_b32_e32 v2, 0
	v_dot4c_i32_i8 v2, v127, v158
	v_dot4c_i32_i8 v2, v128, v162
	;; [unrolled: 1-line block ×8, first 2 shown]
	v_cvt_f32_i32_e32 v2, v2
	v_fma_mix_f32 v2, v2, v166, v166 op_sel:[0,0,1] op_sel_hi:[0,1,1]
	v_pk_mul_f16 v166, v129, v3
	v_pk_mul_f16 v3, v124, v3
	v_add_f32_e32 v101, v101, v2
	v_mov_b32_e32 v2, 0
	v_dot4c_i32_i8 v2, v142, v158
	v_dot4c_i32_i8 v2, v143, v162
	v_dot4c_i32_i8 v2, v144, v159
	v_dot4c_i32_i8 v2, v145, v163
	v_dot4c_i32_i8 v2, v146, v160
	v_dot4c_i32_i8 v2, v147, v164
	v_dot4c_i32_i8 v2, v148, v161
	v_dot4c_i32_i8 v2, v149, v165
	v_cvt_f32_i32_e32 v2, v2
	v_fma_mix_f32 v2, v2, v166, v166 op_sel:[0,0,1] op_sel_hi:[0,1,1]
	v_mov_b32_e32 v166, 0
	v_add_f32_e32 v111, v111, v2
	v_mov_b32_e32 v2, 0
	v_dot4c_i32_i8 v2, v150, v158
	v_dot4c_i32_i8 v2, v151, v162
	;; [unrolled: 1-line block ×8, first 2 shown]
	v_cvt_f32_i32_e32 v2, v2
	v_fma_mix_f32 v2, v2, v3, v3 op_sel:[0,0,1] op_sel_hi:[0,1,1]
	v_add_f32_e32 v117, v117, v2
	ds_read_b128 v[158:161], v5 offset:4096
	ds_read_b128 v[162:165], v5 offset:4112
	ds_read2_b32 v[2:3], v6 offset0:128 offset1:160
	s_waitcnt lgkmcnt(2)
	v_dot4c_i32_i8 v166, v125, v158
	s_waitcnt lgkmcnt(0)
	v_pk_mul_f16 v167, v122, v2
	v_dot4c_i32_i8 v166, v126, v162
	v_dot4c_i32_i8 v166, v130, v159
	;; [unrolled: 1-line block ×7, first 2 shown]
	v_cvt_f32_i32_e32 v166, v166
	v_fma_mix_f32 v166, v166, v167, v167 op_sel:[0,0,1] op_sel_hi:[0,1,1]
	v_pk_mul_f16 v167, v123, v2
	v_add_f32_e32 v83, v83, v166
	v_mov_b32_e32 v166, 0
	v_dot4c_i32_i8 v166, v127, v158
	v_dot4c_i32_i8 v166, v128, v162
	;; [unrolled: 1-line block ×8, first 2 shown]
	v_cvt_f32_i32_e32 v166, v166
	v_fma_mix_f32 v166, v166, v167, v167 op_sel:[0,0,1] op_sel_hi:[0,1,1]
	v_pk_mul_f16 v167, v129, v2
	v_pk_mul_f16 v2, v124, v2
	v_add_f32_e32 v95, v95, v166
	v_mov_b32_e32 v166, 0
	v_dot4c_i32_i8 v166, v142, v158
	v_dot4c_i32_i8 v166, v143, v162
	;; [unrolled: 1-line block ×8, first 2 shown]
	v_cvt_f32_i32_e32 v166, v166
	v_fma_mix_f32 v166, v166, v167, v167 op_sel:[0,0,1] op_sel_hi:[0,1,1]
	v_add_f32_e32 v108, v108, v166
	v_mov_b32_e32 v166, 0
	v_dot4c_i32_i8 v166, v150, v158
	v_dot4c_i32_i8 v166, v151, v162
	;; [unrolled: 1-line block ×8, first 2 shown]
	v_cvt_f32_i32_e32 v158, v166
	v_pk_mul_f16 v166, v122, v3
	v_fma_mix_f32 v2, v158, v2, v2 op_sel:[0,0,1] op_sel_hi:[0,1,1]
	ds_read_b128 v[158:161], v5 offset:5120
	ds_read_b128 v[162:165], v5 offset:5136
	v_add_f32_e32 v115, v115, v2
	v_mov_b32_e32 v2, 0
	s_waitcnt lgkmcnt(1)
	v_dot4c_i32_i8 v2, v125, v158
	s_waitcnt lgkmcnt(0)
	v_dot4c_i32_i8 v2, v126, v162
	v_dot4c_i32_i8 v2, v130, v159
	;; [unrolled: 1-line block ×7, first 2 shown]
	v_cvt_f32_i32_e32 v2, v2
	v_fma_mix_f32 v2, v2, v166, v166 op_sel:[0,0,1] op_sel_hi:[0,1,1]
	v_pk_mul_f16 v166, v123, v3
	v_add_f32_e32 v78, v78, v2
	v_mov_b32_e32 v2, 0
	v_dot4c_i32_i8 v2, v127, v158
	v_dot4c_i32_i8 v2, v128, v162
	;; [unrolled: 1-line block ×8, first 2 shown]
	v_cvt_f32_i32_e32 v2, v2
	v_fma_mix_f32 v2, v2, v166, v166 op_sel:[0,0,1] op_sel_hi:[0,1,1]
	v_pk_mul_f16 v166, v129, v3
	v_pk_mul_f16 v3, v124, v3
	v_add_f32_e32 v89, v89, v2
	v_mov_b32_e32 v2, 0
	v_dot4c_i32_i8 v2, v142, v158
	v_dot4c_i32_i8 v2, v143, v162
	;; [unrolled: 1-line block ×8, first 2 shown]
	v_cvt_f32_i32_e32 v2, v2
	v_fma_mix_f32 v2, v2, v166, v166 op_sel:[0,0,1] op_sel_hi:[0,1,1]
	v_mov_b32_e32 v166, 0
	v_add_f32_e32 v103, v103, v2
	v_mov_b32_e32 v2, 0
	v_dot4c_i32_i8 v2, v150, v158
	v_dot4c_i32_i8 v2, v151, v162
	;; [unrolled: 1-line block ×8, first 2 shown]
	v_cvt_f32_i32_e32 v2, v2
	v_fma_mix_f32 v2, v2, v3, v3 op_sel:[0,0,1] op_sel_hi:[0,1,1]
	v_add_f32_e32 v112, v112, v2
	ds_read_b128 v[158:161], v5 offset:6144
	ds_read_b128 v[162:165], v5 offset:6160
	ds_read2_b32 v[2:3], v6 offset0:192 offset1:224
	v_add_nc_u32_e32 v6, 4, v6
	s_waitcnt lgkmcnt(2)
	v_dot4c_i32_i8 v166, v125, v158
	s_waitcnt lgkmcnt(0)
	v_pk_mul_f16 v167, v122, v2
	v_pk_mul_f16 v122, v122, v3
	v_dot4c_i32_i8 v166, v126, v162
	v_dot4c_i32_i8 v166, v130, v159
	;; [unrolled: 1-line block ×7, first 2 shown]
	v_cvt_f32_i32_e32 v166, v166
	v_fma_mix_f32 v166, v166, v167, v167 op_sel:[0,0,1] op_sel_hi:[0,1,1]
	v_pk_mul_f16 v167, v123, v2
	v_add_f32_e32 v74, v74, v166
	v_mov_b32_e32 v166, 0
	v_dot4c_i32_i8 v166, v127, v158
	v_dot4c_i32_i8 v166, v128, v162
	;; [unrolled: 1-line block ×8, first 2 shown]
	v_cvt_f32_i32_e32 v166, v166
	v_fma_mix_f32 v166, v166, v167, v167 op_sel:[0,0,1] op_sel_hi:[0,1,1]
	v_pk_mul_f16 v167, v129, v2
	v_pk_mul_f16 v2, v124, v2
	v_add_f32_e32 v84, v84, v166
	v_mov_b32_e32 v166, 0
	v_dot4c_i32_i8 v166, v142, v158
	v_dot4c_i32_i8 v166, v143, v162
	;; [unrolled: 1-line block ×8, first 2 shown]
	v_cvt_f32_i32_e32 v166, v166
	v_fma_mix_f32 v166, v166, v167, v167 op_sel:[0,0,1] op_sel_hi:[0,1,1]
	v_add_f32_e32 v97, v97, v166
	v_mov_b32_e32 v166, 0
	v_dot4c_i32_i8 v166, v150, v158
	v_dot4c_i32_i8 v166, v151, v162
	;; [unrolled: 1-line block ×8, first 2 shown]
	v_cvt_f32_i32_e32 v158, v166
	v_fma_mix_f32 v2, v158, v2, v2 op_sel:[0,0,1] op_sel_hi:[0,1,1]
	ds_read_b128 v[158:161], v5 offset:7168
	ds_read_b128 v[162:165], v5 offset:7184
	v_add_nc_u32_e32 v5, 32, v5
	v_add_f32_e32 v109, v109, v2
	v_mov_b32_e32 v2, 0
	s_waitcnt lgkmcnt(1)
	v_dot4c_i32_i8 v2, v125, v158
	s_waitcnt lgkmcnt(0)
	v_dot4c_i32_i8 v2, v126, v162
	v_dot4c_i32_i8 v2, v130, v159
	v_dot4c_i32_i8 v2, v131, v163
	v_dot4c_i32_i8 v2, v134, v160
	v_dot4c_i32_i8 v2, v135, v164
	v_dot4c_i32_i8 v2, v136, v161
	v_dot4c_i32_i8 v2, v137, v165
	v_cvt_f32_i32_e32 v2, v2
	v_fma_mix_f32 v2, v2, v122, v122 op_sel:[0,0,1] op_sel_hi:[0,1,1]
	v_pk_mul_f16 v122, v123, v3
	v_add_f32_e32 v70, v70, v2
	v_mov_b32_e32 v2, 0
	v_dot4c_i32_i8 v2, v127, v158
	v_dot4c_i32_i8 v2, v128, v162
	;; [unrolled: 1-line block ×8, first 2 shown]
	v_cvt_f32_i32_e32 v2, v2
	v_fma_mix_f32 v2, v2, v122, v122 op_sel:[0,0,1] op_sel_hi:[0,1,1]
	v_pk_mul_f16 v122, v129, v3
	v_pk_mul_f16 v3, v124, v3
	v_add_f32_e32 v80, v80, v2
	v_mov_b32_e32 v2, 0
	v_dot4c_i32_i8 v2, v142, v158
	v_dot4c_i32_i8 v2, v143, v162
	v_dot4c_i32_i8 v2, v144, v159
	v_dot4c_i32_i8 v2, v145, v163
	v_dot4c_i32_i8 v2, v146, v160
	v_dot4c_i32_i8 v2, v147, v164
	v_dot4c_i32_i8 v2, v148, v161
	v_dot4c_i32_i8 v2, v149, v165
	v_cvt_f32_i32_e32 v2, v2
	v_fma_mix_f32 v2, v2, v122, v122 op_sel:[0,0,1] op_sel_hi:[0,1,1]
	v_add_f32_e32 v91, v91, v2
	v_mov_b32_e32 v2, 0
	v_dot4c_i32_i8 v2, v150, v158
	v_dot4c_i32_i8 v2, v151, v162
	;; [unrolled: 1-line block ×8, first 2 shown]
	v_cvt_f32_i32_e32 v2, v2
	v_fma_mix_f32 v2, v2, v3, v3 op_sel:[0,0,1] op_sel_hi:[0,1,1]
	v_add_f32_e32 v105, v105, v2
	s_cbranch_scc1 .LBB140_8
; %bb.9:                                ;   in Loop: Header=BB140_6 Depth=1
	s_and_b32 s0, s9, -4
	s_cmp_eq_u32 s0, 4
	s_barrier
	buffer_gl0_inv
	s_cbranch_scc1 .LBB140_5
; %bb.10:                               ;   in Loop: Header=BB140_6 Depth=1
	v_add_nc_u32_e32 v9, s11, v67
	v_add_nc_u32_e32 v4, 4, v4
	s_mov_b32 s0, 12
	v_add_nc_u32_e32 v2, v9, v58
	v_add_nc_u32_e32 v5, v9, v59
	;; [unrolled: 1-line block ×5, first 2 shown]
	v_mad_u64_u32 v[124:125], null, v4, 36, s[2:3]
	v_mad_i64_i32 v[2:3], null, v2, 36, v[27:28]
	v_add_nc_u32_e32 v126, v9, v63
	v_mad_i64_i32 v[5:6], null, v5, 36, v[27:28]
	v_add_nc_u32_e32 v128, v9, v64
	;; [unrolled: 2-line block ×3, first 2 shown]
	v_mad_i64_i32 v[29:30], null, v29, 36, v[27:28]
	v_mad_i64_i32 v[122:123], null, v122, 36, v[27:28]
	;; [unrolled: 1-line block ×5, first 2 shown]
	s_clause 0x8
	global_load_dword v4, v[124:125], off
	global_load_dword v2, v[2:3], off offset:4
	global_load_dword v3, v[5:6], off offset:4
	;; [unrolled: 1-line block ×8, first 2 shown]
	v_mov_b32_e32 v122, v73
	v_mov_b32_e32 v123, v75
	;; [unrolled: 1-line block ×7, first 2 shown]
	s_waitcnt vmcnt(8)
	ds_write_b32 v57, v4
	s_waitcnt vmcnt(7)
	ds_write_b32 v92, v2
	;; [unrolled: 2-line block ×9, first 2 shown]
	s_waitcnt lgkmcnt(0)
	s_barrier
	buffer_gl0_inv
.LBB140_11:                             ;   Parent Loop BB140_6 Depth=1
                                        ; =>  This Inner Loop Header: Depth=2
	ds_read_b128 v[2:5], v123
	ds_read_b128 v[6:9], v123 offset:16
	ds_read2_b32 v[29:30], v122 offset1:32
	ds_read_b32 v144, v124
	ds_read2_b32 v[129:130], v128 offset1:1
	v_mov_b32_e32 v131, 0
	v_add_nc_u32_e32 v134, 0x2108, v128
	v_mov_b32_e32 v138, 0
	v_mov_b32_e32 v162, 0
	v_add_nc_u32_e32 v124, 4, v124
	s_add_i32 s0, s0, 4
	s_cmp_lt_u32 s0, 28
	s_waitcnt lgkmcnt(0)
	v_and_b32_e32 v149, 0xf0f0f0f, v129
	v_lshrrev_b32_e32 v129, 4, v129
	v_and_b32_e32 v151, 0xf0f0f0f, v130
	v_dot4c_i32_i8 v131, v149, v2
	v_and_b32_e32 v150, 0xf0f0f0f, v129
	v_lshrrev_b32_e32 v129, 4, v130
	v_dot4c_i32_i8 v131, v150, v6
	v_and_b32_e32 v152, 0xf0f0f0f, v129
	ds_read2_b32 v[129:130], v128 offset0:2 offset1:3
	v_dot4c_i32_i8 v131, v151, v3
	v_dot4c_i32_i8 v131, v152, v7
	s_waitcnt lgkmcnt(0)
	v_and_b32_e32 v153, 0xf0f0f0f, v129
	v_lshrrev_b32_e32 v129, 4, v129
	v_and_b32_e32 v155, 0xf0f0f0f, v130
	v_dot4c_i32_i8 v131, v153, v4
	v_and_b32_e32 v154, 0xf0f0f0f, v129
	v_lshrrev_b32_e32 v129, 4, v130
	v_dot4c_i32_i8 v131, v154, v8
	v_and_b32_e32 v156, 0xf0f0f0f, v129
	v_pk_mul_f16 v129, v29, v144
	v_dot4c_i32_i8 v131, v155, v5
	v_dot4c_i32_i8 v131, v156, v9
	v_cvt_f32_i32_e32 v130, v131
	v_mov_b32_e32 v131, 0
	v_fma_mix_f32 v129, v129, v130, v129 op_sel:[0,0,1] op_sel_hi:[1,0,1]
	v_add_f32_e32 v32, v32, v129
	v_add_nc_u32_e32 v129, 0x1080, v128
	ds_read_b32 v139, v125
	ds_read2_b32 v[129:130], v129 offset1:1
	v_add_nc_u32_e32 v125, 4, v125
	s_waitcnt lgkmcnt(0)
	v_and_b32_e32 v140, 0xf0f0f0f, v129
	v_lshrrev_b32_e32 v129, 4, v129
	v_and_b32_e32 v142, 0xf0f0f0f, v130
	v_dot4c_i32_i8 v131, v140, v2
	v_and_b32_e32 v141, 0xf0f0f0f, v129
	v_lshrrev_b32_e32 v129, 4, v130
	v_dot4c_i32_i8 v131, v141, v6
	v_and_b32_e32 v143, 0xf0f0f0f, v129
	v_add_nc_u32_e32 v129, 0x1088, v128
	v_dot4c_i32_i8 v131, v142, v3
	ds_read2_b32 v[129:130], v129 offset1:1
	v_dot4c_i32_i8 v131, v143, v7
	s_waitcnt lgkmcnt(0)
	v_and_b32_e32 v145, 0xf0f0f0f, v129
	v_lshrrev_b32_e32 v129, 4, v129
	v_and_b32_e32 v147, 0xf0f0f0f, v130
	v_dot4c_i32_i8 v131, v145, v4
	v_and_b32_e32 v146, 0xf0f0f0f, v129
	v_lshrrev_b32_e32 v129, 4, v130
	v_dot4c_i32_i8 v131, v146, v8
	v_and_b32_e32 v148, 0xf0f0f0f, v129
	v_pk_mul_f16 v129, v29, v139
	v_dot4c_i32_i8 v131, v147, v5
	v_dot4c_i32_i8 v131, v148, v9
	v_cvt_f32_i32_e32 v130, v131
	v_fma_mix_f32 v129, v129, v130, v129 op_sel:[0,0,1] op_sel_hi:[1,0,1]
	v_add_nc_u32_e32 v130, 0x2100, v128
	v_add_f32_e32 v113, v113, v129
	ds_read_b32 v129, v126
	ds_read2_b32 v[132:133], v130 offset1:1
	ds_read2_b32 v[136:137], v134 offset1:1
	v_add_nc_u32_e32 v126, 4, v126
	s_waitcnt lgkmcnt(2)
	v_pk_mul_f16 v157, v29, v129
	s_waitcnt lgkmcnt(1)
	v_and_b32_e32 v130, 0xf0f0f0f, v132
	v_lshrrev_b32_e32 v131, 4, v132
	v_and_b32_e32 v132, 0xf0f0f0f, v133
	v_lshrrev_b32_e32 v133, 4, v133
	s_waitcnt lgkmcnt(0)
	v_and_b32_e32 v134, 0xf0f0f0f, v136
	v_dot4c_i32_i8 v138, v130, v2
	v_and_b32_e32 v131, 0xf0f0f0f, v131
	v_lshrrev_b32_e32 v135, 4, v136
	v_and_b32_e32 v133, 0xf0f0f0f, v133
	v_and_b32_e32 v136, 0xf0f0f0f, v137
	v_lshrrev_b32_e32 v137, 4, v137
	v_dot4c_i32_i8 v138, v131, v6
	v_and_b32_e32 v135, 0xf0f0f0f, v135
	v_and_b32_e32 v137, 0xf0f0f0f, v137
	v_dot4c_i32_i8 v138, v132, v3
	v_dot4c_i32_i8 v138, v133, v7
	;; [unrolled: 1-line block ×6, first 2 shown]
	v_cvt_f32_i32_e32 v138, v138
	v_fma_mix_f32 v138, v157, v138, v157 op_sel:[0,0,1] op_sel_hi:[1,0,1]
	v_add_nc_u32_e32 v157, 0x3180, v128
	v_add_f32_e32 v118, v118, v138
	ds_read_b32 v138, v127
	ds_read2_b32 v[160:161], v157 offset1:1
	v_add_nc_u32_e32 v127, 4, v127
	s_waitcnt lgkmcnt(0)
	v_and_b32_e32 v159, 0xf0f0f0f, v160
	v_lshrrev_b32_e32 v157, 4, v160
	v_dot4c_i32_i8 v162, v159, v2
	v_and_b32_e32 v158, 0xf0f0f0f, v157
	v_lshrrev_b32_e32 v2, 4, v161
	v_and_b32_e32 v157, 0xf0f0f0f, v161
	v_dot4c_i32_i8 v162, v158, v6
	v_and_b32_e32 v6, 0xf0f0f0f, v2
	v_add_nc_u32_e32 v2, 0x3188, v128
	v_add_nc_u32_e32 v128, 16, v128
	v_dot4c_i32_i8 v162, v157, v3
	ds_read2_b32 v[2:3], v2 offset1:1
	v_dot4c_i32_i8 v162, v6, v7
	s_waitcnt lgkmcnt(0)
	v_and_b32_e32 v7, 0xf0f0f0f, v2
	v_lshrrev_b32_e32 v2, 4, v2
	v_dot4c_i32_i8 v162, v7, v4
	v_and_b32_e32 v160, 0xf0f0f0f, v2
	v_lshrrev_b32_e32 v2, 4, v3
	v_dot4c_i32_i8 v162, v160, v8
	v_and_b32_e32 v8, 0xf0f0f0f, v3
	v_and_b32_e32 v4, 0xf0f0f0f, v2
	v_pk_mul_f16 v2, v29, v138
	v_dot4c_i32_i8 v162, v8, v5
	v_mov_b32_e32 v5, 0
	v_dot4c_i32_i8 v162, v4, v9
	v_cvt_f32_i32_e32 v3, v162
	ds_read_b128 v[161:164], v123 offset:1024
	ds_read_b128 v[165:168], v123 offset:1040
	v_fma_mix_f32 v2, v2, v3, v2 op_sel:[0,0,1] op_sel_hi:[1,0,1]
	v_pk_mul_f16 v3, v144, v30
	v_add_f32_e32 v121, v121, v2
	v_mov_b32_e32 v2, 0
	s_waitcnt lgkmcnt(1)
	v_dot4c_i32_i8 v2, v149, v161
	s_waitcnt lgkmcnt(0)
	v_dot4c_i32_i8 v2, v150, v165
	v_dot4c_i32_i8 v2, v151, v162
	v_dot4c_i32_i8 v2, v152, v166
	v_dot4c_i32_i8 v2, v153, v163
	v_dot4c_i32_i8 v2, v154, v167
	v_dot4c_i32_i8 v2, v155, v164
	v_dot4c_i32_i8 v2, v156, v168
	v_cvt_f32_i32_e32 v2, v2
	v_fma_mix_f32 v2, v2, v3, v3 op_sel:[0,0,1] op_sel_hi:[0,1,1]
	v_pk_mul_f16 v3, v139, v30
	v_add_f32_e32 v99, v99, v2
	v_mov_b32_e32 v2, 0
	v_dot4c_i32_i8 v2, v140, v161
	v_dot4c_i32_i8 v2, v141, v165
	v_dot4c_i32_i8 v2, v142, v162
	v_dot4c_i32_i8 v2, v143, v166
	v_dot4c_i32_i8 v2, v145, v163
	v_dot4c_i32_i8 v2, v146, v167
	v_dot4c_i32_i8 v2, v147, v164
	v_dot4c_i32_i8 v2, v148, v168
	v_cvt_f32_i32_e32 v2, v2
	v_fma_mix_f32 v2, v2, v3, v3 op_sel:[0,0,1] op_sel_hi:[0,1,1]
	v_pk_mul_f16 v3, v129, v30
	v_add_f32_e32 v110, v110, v2
	v_mov_b32_e32 v2, 0
	v_dot4c_i32_i8 v2, v130, v161
	;; [unrolled: 13-line block ×3, first 2 shown]
	v_dot4c_i32_i8 v2, v158, v165
	v_dot4c_i32_i8 v2, v157, v162
	;; [unrolled: 1-line block ×7, first 2 shown]
	v_cvt_f32_i32_e32 v2, v2
	v_fma_mix_f32 v2, v2, v3, v3 op_sel:[0,0,1] op_sel_hi:[0,1,1]
	v_add_f32_e32 v120, v120, v2
	ds_read_b128 v[161:164], v123 offset:2048
	ds_read_b128 v[165:168], v123 offset:2064
	ds_read2_b32 v[2:3], v122 offset0:64 offset1:96
	s_waitcnt lgkmcnt(2)
	v_dot4c_i32_i8 v5, v149, v161
	s_waitcnt lgkmcnt(0)
	v_pk_mul_f16 v9, v144, v2
	v_dot4c_i32_i8 v5, v150, v165
	v_dot4c_i32_i8 v5, v151, v162
	;; [unrolled: 1-line block ×7, first 2 shown]
	v_cvt_f32_i32_e32 v5, v5
	v_fma_mix_f32 v5, v5, v9, v9 op_sel:[0,0,1] op_sel_hi:[0,1,1]
	v_pk_mul_f16 v9, v139, v2
	v_add_f32_e32 v93, v93, v5
	v_mov_b32_e32 v5, 0
	v_dot4c_i32_i8 v5, v140, v161
	v_dot4c_i32_i8 v5, v141, v165
	;; [unrolled: 1-line block ×8, first 2 shown]
	v_cvt_f32_i32_e32 v5, v5
	v_fma_mix_f32 v5, v5, v9, v9 op_sel:[0,0,1] op_sel_hi:[0,1,1]
	v_pk_mul_f16 v9, v129, v2
	v_pk_mul_f16 v2, v138, v2
	v_add_f32_e32 v107, v107, v5
	v_mov_b32_e32 v5, 0
	v_dot4c_i32_i8 v5, v130, v161
	v_dot4c_i32_i8 v5, v131, v165
	;; [unrolled: 1-line block ×8, first 2 shown]
	v_cvt_f32_i32_e32 v5, v5
	v_fma_mix_f32 v5, v5, v9, v9 op_sel:[0,0,1] op_sel_hi:[0,1,1]
	v_add_f32_e32 v114, v114, v5
	v_mov_b32_e32 v5, 0
	v_dot4c_i32_i8 v5, v159, v161
	v_dot4c_i32_i8 v5, v158, v165
	;; [unrolled: 1-line block ×8, first 2 shown]
	ds_read_b128 v[161:164], v123 offset:3072
	ds_read_b128 v[165:168], v123 offset:3088
	v_cvt_f32_i32_e32 v5, v5
	v_fma_mix_f32 v2, v5, v2, v2 op_sel:[0,0,1] op_sel_hi:[0,1,1]
	v_pk_mul_f16 v5, v144, v3
	v_add_f32_e32 v119, v119, v2
	v_mov_b32_e32 v2, 0
	s_waitcnt lgkmcnt(1)
	v_dot4c_i32_i8 v2, v149, v161
	s_waitcnt lgkmcnt(0)
	v_dot4c_i32_i8 v2, v150, v165
	v_dot4c_i32_i8 v2, v151, v162
	;; [unrolled: 1-line block ×7, first 2 shown]
	v_cvt_f32_i32_e32 v2, v2
	v_fma_mix_f32 v2, v2, v5, v5 op_sel:[0,0,1] op_sel_hi:[0,1,1]
	v_pk_mul_f16 v5, v139, v3
	v_add_f32_e32 v87, v87, v2
	v_mov_b32_e32 v2, 0
	v_dot4c_i32_i8 v2, v140, v161
	v_dot4c_i32_i8 v2, v141, v165
	v_dot4c_i32_i8 v2, v142, v162
	v_dot4c_i32_i8 v2, v143, v166
	v_dot4c_i32_i8 v2, v145, v163
	v_dot4c_i32_i8 v2, v146, v167
	v_dot4c_i32_i8 v2, v147, v164
	v_dot4c_i32_i8 v2, v148, v168
	v_cvt_f32_i32_e32 v2, v2
	v_fma_mix_f32 v2, v2, v5, v5 op_sel:[0,0,1] op_sel_hi:[0,1,1]
	v_pk_mul_f16 v5, v129, v3
	v_pk_mul_f16 v3, v138, v3
	v_add_f32_e32 v101, v101, v2
	v_mov_b32_e32 v2, 0
	v_dot4c_i32_i8 v2, v130, v161
	v_dot4c_i32_i8 v2, v131, v165
	;; [unrolled: 1-line block ×8, first 2 shown]
	v_cvt_f32_i32_e32 v2, v2
	v_fma_mix_f32 v2, v2, v5, v5 op_sel:[0,0,1] op_sel_hi:[0,1,1]
	v_mov_b32_e32 v5, 0
	v_add_f32_e32 v111, v111, v2
	v_mov_b32_e32 v2, 0
	v_dot4c_i32_i8 v2, v159, v161
	v_dot4c_i32_i8 v2, v158, v165
	;; [unrolled: 1-line block ×8, first 2 shown]
	v_cvt_f32_i32_e32 v2, v2
	v_fma_mix_f32 v2, v2, v3, v3 op_sel:[0,0,1] op_sel_hi:[0,1,1]
	v_add_f32_e32 v117, v117, v2
	ds_read_b128 v[161:164], v123 offset:4096
	ds_read_b128 v[165:168], v123 offset:4112
	ds_read2_b32 v[2:3], v122 offset0:128 offset1:160
	s_waitcnt lgkmcnt(2)
	v_dot4c_i32_i8 v5, v149, v161
	s_waitcnt lgkmcnt(0)
	v_pk_mul_f16 v9, v144, v2
	v_dot4c_i32_i8 v5, v150, v165
	v_dot4c_i32_i8 v5, v151, v162
	;; [unrolled: 1-line block ×7, first 2 shown]
	v_cvt_f32_i32_e32 v5, v5
	v_fma_mix_f32 v5, v5, v9, v9 op_sel:[0,0,1] op_sel_hi:[0,1,1]
	v_pk_mul_f16 v9, v139, v2
	v_add_f32_e32 v83, v83, v5
	v_mov_b32_e32 v5, 0
	v_dot4c_i32_i8 v5, v140, v161
	v_dot4c_i32_i8 v5, v141, v165
	;; [unrolled: 1-line block ×8, first 2 shown]
	v_cvt_f32_i32_e32 v5, v5
	v_fma_mix_f32 v5, v5, v9, v9 op_sel:[0,0,1] op_sel_hi:[0,1,1]
	v_pk_mul_f16 v9, v129, v2
	v_pk_mul_f16 v2, v138, v2
	v_add_f32_e32 v95, v95, v5
	v_mov_b32_e32 v5, 0
	v_dot4c_i32_i8 v5, v130, v161
	v_dot4c_i32_i8 v5, v131, v165
	;; [unrolled: 1-line block ×8, first 2 shown]
	v_cvt_f32_i32_e32 v5, v5
	v_fma_mix_f32 v5, v5, v9, v9 op_sel:[0,0,1] op_sel_hi:[0,1,1]
	v_add_f32_e32 v108, v108, v5
	v_mov_b32_e32 v5, 0
	v_dot4c_i32_i8 v5, v159, v161
	v_dot4c_i32_i8 v5, v158, v165
	v_dot4c_i32_i8 v5, v157, v162
	v_dot4c_i32_i8 v5, v6, v166
	v_dot4c_i32_i8 v5, v7, v163
	v_dot4c_i32_i8 v5, v160, v167
	v_dot4c_i32_i8 v5, v8, v164
	v_dot4c_i32_i8 v5, v4, v168
	ds_read_b128 v[161:164], v123 offset:5120
	ds_read_b128 v[165:168], v123 offset:5136
	v_cvt_f32_i32_e32 v5, v5
	v_fma_mix_f32 v2, v5, v2, v2 op_sel:[0,0,1] op_sel_hi:[0,1,1]
	v_pk_mul_f16 v5, v144, v3
	v_add_f32_e32 v115, v115, v2
	v_mov_b32_e32 v2, 0
	s_waitcnt lgkmcnt(1)
	v_dot4c_i32_i8 v2, v149, v161
	s_waitcnt lgkmcnt(0)
	v_dot4c_i32_i8 v2, v150, v165
	v_dot4c_i32_i8 v2, v151, v162
	;; [unrolled: 1-line block ×7, first 2 shown]
	v_cvt_f32_i32_e32 v2, v2
	v_fma_mix_f32 v2, v2, v5, v5 op_sel:[0,0,1] op_sel_hi:[0,1,1]
	v_pk_mul_f16 v5, v139, v3
	v_add_f32_e32 v78, v78, v2
	v_mov_b32_e32 v2, 0
	v_dot4c_i32_i8 v2, v140, v161
	v_dot4c_i32_i8 v2, v141, v165
	;; [unrolled: 1-line block ×8, first 2 shown]
	v_cvt_f32_i32_e32 v2, v2
	v_fma_mix_f32 v2, v2, v5, v5 op_sel:[0,0,1] op_sel_hi:[0,1,1]
	v_pk_mul_f16 v5, v129, v3
	v_pk_mul_f16 v3, v138, v3
	v_add_f32_e32 v89, v89, v2
	v_mov_b32_e32 v2, 0
	v_dot4c_i32_i8 v2, v130, v161
	v_dot4c_i32_i8 v2, v131, v165
	;; [unrolled: 1-line block ×8, first 2 shown]
	v_cvt_f32_i32_e32 v2, v2
	v_fma_mix_f32 v2, v2, v5, v5 op_sel:[0,0,1] op_sel_hi:[0,1,1]
	v_mov_b32_e32 v5, 0
	v_add_f32_e32 v103, v103, v2
	v_mov_b32_e32 v2, 0
	v_dot4c_i32_i8 v2, v159, v161
	v_dot4c_i32_i8 v2, v158, v165
	;; [unrolled: 1-line block ×8, first 2 shown]
	v_cvt_f32_i32_e32 v2, v2
	v_fma_mix_f32 v2, v2, v3, v3 op_sel:[0,0,1] op_sel_hi:[0,1,1]
	v_add_f32_e32 v112, v112, v2
	ds_read_b128 v[161:164], v123 offset:6144
	ds_read_b128 v[165:168], v123 offset:6160
	ds_read2_b32 v[2:3], v122 offset0:192 offset1:224
	v_add_nc_u32_e32 v122, 4, v122
	s_waitcnt lgkmcnt(2)
	v_dot4c_i32_i8 v5, v149, v161
	s_waitcnt lgkmcnt(0)
	v_pk_mul_f16 v9, v144, v2
	v_dot4c_i32_i8 v5, v150, v165
	v_dot4c_i32_i8 v5, v151, v162
	;; [unrolled: 1-line block ×7, first 2 shown]
	v_cvt_f32_i32_e32 v5, v5
	v_fma_mix_f32 v5, v5, v9, v9 op_sel:[0,0,1] op_sel_hi:[0,1,1]
	v_pk_mul_f16 v9, v139, v2
	v_add_f32_e32 v74, v74, v5
	v_mov_b32_e32 v5, 0
	v_dot4c_i32_i8 v5, v140, v161
	v_dot4c_i32_i8 v5, v141, v165
	;; [unrolled: 1-line block ×8, first 2 shown]
	v_cvt_f32_i32_e32 v5, v5
	v_fma_mix_f32 v5, v5, v9, v9 op_sel:[0,0,1] op_sel_hi:[0,1,1]
	v_pk_mul_f16 v9, v129, v2
	v_pk_mul_f16 v2, v138, v2
	v_add_f32_e32 v84, v84, v5
	v_mov_b32_e32 v5, 0
	v_dot4c_i32_i8 v5, v130, v161
	v_dot4c_i32_i8 v5, v131, v165
	;; [unrolled: 1-line block ×8, first 2 shown]
	v_cvt_f32_i32_e32 v5, v5
	v_fma_mix_f32 v5, v5, v9, v9 op_sel:[0,0,1] op_sel_hi:[0,1,1]
	v_add_f32_e32 v97, v97, v5
	v_mov_b32_e32 v5, 0
	v_dot4c_i32_i8 v5, v159, v161
	v_dot4c_i32_i8 v5, v158, v165
	;; [unrolled: 1-line block ×8, first 2 shown]
	ds_read_b128 v[161:164], v123 offset:7168
	ds_read_b128 v[165:168], v123 offset:7184
	v_add_nc_u32_e32 v123, 32, v123
	v_cvt_f32_i32_e32 v5, v5
	v_fma_mix_f32 v2, v5, v2, v2 op_sel:[0,0,1] op_sel_hi:[0,1,1]
	v_pk_mul_f16 v5, v144, v3
	v_add_f32_e32 v109, v109, v2
	v_mov_b32_e32 v2, 0
	s_waitcnt lgkmcnt(1)
	v_dot4c_i32_i8 v2, v149, v161
	s_waitcnt lgkmcnt(0)
	v_dot4c_i32_i8 v2, v150, v165
	v_dot4c_i32_i8 v2, v151, v162
	;; [unrolled: 1-line block ×7, first 2 shown]
	v_cvt_f32_i32_e32 v2, v2
	v_fma_mix_f32 v2, v2, v5, v5 op_sel:[0,0,1] op_sel_hi:[0,1,1]
	v_pk_mul_f16 v5, v139, v3
	v_add_f32_e32 v70, v70, v2
	v_mov_b32_e32 v2, 0
	v_dot4c_i32_i8 v2, v140, v161
	v_dot4c_i32_i8 v2, v141, v165
	;; [unrolled: 1-line block ×8, first 2 shown]
	v_cvt_f32_i32_e32 v2, v2
	v_fma_mix_f32 v2, v2, v5, v5 op_sel:[0,0,1] op_sel_hi:[0,1,1]
	v_pk_mul_f16 v5, v129, v3
	v_pk_mul_f16 v3, v138, v3
	v_add_f32_e32 v80, v80, v2
	v_mov_b32_e32 v2, 0
	v_dot4c_i32_i8 v2, v130, v161
	v_dot4c_i32_i8 v2, v131, v165
	;; [unrolled: 1-line block ×8, first 2 shown]
	v_cvt_f32_i32_e32 v2, v2
	v_fma_mix_f32 v2, v2, v5, v5 op_sel:[0,0,1] op_sel_hi:[0,1,1]
	v_add_f32_e32 v91, v91, v2
	v_mov_b32_e32 v2, 0
	v_dot4c_i32_i8 v2, v159, v161
	v_dot4c_i32_i8 v2, v158, v165
	;; [unrolled: 1-line block ×8, first 2 shown]
	v_cvt_f32_i32_e32 v2, v2
	v_fma_mix_f32 v2, v2, v3, v3 op_sel:[0,0,1] op_sel_hi:[0,1,1]
	v_add_f32_e32 v105, v105, v2
	s_cbranch_scc1 .LBB140_11
; %bb.12:                               ;   in Loop: Header=BB140_6 Depth=1
	s_barrier
	buffer_gl0_inv
	s_branch .LBB140_5
.LBB140_13:
	v_cvt_f16_f32_e32 v12, v32
	v_cvt_f16_f32_e32 v13, v113
	;; [unrolled: 1-line block ×32, first 2 shown]
	v_mov_b32_e32 v35, v31
.LBB140_14:
	s_mov_b32 s0, exec_lo
	v_cmpx_gt_u32_e64 s10, v35
	s_cbranch_execz .LBB140_65
; %bb.15:
	v_add_nc_u32_e32 v0, s6, v0
	v_mul_lo_u32 v31, v35, s14
	v_cmp_gt_u32_e32 vcc_lo, s14, v0
	s_and_saveexec_b32 s1, vcc_lo
	s_cbranch_execz .LBB140_17
; %bb.16:
	v_add_nc_u32_e32 v35, v0, v31
	v_mov_b32_e32 v36, 0
	v_lshlrev_b64 v[35:36], 1, v[35:36]
	s_waitcnt lgkmcnt(0)
	v_add_co_u32 v35, s0, s12, v35
	v_add_co_ci_u32_e64 v36, null, s13, v36, s0
	global_store_short v[35:36], v12, off
.LBB140_17:
	s_or_b32 exec_lo, exec_lo, s1
	v_add_nc_u32_e32 v12, 32, v0
	v_cmp_gt_u32_e64 s0, s14, v12
	s_and_saveexec_b32 s2, s0
	s_cbranch_execz .LBB140_19
; %bb.18:
	v_add_nc_u32_e32 v35, v12, v31
	v_mov_b32_e32 v36, 0
	v_lshlrev_b64 v[35:36], 1, v[35:36]
	s_waitcnt lgkmcnt(0)
	v_add_co_u32 v35, s1, s12, v35
	v_add_co_ci_u32_e64 v36, null, s13, v36, s1
	global_store_short v[35:36], v13, off
.LBB140_19:
	s_or_b32 exec_lo, exec_lo, s2
	v_add_nc_u32_e32 v13, 64, v0
	v_cmp_gt_u32_e64 s1, s14, v13
	s_and_saveexec_b32 s3, s1
	;; [unrolled: 14-line block ×3, first 2 shown]
	s_cbranch_execz .LBB140_23
; %bb.22:
	v_add_nc_u32_e32 v35, v14, v31
	v_mov_b32_e32 v36, 0
	v_lshlrev_b64 v[35:36], 1, v[35:36]
	s_waitcnt lgkmcnt(0)
	v_add_co_u32 v35, s3, s12, v35
	v_add_co_ci_u32_e64 v36, null, s13, v36, s3
	global_store_short v[35:36], v34, off
.LBB140_23:
	s_or_b32 exec_lo, exec_lo, s4
	v_add3_u32 v31, v1, s7, 8
	v_cmp_gt_u32_e64 s3, s10, v31
	s_and_b32 exec_lo, exec_lo, s3
	s_cbranch_execz .LBB140_65
; %bb.24:
	v_mul_lo_u32 v31, v31, s14
	s_and_saveexec_b32 s4, vcc_lo
	s_cbranch_execnz .LBB140_66
; %bb.25:
	s_or_b32 exec_lo, exec_lo, s4
	s_and_saveexec_b32 s4, s0
	s_cbranch_execnz .LBB140_67
.LBB140_26:
	s_or_b32 exec_lo, exec_lo, s4
	s_and_saveexec_b32 s4, s1
	s_cbranch_execnz .LBB140_68
.LBB140_27:
	s_or_b32 exec_lo, exec_lo, s4
	s_and_saveexec_b32 s4, s2
	s_cbranch_execz .LBB140_29
.LBB140_28:
	v_add_nc_u32_e32 v30, v31, v14
	v_mov_b32_e32 v31, 0
	v_lshlrev_b64 v[30:31], 1, v[30:31]
	s_waitcnt lgkmcnt(0)
	v_add_co_u32 v30, s3, s12, v30
	v_add_co_ci_u32_e64 v31, null, s13, v31, s3
	global_store_short v[30:31], v29, off
.LBB140_29:
	s_or_b32 exec_lo, exec_lo, s4
	v_add3_u32 v29, v1, s7, 16
	v_cmp_gt_u32_e64 s3, s10, v29
	s_and_b32 exec_lo, exec_lo, s3
	s_cbranch_execz .LBB140_65
; %bb.30:
	v_mul_lo_u32 v29, v29, s14
	s_and_saveexec_b32 s4, vcc_lo
	s_cbranch_execnz .LBB140_69
; %bb.31:
	s_or_b32 exec_lo, exec_lo, s4
	s_and_saveexec_b32 s4, s0
	s_cbranch_execnz .LBB140_70
.LBB140_32:
	s_or_b32 exec_lo, exec_lo, s4
	s_and_saveexec_b32 s4, s1
	s_cbranch_execnz .LBB140_71
.LBB140_33:
	s_or_b32 exec_lo, exec_lo, s4
	s_and_saveexec_b32 s4, s2
	s_cbranch_execz .LBB140_35
.LBB140_34:
	v_add_nc_u32_e32 v26, v29, v14
	v_mov_b32_e32 v27, 0
	v_lshlrev_b64 v[26:27], 1, v[26:27]
	s_waitcnt lgkmcnt(0)
	v_add_co_u32 v26, s3, s12, v26
	v_add_co_ci_u32_e64 v27, null, s13, v27, s3
	global_store_short v[26:27], v25, off
.LBB140_35:
	s_or_b32 exec_lo, exec_lo, s4
	v_add3_u32 v25, v1, s7, 24
	v_cmp_gt_u32_e64 s3, s10, v25
	s_and_b32 exec_lo, exec_lo, s3
	s_cbranch_execz .LBB140_65
; %bb.36:
	v_mul_lo_u32 v25, v25, s14
	s_and_saveexec_b32 s4, vcc_lo
	s_cbranch_execnz .LBB140_72
; %bb.37:
	s_or_b32 exec_lo, exec_lo, s4
	s_and_saveexec_b32 s4, s0
	s_cbranch_execnz .LBB140_73
.LBB140_38:
	s_or_b32 exec_lo, exec_lo, s4
	s_and_saveexec_b32 s4, s1
	s_cbranch_execnz .LBB140_74
.LBB140_39:
	s_or_b32 exec_lo, exec_lo, s4
	s_and_saveexec_b32 s4, s2
	s_cbranch_execz .LBB140_41
.LBB140_40:
	v_add_nc_u32_e32 v22, v25, v14
	v_mov_b32_e32 v23, 0
	v_lshlrev_b64 v[22:23], 1, v[22:23]
	s_waitcnt lgkmcnt(0)
	v_add_co_u32 v22, s3, s12, v22
	v_add_co_ci_u32_e64 v23, null, s13, v23, s3
	global_store_short v[22:23], v21, off
.LBB140_41:
	s_or_b32 exec_lo, exec_lo, s4
	v_add3_u32 v21, v1, s7, 32
	v_cmp_gt_u32_e64 s3, s10, v21
	s_and_b32 exec_lo, exec_lo, s3
	s_cbranch_execz .LBB140_65
; %bb.42:
	v_mul_lo_u32 v21, v21, s14
	s_and_saveexec_b32 s4, vcc_lo
	s_cbranch_execnz .LBB140_75
; %bb.43:
	s_or_b32 exec_lo, exec_lo, s4
	s_and_saveexec_b32 s4, s0
	s_cbranch_execnz .LBB140_76
.LBB140_44:
	s_or_b32 exec_lo, exec_lo, s4
	s_and_saveexec_b32 s4, s1
	s_cbranch_execnz .LBB140_77
.LBB140_45:
	s_or_b32 exec_lo, exec_lo, s4
	s_and_saveexec_b32 s4, s2
	s_cbranch_execz .LBB140_47
.LBB140_46:
	v_add_nc_u32_e32 v18, v21, v14
	v_mov_b32_e32 v19, 0
	v_lshlrev_b64 v[18:19], 1, v[18:19]
	s_waitcnt lgkmcnt(0)
	v_add_co_u32 v18, s3, s12, v18
	v_add_co_ci_u32_e64 v19, null, s13, v19, s3
	global_store_short v[18:19], v17, off
.LBB140_47:
	s_or_b32 exec_lo, exec_lo, s4
	v_add3_u32 v17, v1, s7, 40
	v_cmp_gt_u32_e64 s3, s10, v17
	s_and_b32 exec_lo, exec_lo, s3
	s_cbranch_execz .LBB140_65
; %bb.48:
	v_mul_lo_u32 v17, v17, s14
	s_and_saveexec_b32 s4, vcc_lo
	s_cbranch_execnz .LBB140_78
; %bb.49:
	s_or_b32 exec_lo, exec_lo, s4
	s_and_saveexec_b32 s4, s0
	s_cbranch_execnz .LBB140_79
.LBB140_50:
	s_or_b32 exec_lo, exec_lo, s4
	s_and_saveexec_b32 s4, s1
	s_cbranch_execnz .LBB140_80
.LBB140_51:
	s_or_b32 exec_lo, exec_lo, s4
	s_and_saveexec_b32 s4, s2
	s_cbranch_execz .LBB140_53
.LBB140_52:
	v_add_nc_u32_e32 v15, v17, v14
	v_mov_b32_e32 v16, 0
	v_lshlrev_b64 v[15:16], 1, v[15:16]
	s_waitcnt lgkmcnt(0)
	v_add_co_u32 v15, s3, s12, v15
	v_add_co_ci_u32_e64 v16, null, s13, v16, s3
	global_store_short v[15:16], v10, off
.LBB140_53:
	s_or_b32 exec_lo, exec_lo, s4
	v_add3_u32 v10, v1, s7, 48
	v_cmp_gt_u32_e64 s3, s10, v10
	s_and_b32 exec_lo, exec_lo, s3
	s_cbranch_execz .LBB140_65
; %bb.54:
	v_mul_lo_u32 v10, v10, s14
	s_and_saveexec_b32 s4, vcc_lo
	s_cbranch_execnz .LBB140_81
; %bb.55:
	s_or_b32 exec_lo, exec_lo, s4
	s_and_saveexec_b32 s4, s0
	s_cbranch_execnz .LBB140_82
.LBB140_56:
	s_or_b32 exec_lo, exec_lo, s4
	s_and_saveexec_b32 s4, s1
	s_cbranch_execnz .LBB140_83
.LBB140_57:
	s_or_b32 exec_lo, exec_lo, s4
	s_and_saveexec_b32 s4, s2
	s_cbranch_execz .LBB140_59
.LBB140_58:
	v_add_nc_u32_e32 v7, v10, v14
	v_mov_b32_e32 v8, 0
	v_lshlrev_b64 v[7:8], 1, v[7:8]
	s_waitcnt lgkmcnt(0)
	v_add_co_u32 v7, s3, s12, v7
	v_add_co_ci_u32_e64 v8, null, s13, v8, s3
	global_store_short v[7:8], v6, off
.LBB140_59:
	s_or_b32 exec_lo, exec_lo, s4
	v_add3_u32 v1, v1, s7, 56
	v_cmp_gt_u32_e64 s3, s10, v1
	s_and_b32 exec_lo, exec_lo, s3
	s_cbranch_execz .LBB140_65
; %bb.60:
	v_mul_lo_u32 v1, v1, s14
	s_and_saveexec_b32 s3, vcc_lo
	s_cbranch_execnz .LBB140_84
; %bb.61:
	s_or_b32 exec_lo, exec_lo, s3
	s_and_saveexec_b32 s3, s0
	s_cbranch_execnz .LBB140_85
.LBB140_62:
	s_or_b32 exec_lo, exec_lo, s3
	s_and_saveexec_b32 s0, s1
	s_cbranch_execnz .LBB140_86
.LBB140_63:
	s_or_b32 exec_lo, exec_lo, s0
	s_and_b32 exec_lo, exec_lo, s2
	s_cbranch_execz .LBB140_65
.LBB140_64:
	v_add_nc_u32_e32 v0, v1, v14
	v_mov_b32_e32 v1, 0
	v_lshlrev_b64 v[0:1], 1, v[0:1]
	s_waitcnt lgkmcnt(0)
	v_add_co_u32 v0, vcc_lo, s12, v0
	v_add_co_ci_u32_e64 v1, null, s13, v1, vcc_lo
	global_store_short v[0:1], v2, off
.LBB140_65:
	s_endpgm
.LBB140_66:
	v_add_nc_u32_e32 v34, v31, v0
	v_mov_b32_e32 v35, 0
	v_lshlrev_b64 v[34:35], 1, v[34:35]
	s_waitcnt lgkmcnt(0)
	v_add_co_u32 v34, s3, s12, v34
	v_add_co_ci_u32_e64 v35, null, s13, v35, s3
	global_store_short v[34:35], v33, off
	s_or_b32 exec_lo, exec_lo, s4
	s_and_saveexec_b32 s4, s0
	s_cbranch_execz .LBB140_26
.LBB140_67:
	v_add_nc_u32_e32 v33, v31, v12
	v_mov_b32_e32 v34, 0
	v_lshlrev_b64 v[33:34], 1, v[33:34]
	s_waitcnt lgkmcnt(0)
	v_add_co_u32 v33, s3, s12, v33
	v_add_co_ci_u32_e64 v34, null, s13, v34, s3
	global_store_short v[33:34], v32, off
	s_or_b32 exec_lo, exec_lo, s4
	s_and_saveexec_b32 s4, s1
	s_cbranch_execz .LBB140_27
.LBB140_68:
	v_add_nc_u32_e32 v32, v31, v13
	v_mov_b32_e32 v33, 0
	v_lshlrev_b64 v[32:33], 1, v[32:33]
	s_waitcnt lgkmcnt(0)
	v_add_co_u32 v32, s3, s12, v32
	v_add_co_ci_u32_e64 v33, null, s13, v33, s3
	global_store_short v[32:33], v30, off
	s_or_b32 exec_lo, exec_lo, s4
	s_and_saveexec_b32 s4, s2
	s_cbranch_execnz .LBB140_28
	s_branch .LBB140_29
.LBB140_69:
	v_add_nc_u32_e32 v30, v29, v0
	v_mov_b32_e32 v31, 0
	v_lshlrev_b64 v[30:31], 1, v[30:31]
	s_waitcnt lgkmcnt(0)
	v_add_co_u32 v30, s3, s12, v30
	v_add_co_ci_u32_e64 v31, null, s13, v31, s3
	global_store_short v[30:31], v28, off
	s_or_b32 exec_lo, exec_lo, s4
	s_and_saveexec_b32 s4, s0
	s_cbranch_execz .LBB140_32
.LBB140_70:
	v_add_nc_u32_e32 v30, v29, v12
	v_mov_b32_e32 v31, 0
	v_lshlrev_b64 v[30:31], 1, v[30:31]
	s_waitcnt lgkmcnt(0)
	v_add_co_u32 v30, s3, s12, v30
	v_add_co_ci_u32_e64 v31, null, s13, v31, s3
	global_store_short v[30:31], v27, off
	s_or_b32 exec_lo, exec_lo, s4
	s_and_saveexec_b32 s4, s1
	s_cbranch_execz .LBB140_33
.LBB140_71:
	v_add_nc_u32_e32 v27, v29, v13
	v_mov_b32_e32 v28, 0
	v_lshlrev_b64 v[27:28], 1, v[27:28]
	s_waitcnt lgkmcnt(0)
	v_add_co_u32 v27, s3, s12, v27
	v_add_co_ci_u32_e64 v28, null, s13, v28, s3
	global_store_short v[27:28], v26, off
	s_or_b32 exec_lo, exec_lo, s4
	s_and_saveexec_b32 s4, s2
	s_cbranch_execnz .LBB140_34
	s_branch .LBB140_35
.LBB140_72:
	v_add_nc_u32_e32 v26, v25, v0
	v_mov_b32_e32 v27, 0
	v_lshlrev_b64 v[26:27], 1, v[26:27]
	s_waitcnt lgkmcnt(0)
	v_add_co_u32 v26, s3, s12, v26
	v_add_co_ci_u32_e64 v27, null, s13, v27, s3
	global_store_short v[26:27], v24, off
	s_or_b32 exec_lo, exec_lo, s4
	s_and_saveexec_b32 s4, s0
	s_cbranch_execz .LBB140_38
.LBB140_73:
	v_add_nc_u32_e32 v26, v25, v12
	v_mov_b32_e32 v27, 0
	v_lshlrev_b64 v[26:27], 1, v[26:27]
	s_waitcnt lgkmcnt(0)
	v_add_co_u32 v26, s3, s12, v26
	v_add_co_ci_u32_e64 v27, null, s13, v27, s3
	global_store_short v[26:27], v23, off
	s_or_b32 exec_lo, exec_lo, s4
	s_and_saveexec_b32 s4, s1
	s_cbranch_execz .LBB140_39
.LBB140_74:
	v_add_nc_u32_e32 v23, v25, v13
	v_mov_b32_e32 v24, 0
	v_lshlrev_b64 v[23:24], 1, v[23:24]
	s_waitcnt lgkmcnt(0)
	v_add_co_u32 v23, s3, s12, v23
	v_add_co_ci_u32_e64 v24, null, s13, v24, s3
	global_store_short v[23:24], v22, off
	s_or_b32 exec_lo, exec_lo, s4
	s_and_saveexec_b32 s4, s2
	s_cbranch_execnz .LBB140_40
	s_branch .LBB140_41
.LBB140_75:
	v_add_nc_u32_e32 v22, v21, v0
	v_mov_b32_e32 v23, 0
	v_lshlrev_b64 v[22:23], 1, v[22:23]
	s_waitcnt lgkmcnt(0)
	v_add_co_u32 v22, s3, s12, v22
	v_add_co_ci_u32_e64 v23, null, s13, v23, s3
	global_store_short v[22:23], v20, off
	s_or_b32 exec_lo, exec_lo, s4
	s_and_saveexec_b32 s4, s0
	s_cbranch_execz .LBB140_44
.LBB140_76:
	v_add_nc_u32_e32 v22, v21, v12
	v_mov_b32_e32 v23, 0
	v_lshlrev_b64 v[22:23], 1, v[22:23]
	s_waitcnt lgkmcnt(0)
	v_add_co_u32 v22, s3, s12, v22
	v_add_co_ci_u32_e64 v23, null, s13, v23, s3
	global_store_short v[22:23], v19, off
	s_or_b32 exec_lo, exec_lo, s4
	s_and_saveexec_b32 s4, s1
	s_cbranch_execz .LBB140_45
.LBB140_77:
	v_add_nc_u32_e32 v19, v21, v13
	v_mov_b32_e32 v20, 0
	v_lshlrev_b64 v[19:20], 1, v[19:20]
	s_waitcnt lgkmcnt(0)
	v_add_co_u32 v19, s3, s12, v19
	v_add_co_ci_u32_e64 v20, null, s13, v20, s3
	global_store_short v[19:20], v18, off
	s_or_b32 exec_lo, exec_lo, s4
	s_and_saveexec_b32 s4, s2
	s_cbranch_execnz .LBB140_46
	s_branch .LBB140_47
.LBB140_78:
	v_add_nc_u32_e32 v18, v17, v0
	v_mov_b32_e32 v19, 0
	v_lshlrev_b64 v[18:19], 1, v[18:19]
	s_waitcnt lgkmcnt(0)
	v_add_co_u32 v18, s3, s12, v18
	v_add_co_ci_u32_e64 v19, null, s13, v19, s3
	global_store_short v[18:19], v16, off
	s_or_b32 exec_lo, exec_lo, s4
	s_and_saveexec_b32 s4, s0
	s_cbranch_execz .LBB140_50
.LBB140_79:
	v_add_nc_u32_e32 v18, v17, v12
	v_mov_b32_e32 v19, 0
	v_lshlrev_b64 v[18:19], 1, v[18:19]
	s_waitcnt lgkmcnt(0)
	v_add_co_u32 v18, s3, s12, v18
	v_add_co_ci_u32_e64 v19, null, s13, v19, s3
	global_store_short v[18:19], v15, off
	s_or_b32 exec_lo, exec_lo, s4
	s_and_saveexec_b32 s4, s1
	s_cbranch_execz .LBB140_51
.LBB140_80:
	v_add_nc_u32_e32 v15, v17, v13
	v_mov_b32_e32 v16, 0
	v_lshlrev_b64 v[15:16], 1, v[15:16]
	s_waitcnt lgkmcnt(0)
	v_add_co_u32 v15, s3, s12, v15
	v_add_co_ci_u32_e64 v16, null, s13, v16, s3
	global_store_short v[15:16], v11, off
	s_or_b32 exec_lo, exec_lo, s4
	s_and_saveexec_b32 s4, s2
	s_cbranch_execnz .LBB140_52
	s_branch .LBB140_53
.LBB140_81:
	v_add_nc_u32_e32 v15, v10, v0
	v_mov_b32_e32 v16, 0
	v_lshlrev_b64 v[15:16], 1, v[15:16]
	s_waitcnt lgkmcnt(0)
	v_add_co_u32 v15, s3, s12, v15
	v_add_co_ci_u32_e64 v16, null, s13, v16, s3
	global_store_short v[15:16], v9, off
	s_or_b32 exec_lo, exec_lo, s4
	s_and_saveexec_b32 s4, s0
	s_cbranch_execz .LBB140_56
.LBB140_82:
	v_add_nc_u32_e32 v15, v10, v12
	v_mov_b32_e32 v16, 0
	v_lshlrev_b64 v[15:16], 1, v[15:16]
	s_waitcnt lgkmcnt(0)
	v_add_co_u32 v15, s3, s12, v15
	v_add_co_ci_u32_e64 v16, null, s13, v16, s3
	global_store_short v[15:16], v8, off
	s_or_b32 exec_lo, exec_lo, s4
	s_and_saveexec_b32 s4, s1
	s_cbranch_execz .LBB140_57
.LBB140_83:
	v_add_nc_u32_e32 v8, v10, v13
	v_mov_b32_e32 v9, 0
	v_lshlrev_b64 v[8:9], 1, v[8:9]
	s_waitcnt lgkmcnt(0)
	v_add_co_u32 v8, s3, s12, v8
	v_add_co_ci_u32_e64 v9, null, s13, v9, s3
	global_store_short v[8:9], v7, off
	s_or_b32 exec_lo, exec_lo, s4
	s_and_saveexec_b32 s4, s2
	s_cbranch_execnz .LBB140_58
	s_branch .LBB140_59
.LBB140_84:
	v_add_nc_u32_e32 v6, v1, v0
	v_mov_b32_e32 v7, 0
	v_lshlrev_b64 v[6:7], 1, v[6:7]
	s_waitcnt lgkmcnt(0)
	v_add_co_u32 v6, vcc_lo, s12, v6
	v_add_co_ci_u32_e64 v7, null, s13, v7, vcc_lo
	global_store_short v[6:7], v5, off
	s_or_b32 exec_lo, exec_lo, s3
	s_and_saveexec_b32 s3, s0
	s_cbranch_execz .LBB140_62
.LBB140_85:
	v_add_nc_u32_e32 v5, v1, v12
	v_mov_b32_e32 v6, 0
	v_lshlrev_b64 v[5:6], 1, v[5:6]
	s_waitcnt lgkmcnt(0)
	v_add_co_u32 v5, vcc_lo, s12, v5
	v_add_co_ci_u32_e64 v6, null, s13, v6, vcc_lo
	global_store_short v[5:6], v4, off
	s_or_b32 exec_lo, exec_lo, s3
	s_and_saveexec_b32 s0, s1
	s_cbranch_execz .LBB140_63
.LBB140_86:
	v_add_nc_u32_e32 v4, v1, v13
	v_mov_b32_e32 v5, 0
	v_lshlrev_b64 v[4:5], 1, v[4:5]
	s_waitcnt lgkmcnt(0)
	v_add_co_u32 v4, vcc_lo, s12, v4
	v_add_co_ci_u32_e64 v5, null, s13, v5, vcc_lo
	global_store_short v[4:5], v3, off
	s_or_b32 exec_lo, exec_lo, s0
	s_and_b32 exec_lo, exec_lo, s2
	s_cbranch_execnz .LBB140_64
	s_branch .LBB140_65
	.section	.rodata,"a",@progbits
	.p2align	6, 0x0
	.amdhsa_kernel _ZL12mul_mat_q4_1IN3c104HalfELb1EEvPKvS3_PT_iiiii
		.amdhsa_group_segment_fixed_size 30336
		.amdhsa_private_segment_fixed_size 0
		.amdhsa_kernarg_size 44
		.amdhsa_user_sgpr_count 6
		.amdhsa_user_sgpr_private_segment_buffer 1
		.amdhsa_user_sgpr_dispatch_ptr 0
		.amdhsa_user_sgpr_queue_ptr 0
		.amdhsa_user_sgpr_kernarg_segment_ptr 1
		.amdhsa_user_sgpr_dispatch_id 0
		.amdhsa_user_sgpr_flat_scratch_init 0
		.amdhsa_user_sgpr_private_segment_size 0
		.amdhsa_wavefront_size32 1
		.amdhsa_uses_dynamic_stack 0
		.amdhsa_system_sgpr_private_segment_wavefront_offset 0
		.amdhsa_system_sgpr_workgroup_id_x 1
		.amdhsa_system_sgpr_workgroup_id_y 1
		.amdhsa_system_sgpr_workgroup_id_z 0
		.amdhsa_system_sgpr_workgroup_info 0
		.amdhsa_system_vgpr_workitem_id 1
		.amdhsa_next_free_vgpr 169
		.amdhsa_next_free_sgpr 15
		.amdhsa_reserve_vcc 1
		.amdhsa_reserve_flat_scratch 0
		.amdhsa_float_round_mode_32 0
		.amdhsa_float_round_mode_16_64 0
		.amdhsa_float_denorm_mode_32 3
		.amdhsa_float_denorm_mode_16_64 3
		.amdhsa_dx10_clamp 1
		.amdhsa_ieee_mode 1
		.amdhsa_fp16_overflow 0
		.amdhsa_workgroup_processor_mode 1
		.amdhsa_memory_ordered 1
		.amdhsa_forward_progress 1
		.amdhsa_shared_vgpr_count 0
		.amdhsa_exception_fp_ieee_invalid_op 0
		.amdhsa_exception_fp_denorm_src 0
		.amdhsa_exception_fp_ieee_div_zero 0
		.amdhsa_exception_fp_ieee_overflow 0
		.amdhsa_exception_fp_ieee_underflow 0
		.amdhsa_exception_fp_ieee_inexact 0
		.amdhsa_exception_int_div_zero 0
	.end_amdhsa_kernel
	.section	.text._ZL12mul_mat_q4_1IN3c104HalfELb1EEvPKvS3_PT_iiiii,"axG",@progbits,_ZL12mul_mat_q4_1IN3c104HalfELb1EEvPKvS3_PT_iiiii,comdat
.Lfunc_end140:
	.size	_ZL12mul_mat_q4_1IN3c104HalfELb1EEvPKvS3_PT_iiiii, .Lfunc_end140-_ZL12mul_mat_q4_1IN3c104HalfELb1EEvPKvS3_PT_iiiii
                                        ; -- End function
	.set _ZL12mul_mat_q4_1IN3c104HalfELb1EEvPKvS3_PT_iiiii.num_vgpr, 169
	.set _ZL12mul_mat_q4_1IN3c104HalfELb1EEvPKvS3_PT_iiiii.num_agpr, 0
	.set _ZL12mul_mat_q4_1IN3c104HalfELb1EEvPKvS3_PT_iiiii.numbered_sgpr, 15
	.set _ZL12mul_mat_q4_1IN3c104HalfELb1EEvPKvS3_PT_iiiii.num_named_barrier, 0
	.set _ZL12mul_mat_q4_1IN3c104HalfELb1EEvPKvS3_PT_iiiii.private_seg_size, 0
	.set _ZL12mul_mat_q4_1IN3c104HalfELb1EEvPKvS3_PT_iiiii.uses_vcc, 1
	.set _ZL12mul_mat_q4_1IN3c104HalfELb1EEvPKvS3_PT_iiiii.uses_flat_scratch, 0
	.set _ZL12mul_mat_q4_1IN3c104HalfELb1EEvPKvS3_PT_iiiii.has_dyn_sized_stack, 0
	.set _ZL12mul_mat_q4_1IN3c104HalfELb1EEvPKvS3_PT_iiiii.has_recursion, 0
	.set _ZL12mul_mat_q4_1IN3c104HalfELb1EEvPKvS3_PT_iiiii.has_indirect_call, 0
	.section	.AMDGPU.csdata,"",@progbits
; Kernel info:
; codeLenInByte = 11148
; TotalNumSgprs: 17
; NumVgprs: 169
; ScratchSize: 0
; MemoryBound: 0
; FloatMode: 240
; IeeeMode: 1
; LDSByteSize: 30336 bytes/workgroup (compile time only)
; SGPRBlocks: 0
; VGPRBlocks: 21
; NumSGPRsForWavesPerEU: 17
; NumVGPRsForWavesPerEU: 169
; Occupancy: 5
; WaveLimiterHint : 0
; COMPUTE_PGM_RSRC2:SCRATCH_EN: 0
; COMPUTE_PGM_RSRC2:USER_SGPR: 6
; COMPUTE_PGM_RSRC2:TRAP_HANDLER: 0
; COMPUTE_PGM_RSRC2:TGID_X_EN: 1
; COMPUTE_PGM_RSRC2:TGID_Y_EN: 1
; COMPUTE_PGM_RSRC2:TGID_Z_EN: 0
; COMPUTE_PGM_RSRC2:TIDIG_COMP_CNT: 1
	.section	.text._ZL12mul_mat_q5_0IN3c104HalfELb0EEvPKvS3_PT_iiiii,"axG",@progbits,_ZL12mul_mat_q5_0IN3c104HalfELb0EEvPKvS3_PT_iiiii,comdat
	.globl	_ZL12mul_mat_q5_0IN3c104HalfELb0EEvPKvS3_PT_iiiii ; -- Begin function _ZL12mul_mat_q5_0IN3c104HalfELb0EEvPKvS3_PT_iiiii
	.p2align	8
	.type	_ZL12mul_mat_q5_0IN3c104HalfELb0EEvPKvS3_PT_iiiii,@function
_ZL12mul_mat_q5_0IN3c104HalfELb0EEvPKvS3_PT_iiiii: ; @_ZL12mul_mat_q5_0IN3c104HalfELb0EEvPKvS3_PT_iiiii
; %bb.0:
	s_clause 0x1
	s_load_dword s14, s[4:5], 0x18
	s_load_dwordx4 s[8:11], s[4:5], 0x20
	s_lshl_b32 s7, s7, 6
	v_add_nc_u32_e32 v87, s7, v1
	s_waitcnt lgkmcnt(0)
	s_cmp_gt_i32 s14, 31
	s_cbranch_scc1 .LBB141_2
; %bb.1:
	v_add_nc_u32_e32 v27, s7, v1
	s_mov_b32 s0, 0
	s_branch .LBB141_3
.LBB141_2:
	s_mov_b32 s0, -1
                                        ; implicit-def: $vgpr27
.LBB141_3:
	s_load_dwordx2 s[12:13], s[4:5], 0x10
	v_mov_b32_e32 v2, 0
	v_mov_b32_e32 v6, 0
	;; [unrolled: 1-line block ×32, first 2 shown]
	s_andn2_b32 vcc_lo, exec_lo, s0
	s_lshl_b32 s6, s6, 7
	s_cbranch_vccnz .LBB141_14
; %bb.4:
	s_load_dwordx4 s[0:3], s[4:5], 0x0
	s_ashr_i32 s4, s14, 31
	s_ashr_i32 s5, s9, 31
	s_lshr_b32 s4, s4, 27
	s_lshr_b32 s5, s5, 27
	s_add_i32 s11, s14, s4
	s_add_i32 s5, s9, s5
	s_ashr_i32 s4, s11, 5
	v_lshlrev_b32_e32 v5, 3, v0
	s_mul_i32 s9, s4, s6
	s_ashr_i32 s14, s5, 5
	s_mul_i32 s5, s9, 22
	v_add_nc_u32_e32 v6, 8, v87
	v_add_nc_u32_e32 v7, 16, v87
	;; [unrolled: 1-line block ×6, first 2 shown]
	s_mul_hi_i32 s9, s9, 22
	v_mul_lo_u32 v91, s4, v1
	s_waitcnt lgkmcnt(0)
	s_add_u32 s5, s0, s5
	s_addc_u32 s9, s1, s9
	s_add_i32 s1, s8, -1
	v_cvt_f64_u32_e32 v[3:4], v87
	v_add_nc_u32_e32 v17, 56, v87
	v_mad_u32_u24 v96, 0x104, v1, v5
	v_cvt_f64_u32_e32 v[5:6], v6
	v_cvt_f64_u32_e32 v[7:8], v7
	;; [unrolled: 1-line block ×6, first 2 shown]
	v_cvt_f64_i32_e32 v[19:20], s1
	s_lshl_b32 s0, s4, 3
	v_cvt_f64_u32_e32 v[17:18], v17
	v_add_nc_u32_e32 v92, s0, v91
	v_lshrrev_b32_e32 v90, 3, v0
	v_and_b32_e32 v89, 7, v0
	v_lshrrev_b32_e32 v88, 2, v0
	v_and_b32_e32 v2, 3, v0
	v_add_nc_u32_e32 v93, s0, v92
	v_lshl_add_u32 v21, v1, 2, v90
	v_lshlrev_b32_e32 v23, 2, v89
	s_andn2_b32 s11, s11, 31
	v_lshlrev_b32_e32 v94, 2, v2
	v_add_nc_u32_e32 v95, s0, v93
	v_and_b32_e32 v24, 0x7fc, v21
	v_add_nc_u32_e32 v25, 32, v21
	v_mul_lo_u32 v118, s4, v21
	v_lshlrev_b32_e32 v27, 5, v21
	v_add_nc_u32_e32 v97, s0, v95
	v_add3_u32 v28, v24, v23, 0xa200
	v_and_b32_e32 v24, 0xffc, v25
	v_add_nc_u32_e32 v26, 64, v21
	v_min_f64 v[3:4], v[3:4], v[19:20]
	v_min_f64 v[5:6], v[5:6], v[19:20]
	;; [unrolled: 1-line block ×7, first 2 shown]
	v_add_nc_u32_e32 v98, s0, v97
	v_min_f64 v[17:18], v[17:18], v[19:20]
	v_lshlrev_b32_e32 v19, 5, v25
	v_lshl_add_u32 v25, v1, 3, v88
	v_add_nc_u32_e32 v21, 0x60, v21
	v_add_nc_u32_e32 v101, s0, v98
	v_add3_u32 v30, v24, v23, 0xa200
	v_mov_b32_e32 v22, 0
	v_and_b32_e32 v29, 0xffc, v26
	v_and_b32_e32 v24, 0xffc, v21
	v_add_nc_u32_e32 v105, s0, v101
	v_add_nc_u32_e32 v123, s11, v118
	v_lshlrev_b32_e32 v129, 7, v1
	v_add3_u32 v20, v29, v23, 0xa200
	v_lshlrev_b32_e32 v29, 5, v26
	v_add_nc_u32_e32 v109, s0, v105
	v_cvt_i32_f64_e32 v3, v[3:4]
	v_cvt_i32_f64_e32 v4, v[5:6]
	;; [unrolled: 1-line block ×7, first 2 shown]
	v_add_nc_u32_e32 v114, s0, v109
	v_cvt_i32_f64_e32 v16, v[17:18]
	v_and_b32_e32 v7, 63, v25
	v_add3_u32 v5, v24, v23, 0xa200
	v_and_b32_e32 v15, 31, v0
	v_add_nc_u32_e32 v119, s0, v114
	v_lshlrev_b32_e32 v11, 2, v0
	v_or_b32_e32 v13, s7, v7
	v_lshl_or_b32 v7, v7, 4, v94
	v_lshl_or_b32 v128, v15, 2, 0x8200
	v_add_nc_u32_e32 v120, s0, v119
	v_lshlrev_b32_e32 v15, 5, v0
	v_min_i32_e32 v13, s1, v13
	v_and_b32_e32 v17, 0xfc, v0
	v_and_b32_e32 v11, 28, v11
	v_add_nc_u32_e32 v121, s0, v120
	v_mov_b32_e32 v23, v22
	v_mad_u64_u32 v[24:25], null, v13, s14, v[2:3]
	v_add_nc_u32_e32 v13, 64, v0
	v_mul_lo_u32 v136, s14, v12
	v_mul_lo_u32 v137, s14, v14
	v_add_nc_u32_e32 v12, 0x60, v0
	v_add_nc_u32_e32 v14, 32, v0
	;; [unrolled: 1-line block ×3, first 2 shown]
	v_mul_lo_u32 v138, s14, v16
	v_and_b32_e32 v13, 0x1fc, v13
	v_and_b32_e32 v12, 0x1fc, v12
	;; [unrolled: 1-line block ×3, first 2 shown]
	v_add_nc_u32_e32 v124, s0, v122
	v_add_nc_u32_e32 v125, s11, v123
	v_lshlrev_b32_e32 v9, 5, v21
	v_add_nc_u32_e32 v130, 0xb280, v7
	v_mul_lo_u32 v131, s14, v3
	v_mul_lo_u32 v132, s14, v4
	v_add_nc_u32_e32 v2, 0x400, v129
	v_mul_lo_u32 v133, s14, v6
	v_add_nc_u32_e32 v3, 0x800, v129
	;; [unrolled: 2-line block ×4, first 2 shown]
	v_add_nc_u32_e32 v7, 0x1400, v129
	v_add_nc_u32_e32 v8, 0x1800, v129
	;; [unrolled: 1-line block ×3, first 2 shown]
	v_lshrrev_b32_e32 v140, 3, v14
	v_add_nc_u32_e32 v12, v15, v12
	v_add_nc_u32_e32 v13, v15, v13
	;; [unrolled: 1-line block ×5, first 2 shown]
	v_add_co_u32 v25, s0, s2, v11
	v_add_co_ci_u32_e64 v26, null, s3, 0, s0
	s_movk_i32 s0, 0x80
	v_add_nc_u32_e32 v152, v28, v27
	v_add_nc_u32_e32 v153, v30, v19
	;; [unrolled: 1-line block ×3, first 2 shown]
	v_mov_b32_e32 v42, v23
	v_mov_b32_e32 v34, v23
	;; [unrolled: 1-line block ×15, first 2 shown]
	v_add_nc_u32_e32 v99, 0x820, v96
	v_add_nc_u32_e32 v100, 0x1040, v96
	;; [unrolled: 1-line block ×16, first 2 shown]
	v_mul_u32_u24_e32 v139, 0x104, v0
	v_add_nc_u32_e32 v141, 0xae00, v12
	v_add_nc_u32_e32 v142, 0xaa00, v13
	;; [unrolled: 1-line block ×4, first 2 shown]
	v_lshl_add_u32 v145, v1, 4, 0xb280
	v_add_nc_u32_e32 v146, 0x8200, v129
	v_add_nc_u32_e32 v147, 0xae10, v12
	;; [unrolled: 1-line block ×5, first 2 shown]
	v_mad_u32_u24 v151, 0x104, v0, s0
	v_add_nc_u32_e32 v155, v5, v9
	v_add_nc_u32_e32 v156, v128, v2
	;; [unrolled: 1-line block ×8, first 2 shown]
	v_mov_b32_e32 v41, v22
	v_mov_b32_e32 v33, v22
	;; [unrolled: 1-line block ×15, first 2 shown]
	s_add_i32 s11, s4, 3
	s_mov_b32 s14, 0
	s_branch .LBB141_6
.LBB141_5:                              ;   in Loop: Header=BB141_6 Depth=1
	s_add_i32 s14, s14, 8
	s_add_i32 s11, s11, -8
	s_cmp_ge_i32 s14, s4
	s_cbranch_scc1 .LBB141_13
.LBB141_6:                              ; =>This Loop Header: Depth=1
                                        ;     Child Loop BB141_8 Depth 2
                                        ;     Child Loop BB141_11 Depth 2
	s_mul_i32 s0, s14, 22
	s_mul_hi_u32 s1, s14, 22
	s_add_u32 s0, s5, s0
	s_addc_u32 s1, s9, s1
	s_cmp_gt_u32 s11, 3
	v_mad_u64_u32 v[2:3], null, v88, 22, s[0:1]
	v_mad_u64_u32 v[4:5], null, v91, 22, v[2:3]
	;; [unrolled: 1-line block ×5, first 2 shown]
	v_add_co_u32 v8, vcc_lo, v4, v94
	v_add_co_ci_u32_e64 v9, null, 0, v5, vcc_lo
	v_add_co_u32 v10, vcc_lo, v6, v94
	v_add_co_ci_u32_e64 v11, null, 0, v7, vcc_lo
	;; [unrolled: 2-line block ×4, first 2 shown]
	s_clause 0x7
	global_load_dword v12, v[8:9], off offset:6
	global_load_dword v10, v[10:11], off offset:6
	;; [unrolled: 1-line block ×8, first 2 shown]
	v_mad_u64_u32 v[16:17], null, v97, 22, v[2:3]
	v_mad_u64_u32 v[18:19], null, v98, 22, v[2:3]
	;; [unrolled: 1-line block ×4, first 2 shown]
	v_add_co_u32 v59, vcc_lo, v16, v94
	v_add_co_ci_u32_e64 v60, null, 0, v17, vcc_lo
	v_add_co_u32 v61, vcc_lo, v18, v94
	v_add_co_ci_u32_e64 v62, null, 0, v19, vcc_lo
	s_clause 0x5
	global_load_dword v5, v[57:58], off offset:2
	global_load_dword v7, v[20:21], off offset:2
	;; [unrolled: 1-line block ×6, first 2 shown]
	v_add_co_u32 v16, vcc_lo, v20, v94
	v_add_co_ci_u32_e64 v17, null, 0, v21, vcc_lo
	v_add_co_u32 v18, vcc_lo, v57, v94
	v_add_co_ci_u32_e64 v19, null, 0, v58, vcc_lo
	s_clause 0x1
	global_load_dword v6, v[16:17], off offset:6
	global_load_dword v4, v[18:19], off offset:6
	v_mad_u64_u32 v[18:19], null, v109, 22, v[2:3]
	v_mad_u64_u32 v[20:21], null, v114, 22, v[2:3]
	;; [unrolled: 1-line block ×8, first 2 shown]
	v_add_co_u32 v2, vcc_lo, v18, v94
	v_add_co_ci_u32_e64 v3, null, 0, v19, vcc_lo
	v_add_co_u32 v16, vcc_lo, v20, v94
	v_add_co_ci_u32_e64 v17, null, 0, v21, vcc_lo
	;; [unrolled: 2-line block ×4, first 2 shown]
	s_clause 0x7
	global_load_dword v79, v[2:3], off offset:6
	global_load_dword v80, v[16:17], off offset:6
	;; [unrolled: 1-line block ×8, first 2 shown]
	v_add_co_u32 v73, vcc_lo, v61, v94
	v_add_co_ci_u32_e64 v74, null, 0, v62, vcc_lo
	s_waitcnt vmcnt(23)
	v_and_b32_e32 v19, 0xf0f0f0f, v12
	v_lshrrev_b32_e32 v12, 4, v12
	s_waitcnt vmcnt(22)
	v_and_b32_e32 v21, 0xf0f0f0f, v10
	v_lshrrev_b32_e32 v10, 4, v10
	s_waitcnt vmcnt(19)
	v_ashrrev_i32_e32 v11, v94, v11
	s_waitcnt vmcnt(18)
	v_ashrrev_i32_e32 v13, v94, v13
	;; [unrolled: 2-line block ×4, first 2 shown]
	v_and_b32_e32 v57, 0xf0f0f0f, v8
	v_lshrrev_b32_e32 v8, 4, v8
	v_lshlrev_b32_e32 v167, 4, v13
	v_lshlrev_b32_e32 v84, 4, v14
	v_lshrrev_b32_e32 v81, 12, v15
	v_lshrrev_b32_e32 v82, 5, v15
	v_lshlrev_b32_e32 v83, 2, v15
	v_lshlrev_b32_e32 v85, 11, v14
	;; [unrolled: 1-line block ×4, first 2 shown]
	v_lshrrev_b32_e32 v164, 12, v14
	v_lshrrev_b32_e32 v165, 5, v14
	v_lshlrev_b32_e32 v166, 2, v14
	s_waitcnt vmcnt(13)
	v_ashrrev_i32_e32 v70, v94, v75
	s_waitcnt vmcnt(12)
	v_ashrrev_i32_e32 v59, v94, v76
	s_waitcnt vmcnt(11)
	v_and_b32_e32 v60, 0xf0f0f0f, v77
	v_lshrrev_b32_e32 v69, 4, v77
	s_waitcnt vmcnt(10)
	v_and_b32_e32 v71, 0xf0f0f0f, v78
	v_lshrrev_b32_e32 v72, 4, v78
	v_lshlrev_b32_e32 v75, 4, v15
	v_lshlrev_b32_e32 v76, 11, v15
	;; [unrolled: 1-line block ×9, first 2 shown]
	v_lshrrev_b32_e32 v171, 12, v13
	v_lshrrev_b32_e32 v172, 5, v13
	v_lshlrev_b32_e32 v173, 2, v13
	v_lshlrev_b32_e32 v13, 9, v13
	v_lshlrev_b32_e32 v174, 4, v11
	v_lshlrev_b32_e32 v175, 11, v11
	v_and_b32_e32 v12, 0xf0f0f0f, v12
	v_and_b32_e32 v75, 16, v75
	;; [unrolled: 1-line block ×19, first 2 shown]
	v_lshrrev_b32_e32 v9, 4, v9
	v_and_b32_e32 v8, 0xf0f0f0f, v8
	v_lshlrev_b32_e32 v176, 18, v11
	v_lshlrev_b32_e32 v177, 25, v11
	v_lshrrev_b32_e32 v178, 12, v11
	v_lshrrev_b32_e32 v179, 5, v11
	v_lshlrev_b32_e32 v180, 2, v11
	v_lshlrev_b32_e32 v11, 9, v11
	v_and_b32_e32 v171, 16, v171
	v_and_b32_e32 v172, 0x1000, v172
	v_and_b32_e32 v173, 0x100000, v173
	v_and_b32_e32 v13, 0x10000000, v13
	v_and_b32_e32 v174, 16, v174
	v_and_b32_e32 v175, 0x1000, v175
	v_lshlrev_b32_e32 v181, 4, v59
	v_lshlrev_b32_e32 v182, 11, v59
	v_or3_b32 v75, v75, v19, v76
	v_or3_b32 v19, v19, v77, v78
	;; [unrolled: 1-line block ×3, first 2 shown]
	v_and_b32_e32 v86, 0x100000, v86
	v_and_b32_e32 v163, 0x10000000, v163
	v_or3_b32 v12, v12, v83, v15
	v_or3_b32 v15, v84, v21, v85
	v_and_b32_e32 v169, 0x100000, v169
	v_and_b32_e32 v170, 0x10000000, v170
	v_or3_b32 v77, v164, v10, v165
	v_or3_b32 v10, v10, v166, v14
	;; [unrolled: 1-line block ×3, first 2 shown]
	v_and_b32_e32 v9, 0xf0f0f0f, v9
	v_and_b32_e32 v176, 0x100000, v176
	;; [unrolled: 1-line block ×7, first 2 shown]
	v_or3_b32 v78, v171, v8, v172
	v_or3_b32 v8, v8, v173, v13
	;; [unrolled: 1-line block ×3, first 2 shown]
	v_lshlrev_b32_e32 v183, 18, v59
	v_lshlrev_b32_e32 v184, 25, v59
	v_and_b32_e32 v181, 16, v181
	v_and_b32_e32 v182, 0x1000, v182
	v_lshrrev_b32_e32 v19, 16, v19
	v_and_b32_e32 v84, 0x1f00, v75
	v_lshlrev_b16 v75, 8, v75
	v_and_b32_e32 v85, 0x1f00, v76
	v_lshlrev_b16 v76, 8, v76
	v_or3_b32 v21, v21, v86, v163
	v_and_b32_e32 v86, 0x1f00, v15
	v_lshlrev_b16 v15, 8, v15
	v_or3_b32 v57, v57, v169, v170
	;; [unrolled: 3-line block ×3, first 2 shown]
	v_or3_b32 v81, v178, v9, v179
	v_or3_b32 v9, v9, v180, v11
	v_and_b32_e32 v166, 0x1f00, v13
	v_lshlrev_b16 v13, 8, v13
	v_and_b32_e32 v183, 0x100000, v183
	v_and_b32_e32 v184, 0x10000000, v184
	v_or3_b32 v11, v181, v60, v182
	v_lshrrev_b32_e32 v12, 16, v12
	v_add_nc_u16 v84, 0xf000, v84
	v_add_nc_u16 v75, 0xf000, v75
	v_and_b32_e32 v171, 0x1f00, v19
	v_lshlrev_b16 v19, 8, v19
	v_add_nc_u16 v76, 0xf000, v76
	v_lshrrev_b32_e32 v21, 16, v21
	v_lshrrev_b32_e32 v10, 16, v10
	v_add_nc_u16 v15, 0xf000, v15
	v_and_b32_e32 v163, 0x1f00, v77
	v_lshlrev_b16 v77, 8, v77
	v_lshrrev_b32_e32 v57, 16, v57
	v_lshrrev_b32_e32 v8, 16, v8
	v_add_nc_u16 v14, 0xf000, v14
	v_and_b32_e32 v165, 0x1f00, v78
	v_lshlrev_b16 v78, 8, v78
	v_lshrrev_b32_e32 v58, 16, v58
	v_lshrrev_b32_e32 v9, 16, v9
	v_add_nc_u16 v13, 0xf000, v13
	v_or3_b32 v60, v60, v183, v184
	v_and_b32_e32 v168, 0x1f00, v11
	v_lshlrev_b16 v11, 8, v11
	v_and_b32_e32 v172, 0x1f00, v12
	v_lshlrev_b16 v12, 8, v12
	v_perm_b32 v75, v75, v84, 0xc0c0105
	v_add_nc_u16 v84, 0xf000, v171
	v_add_nc_u16 v19, 0xf000, v19
	v_or_b32_sdwa v76, v85, v76 dst_sel:DWORD dst_unused:UNUSED_PAD src0_sel:DWORD src1_sel:BYTE_1
	v_and_b32_e32 v173, 0x1f00, v21
	v_lshlrev_b16 v21, 8, v21
	v_and_b32_e32 v174, 0x1f00, v10
	v_lshlrev_b16 v10, 8, v10
	v_or_b32_sdwa v15, v86, v15 dst_sel:DWORD dst_unused:UNUSED_PAD src0_sel:DWORD src1_sel:BYTE_1
	v_add_nc_u16 v163, 0xf000, v163
	v_add_nc_u16 v77, 0xf000, v77
	v_and_b32_e32 v175, 0x1f00, v57
	v_lshlrev_b16 v57, 8, v57
	v_and_b32_e32 v176, 0x1f00, v8
	v_lshlrev_b16 v8, 8, v8
	v_or_b32_sdwa v14, v164, v14 dst_sel:DWORD dst_unused:UNUSED_PAD src0_sel:DWORD src1_sel:BYTE_1
	v_and_b32_e32 v167, 0x1f00, v81
	v_lshlrev_b16 v81, 8, v81
	v_add_nc_u16 v165, 0xf000, v165
	v_add_nc_u16 v78, 0xf000, v78
	v_and_b32_e32 v177, 0x1f00, v58
	v_lshlrev_b16 v58, 8, v58
	v_and_b32_e32 v178, 0x1f00, v9
	v_lshlrev_b16 v9, 8, v9
	v_or_b32_sdwa v13, v166, v13 dst_sel:DWORD dst_unused:UNUSED_PAD src0_sel:DWORD src1_sel:BYTE_1
	v_lshrrev_b32_e32 v60, 16, v60
	v_add_nc_u16 v11, 0xf000, v11
	v_add_nc_u16 v171, 0xf000, v172
	v_add_nc_u16 v12, 0xf000, v12
	v_perm_b32 v19, v19, v84, 0xc0c0105
	v_add_nc_u16 v76, 0xf000, v76
	v_add_nc_u16 v85, 0xf000, v173
	v_add_nc_u16 v21, 0xf000, v21
	v_add_nc_u16 v86, 0xf000, v174
	v_add_nc_u16 v10, 0xf000, v10
	v_add_nc_u16 v15, 0xf000, v15
	v_perm_b32 v77, v77, v163, 0xc0c0105
	v_add_nc_u16 v163, 0xf000, v175
	v_add_nc_u16 v57, 0xf000, v57
	;; [unrolled: 1-line block ×7, first 2 shown]
	v_perm_b32 v78, v78, v165, 0xc0c0105
	v_add_nc_u16 v165, 0xf000, v177
	v_add_nc_u16 v58, 0xf000, v58
	;; [unrolled: 1-line block ×5, first 2 shown]
	v_and_b32_e32 v179, 0x1f00, v60
	v_lshlrev_b16 v60, 8, v60
	v_or_b32_sdwa v11, v168, v11 dst_sel:DWORD dst_unused:UNUSED_PAD src0_sel:DWORD src1_sel:BYTE_1
	v_perm_b32 v12, v12, v171, 0xc0c0105
	v_lshl_or_b32 v19, v19, 16, v75
	v_and_b32_e32 v75, 0xffff, v76
	v_perm_b32 v21, v21, v85, 0xc0c0105
	v_perm_b32 v10, v10, v86, 0xc0c0105
	v_and_b32_e32 v15, 0xffff, v15
	v_lshrrev_b32_e32 v185, 12, v59
	v_lshrrev_b32_e32 v186, 5, v59
	v_lshlrev_b32_e32 v187, 2, v59
	v_lshlrev_b32_e32 v59, 9, v59
	v_perm_b32 v57, v57, v163, 0xc0c0105
	v_perm_b32 v8, v8, v164, 0xc0c0105
	v_and_b32_e32 v14, 0xffff, v14
	v_perm_b32 v81, v81, v167, 0xc0c0105
	v_perm_b32 v58, v58, v165, 0xc0c0105
	;; [unrolled: 1-line block ×3, first 2 shown]
	v_and_b32_e32 v13, 0xffff, v13
	v_add_nc_u16 v167, 0xf000, v179
	v_add_nc_u16 v60, 0xf000, v60
	;; [unrolled: 1-line block ×3, first 2 shown]
	v_lshl_or_b32 v12, v12, 16, v75
	v_lshl_or_b32 v10, v10, 16, v77
	;; [unrolled: 1-line block ×3, first 2 shown]
	v_and_b32_e32 v69, 0xf0f0f0f, v69
	v_and_b32_e32 v187, 0x100000, v187
	;; [unrolled: 1-line block ×3, first 2 shown]
	v_lshl_or_b32 v8, v8, 16, v78
	v_lshl_or_b32 v14, v57, 16, v14
	;; [unrolled: 1-line block ×4, first 2 shown]
	v_perm_b32 v60, v60, v167, 0xc0c0105
	v_and_b32_e32 v11, 0xffff, v11
	ds_write2_b32 v96, v19, v12 offset1:1
	ds_write2_b32 v99, v15, v10 offset1:1
	ds_write2_b32 v100, v14, v8 offset1:1
	ds_write2_b32 v102, v13, v9 offset1:1
	v_add_co_u32 v8, vcc_lo, v63, v94
	v_and_b32_e32 v185, 16, v185
	v_and_b32_e32 v186, 0x1000, v186
	v_or3_b32 v59, v69, v187, v59
	v_add_co_ci_u32_e64 v9, null, 0, v64, vcc_lo
	v_add_co_u32 v10, vcc_lo, v65, v94
	v_lshl_or_b32 v21, v60, 16, v11
	v_add_co_ci_u32_e64 v11, null, 0, v66, vcc_lo
	v_add_co_u32 v12, vcc_lo, v67, v94
	v_add_co_ci_u32_e64 v13, null, 0, v68, vcc_lo
	v_lshlrev_b32_e32 v188, 4, v70
	v_lshlrev_b32_e32 v189, 11, v70
	v_or3_b32 v82, v185, v69, v186
	v_lshrrev_b32_e32 v59, 16, v59
	s_clause 0x7
	global_load_dword v15, v[73:74], off offset:6
	global_load_dword v19, v[8:9], off offset:6
	;; [unrolled: 1-line block ×8, first 2 shown]
	v_lshlrev_b32_e32 v190, 18, v70
	v_lshlrev_b32_e32 v191, 25, v70
	v_and_b32_e32 v188, 16, v188
	v_and_b32_e32 v189, 0x1000, v189
	;; [unrolled: 1-line block ×3, first 2 shown]
	v_lshlrev_b16 v82, 8, v82
	v_and_b32_e32 v180, 0x1f00, v59
	v_lshlrev_b16 v59, 8, v59
	v_lshrrev_b32_e32 v192, 12, v70
	v_lshrrev_b32_e32 v193, 5, v70
	v_lshlrev_b32_e32 v194, 2, v70
	v_lshlrev_b32_e32 v70, 9, v70
	v_and_b32_e32 v190, 0x100000, v190
	v_and_b32_e32 v191, 0x10000000, v191
	v_or3_b32 v69, v188, v71, v189
	v_add_nc_u16 v169, 0xf000, v169
	v_add_nc_u16 v82, 0xf000, v82
	;; [unrolled: 1-line block ×4, first 2 shown]
	v_and_b32_e32 v72, 0xf0f0f0f, v72
	v_and_b32_e32 v194, 0x100000, v194
	;; [unrolled: 1-line block ×3, first 2 shown]
	v_or3_b32 v71, v71, v190, v191
	v_and_b32_e32 v170, 0x1f00, v69
	v_lshlrev_b16 v69, 8, v69
	v_perm_b32 v82, v82, v169, 0xc0c0105
	v_perm_b32 v59, v59, v168, 0xc0c0105
	v_and_b32_e32 v192, 16, v192
	v_and_b32_e32 v193, 0x1000, v193
	v_lshrrev_b32_e32 v71, 16, v71
	v_add_nc_u16 v69, 0xf000, v69
	v_lshl_or_b32 v59, v59, 16, v82
	v_or3_b32 v14, v72, v194, v70
	v_ashrrev_i32_e32 v7, v94, v7
	v_or3_b32 v83, v192, v72, v193
	v_and_b32_e32 v181, 0x1f00, v71
	v_lshlrev_b16 v71, 8, v71
	v_or_b32_sdwa v69, v170, v69 dst_sel:DWORD dst_unused:UNUSED_PAD src0_sel:DWORD src1_sel:BYTE_1
	ds_write2_b32 v103, v21, v59 offset1:1
	v_lshrrev_b32_e32 v12, 16, v14
	v_lshlrev_b32_e32 v59, 4, v7
	v_lshlrev_b32_e32 v62, 18, v7
	;; [unrolled: 1-line block ×4, first 2 shown]
	v_add_nc_u16 v169, 0xf000, v181
	v_add_nc_u16 v71, 0xf000, v71
	;; [unrolled: 1-line block ×3, first 2 shown]
	v_and_b32_e32 v10, 0x1f00, v83
	v_lshlrev_b16 v14, 8, v83
	v_and_b32_e32 v21, 0x1f00, v12
	v_lshlrev_b16 v12, 8, v12
	s_waitcnt vmcnt(17)
	v_and_b32_e32 v65, 0xf0f0f0f, v6
	v_and_b32_e32 v59, 16, v59
	v_and_b32_e32 v62, 0x100000, v62
	v_and_b32_e32 v63, 0x10000000, v63
	v_and_b32_e32 v64, 0x1000, v64
	v_perm_b32 v11, v71, v169, 0xc0c0105
	v_and_b32_e32 v13, 0xffff, v69
	v_add_nc_u16 v10, 0xf000, v10
	v_add_nc_u16 v14, 0xf000, v14
	;; [unrolled: 1-line block ×4, first 2 shown]
	v_or3_b32 v62, v65, v62, v63
	v_or3_b32 v59, v59, v65, v64
	v_lshl_or_b32 v11, v11, 16, v13
	v_perm_b32 v10, v14, v10, 0xc0c0105
	v_perm_b32 v12, v12, v21, 0xc0c0105
	v_lshrrev_b32_e32 v13, 16, v62
	v_and_b32_e32 v14, 0x1f00, v59
	v_lshlrev_b16 v21, 8, v59
	v_lshrrev_b32_e32 v6, 4, v6
	v_lshrrev_b32_e32 v59, 12, v7
	;; [unrolled: 1-line block ×3, first 2 shown]
	v_lshlrev_b32_e32 v63, 2, v7
	v_lshlrev_b32_e32 v7, 9, v7
	v_and_b32_e32 v6, 0xf0f0f0f, v6
	v_and_b32_e32 v59, 16, v59
	v_and_b32_e32 v62, 0x1000, v62
	v_and_b32_e32 v63, 0x100000, v63
	v_and_b32_e32 v7, 0x10000000, v7
	v_add_nc_u16 v14, 0xf000, v14
	v_add_nc_u16 v21, 0xf000, v21
	v_or3_b32 v59, v59, v6, v62
	v_lshl_or_b32 v10, v12, 16, v10
	v_or3_b32 v6, v6, v63, v7
	v_and_b32_e32 v7, 0x1f00, v13
	v_perm_b32 v12, v21, v14, 0xc0c0105
	v_lshlrev_b16 v14, 8, v59
	v_lshlrev_b16 v13, 8, v13
	v_lshrrev_b32_e32 v6, 16, v6
	v_and_b32_e32 v21, 0x1f00, v59
	v_add_nc_u16 v7, 0xf000, v7
	v_add_nc_u16 v14, 0xf000, v14
	;; [unrolled: 1-line block ×3, first 2 shown]
	v_and_b32_e32 v59, 0x1f00, v6
	v_ashrrev_i32_e32 v5, v94, v5
	v_lshlrev_b16 v6, 8, v6
	v_or_b32_sdwa v14, v21, v14 dst_sel:DWORD dst_unused:UNUSED_PAD src0_sel:DWORD src1_sel:BYTE_1
	v_perm_b32 v7, v13, v7, 0xc0c0105
	v_add_nc_u16 v13, 0xf000, v59
	v_lshlrev_b32_e32 v21, 4, v5
	v_add_nc_u16 v6, 0xf000, v6
	v_add_nc_u16 v14, 0xf000, v14
	v_lshlrev_b32_e32 v59, 11, v5
	v_lshlrev_b32_e32 v63, 18, v5
	v_lshlrev_b32_e32 v64, 25, v5
	s_waitcnt vmcnt(16)
	v_and_b32_e32 v62, 0xf0f0f0f, v4
	v_and_b32_e32 v21, 16, v21
	;; [unrolled: 1-line block ×3, first 2 shown]
	v_perm_b32 v6, v6, v13, 0xc0c0105
	v_and_b32_e32 v13, 0xffff, v14
	v_and_b32_e32 v14, 0x100000, v63
	;; [unrolled: 1-line block ×3, first 2 shown]
	v_or3_b32 v21, v21, v62, v59
	ds_write2_b32 v104, v11, v10 offset1:1
	v_lshl_or_b32 v7, v7, 16, v12
	v_lshl_or_b32 v6, v6, 16, v13
	v_or3_b32 v10, v62, v14, v63
	v_lshrrev_b32_e32 v4, 4, v4
	v_lshlrev_b32_e32 v12, 2, v5
	v_lshlrev_b32_e32 v13, 9, v5
	v_and_b32_e32 v11, 0x1f00, v21
	v_lshrrev_b32_e32 v10, 16, v10
	v_and_b32_e32 v4, 0xf0f0f0f, v4
	v_and_b32_e32 v12, 0x100000, v12
	;; [unrolled: 1-line block ×3, first 2 shown]
	v_lshlrev_b16 v14, 8, v21
	v_lshrrev_b32_e32 v21, 12, v5
	v_lshrrev_b32_e32 v5, 5, v5
	v_add_nc_u16 v11, 0xf000, v11
	v_and_b32_e32 v59, 0x1f00, v10
	v_or3_b32 v12, v4, v12, v13
	v_lshlrev_b16 v10, 8, v10
	v_and_b32_e32 v13, 16, v21
	v_and_b32_e32 v5, 0x1000, v5
	v_add_nc_u16 v14, 0xf000, v14
	v_add_nc_u16 v21, 0xf000, v59
	v_add_nc_u16 v10, 0xf000, v10
	ds_write2_b32 v106, v7, v6 offset1:1
	v_or3_b32 v4, v13, v4, v5
	v_perm_b32 v6, v14, v11, 0xc0c0105
	s_waitcnt vmcnt(8)
	v_ashrrev_i32_e32 v11, v94, v18
	v_perm_b32 v7, v10, v21, 0xc0c0105
	v_and_b32_e32 v59, 0xf0f0f0f, v79
	v_lshlrev_b16 v10, 8, v4
	v_and_b32_e32 v4, 0x1f00, v4
	v_lshlrev_b32_e32 v13, 4, v11
	v_lshlrev_b32_e32 v14, 18, v11
	v_lshlrev_b32_e32 v18, 25, v11
	v_lshlrev_b32_e32 v21, 11, v11
	v_add_nc_u16 v10, 0xf000, v10
	v_and_b32_e32 v13, 16, v13
	v_and_b32_e32 v14, 0x100000, v14
	;; [unrolled: 1-line block ×4, first 2 shown]
	v_lshrrev_b32_e32 v12, 16, v12
	v_or_b32_sdwa v4, v4, v10 dst_sel:DWORD dst_unused:UNUSED_PAD src0_sel:DWORD src1_sel:BYTE_1
	v_lshl_or_b32 v62, v7, 16, v6
	v_or3_b32 v6, v59, v14, v18
	v_or3_b32 v7, v13, v59, v21
	v_lshrrev_b32_e32 v10, 4, v79
	v_lshlrev_b32_e32 v13, 2, v11
	v_lshlrev_b32_e32 v14, 9, v11
	v_lshrrev_b32_e32 v18, 12, v11
	v_lshrrev_b32_e32 v11, 5, v11
	v_and_b32_e32 v5, 0x1f00, v12
	v_lshlrev_b16 v12, 8, v12
	v_and_b32_e32 v10, 0xf0f0f0f, v10
	v_and_b32_e32 v13, 0x100000, v13
	;; [unrolled: 1-line block ×5, first 2 shown]
	v_add_nc_u16 v5, 0xf000, v5
	v_add_nc_u16 v12, 0xf000, v12
	v_or3_b32 v13, v10, v13, v14
	v_lshrrev_b32_e32 v6, 16, v6
	v_or3_b32 v10, v18, v10, v11
	v_ashrrev_i32_e32 v18, v94, v20
	v_perm_b32 v5, v12, v5, 0xc0c0105
	v_and_b32_e32 v12, 0x1f00, v7
	v_lshlrev_b16 v7, 8, v7
	v_lshrrev_b32_e32 v11, 16, v13
	v_lshlrev_b16 v13, 8, v10
	v_and_b32_e32 v14, 0x1f00, v6
	v_add_nc_u16 v12, 0xf000, v12
	v_add_nc_u16 v7, 0xf000, v7
	v_and_b32_e32 v10, 0x1f00, v10
	v_add_nc_u16 v13, 0xf000, v13
	v_lshlrev_b16 v6, 8, v6
	v_lshlrev_b32_e32 v59, 18, v18
	v_perm_b32 v7, v7, v12, 0xc0c0105
	v_add_nc_u16 v12, 0xf000, v14
	v_and_b32_e32 v14, 0x1f00, v11
	v_lshlrev_b16 v11, 8, v11
	v_or_b32_sdwa v10, v10, v13 dst_sel:DWORD dst_unused:UNUSED_PAD src0_sel:DWORD src1_sel:BYTE_1
	v_lshlrev_b32_e32 v63, 25, v18
	v_add_nc_u16 v4, 0xf000, v4
	v_add_nc_u16 v14, 0xf000, v14
	v_lshlrev_b32_e32 v20, 4, v18
	v_lshlrev_b32_e32 v13, 11, v18
	v_add_nc_u16 v11, 0xf000, v11
	v_add_nc_u16 v10, 0xf000, v10
	v_add_nc_u16 v6, 0xf000, v6
	v_and_b32_e32 v21, 0xf0f0f0f, v80
	v_and_b32_e32 v59, 0x100000, v59
	;; [unrolled: 1-line block ×6, first 2 shown]
	v_perm_b32 v11, v11, v14, 0xc0c0105
	v_and_b32_e32 v10, 0xffff, v10
	v_perm_b32 v6, v6, v12, 0xc0c0105
	v_or3_b32 v12, v21, v59, v63
	v_or3_b32 v13, v20, v21, v13
	v_lshl_or_b32 v20, v5, 16, v4
	v_lshl_or_b32 v59, v11, 16, v10
	v_lshrrev_b32_e32 v4, 4, v80
	v_lshlrev_b32_e32 v5, 2, v18
	v_lshlrev_b32_e32 v10, 9, v18
	v_lshl_or_b32 v21, v6, 16, v7
	v_lshrrev_b32_e32 v6, 16, v12
	v_lshrrev_b32_e32 v11, 12, v18
	;; [unrolled: 1-line block ×3, first 2 shown]
	v_and_b32_e32 v14, 0x1f00, v13
	v_lshlrev_b16 v7, 8, v13
	v_and_b32_e32 v13, 0xf0f0f0f, v4
	v_and_b32_e32 v18, 0x100000, v5
	;; [unrolled: 1-line block ×3, first 2 shown]
	v_mad_u64_u32 v[4:5], null, v89, 22, s[0:1]
	v_and_b32_e32 v11, 16, v11
	v_and_b32_e32 v12, 0x1000, v12
	v_or3_b32 v10, v13, v18, v10
	v_add_nc_u16 v18, 0xf000, v7
	v_and_b32_e32 v63, 0x1f00, v6
	v_lshlrev_b16 v64, 8, v6
	v_or3_b32 v65, v11, v13, v12
	v_mad_u64_u32 v[6:7], null, v118, 22, v[4:5]
	v_mad_u64_u32 v[12:13], null, v125, 22, v[4:5]
	v_lshrrev_b32_e32 v66, 16, v10
	v_mad_u64_u32 v[10:11], null, v123, 22, v[4:5]
	v_mad_u64_u32 v[4:5], null, v127, 22, v[4:5]
	s_clause 0x3
	global_load_ushort v6, v[6:7], off
	global_load_ushort v7, v[10:11], off
	;; [unrolled: 1-line block ×4, first 2 shown]
	v_lshlrev_b16 v67, 8, v65
	v_and_b32_e32 v65, 0x1f00, v65
	v_add_nc_u16 v14, 0xf000, v14
	v_and_b32_e32 v68, 0x1f00, v66
	v_add_nc_u16 v5, 0xf000, v63
	v_add_nc_u16 v10, 0xf000, v67
	v_lshlrev_b16 v12, 8, v66
	v_add_nc_u16 v13, 0xf000, v64
	v_ashrrev_i32_e32 v17, v94, v17
	v_add_nc_u16 v63, 0xf000, v68
	v_or_b32_sdwa v10, v65, v10 dst_sel:DWORD dst_unused:UNUSED_PAD src0_sel:DWORD src1_sel:BYTE_1
	v_add_nc_u16 v12, 0xf000, v12
	v_perm_b32 v14, v18, v14, 0xc0c0105
	v_perm_b32 v5, v13, v5, 0xc0c0105
	v_lshlrev_b32_e32 v13, 4, v17
	v_add_nc_u16 v10, 0xf000, v10
	v_lshlrev_b32_e32 v18, 11, v17
	v_perm_b32 v12, v12, v63, 0xc0c0105
	v_and_b32_e32 v63, 0xf0f0f0f, v16
	v_and_b32_e32 v13, 16, v13
	v_and_b32_e32 v10, 0xffff, v10
	v_lshlrev_b32_e32 v64, 18, v17
	v_lshlrev_b32_e32 v65, 25, v17
	v_and_b32_e32 v18, 0x1000, v18
	v_lshl_or_b32 v5, v5, 16, v14
	v_lshl_or_b32 v10, v12, 16, v10
	v_and_b32_e32 v12, 0x100000, v64
	v_and_b32_e32 v14, 0x10000000, v65
	v_or3_b32 v13, v13, v63, v18
	ds_write2_b32 v107, v62, v20 offset1:1
	ds_write2_b32 v108, v21, v59 offset1:1
	;; [unrolled: 1-line block ×3, first 2 shown]
	v_lshrrev_b32_e32 v18, 12, v17
	v_ashrrev_i32_e32 v3, v94, v3
	v_or3_b32 v5, v63, v12, v14
	v_and_b32_e32 v10, 0x1f00, v13
	v_lshlrev_b16 v12, 8, v13
	v_lshrrev_b32_e32 v13, 4, v16
	v_lshlrev_b32_e32 v14, 2, v17
	v_lshlrev_b32_e32 v16, 9, v17
	v_lshrrev_b32_e32 v17, 5, v17
	v_and_b32_e32 v18, 16, v18
	v_and_b32_e32 v13, 0xf0f0f0f, v13
	;; [unrolled: 1-line block ×5, first 2 shown]
	v_lshrrev_b32_e32 v5, 16, v5
	v_add_nc_u16 v10, 0xf000, v10
	v_add_nc_u16 v12, 0xf000, v12
	v_or3_b32 v14, v13, v14, v16
	v_or3_b32 v13, v18, v13, v17
	v_and_b32_e32 v16, 0x1f00, v5
	v_lshlrev_b16 v5, 8, v5
	v_perm_b32 v10, v12, v10, 0xc0c0105
	v_lshrrev_b32_e32 v14, 16, v14
	v_lshlrev_b16 v12, 8, v13
	v_add_nc_u16 v16, 0xf000, v16
	v_add_nc_u16 v5, 0xf000, v5
	v_and_b32_e32 v13, 0x1f00, v13
	v_and_b32_e32 v17, 0x1f00, v14
	v_add_nc_u16 v12, 0xf000, v12
	v_lshlrev_b32_e32 v18, 25, v3
	v_perm_b32 v5, v5, v16, 0xc0c0105
	v_lshlrev_b32_e32 v20, 11, v3
	v_add_nc_u16 v16, 0xf000, v17
	v_or_b32_sdwa v12, v13, v12 dst_sel:DWORD dst_unused:UNUSED_PAD src0_sel:DWORD src1_sel:BYTE_1
	v_lshlrev_b32_e32 v13, 4, v3
	v_lshlrev_b32_e32 v17, 18, v3
	v_lshlrev_b16 v14, 8, v14
	v_and_b32_e32 v21, 0xf0f0f0f, v2
	v_and_b32_e32 v18, 0x10000000, v18
	;; [unrolled: 1-line block ×5, first 2 shown]
	v_add_nc_u16 v14, 0xf000, v14
	v_lshl_or_b32 v5, v5, 16, v10
	v_lshrrev_b32_e32 v2, 4, v2
	v_or3_b32 v10, v21, v17, v18
	v_or3_b32 v13, v13, v21, v20
	v_lshlrev_b32_e32 v17, 2, v3
	v_lshlrev_b32_e32 v18, 9, v3
	v_lshrrev_b32_e32 v20, 12, v3
	v_lshrrev_b32_e32 v3, 5, v3
	v_perm_b32 v14, v14, v16, 0xc0c0105
	v_and_b32_e32 v16, 0x1f00, v13
	v_and_b32_e32 v2, 0xf0f0f0f, v2
	;; [unrolled: 1-line block ×4, first 2 shown]
	v_lshlrev_b16 v13, 8, v13
	v_and_b32_e32 v20, 16, v20
	v_and_b32_e32 v3, 0x1000, v3
	v_add_nc_u16 v12, 0xf000, v12
	v_lshrrev_b32_e32 v10, 16, v10
	v_add_nc_u16 v16, 0xf000, v16
	v_or3_b32 v17, v2, v17, v18
	v_add_nc_u16 v13, 0xf000, v13
	v_or3_b32 v2, v20, v2, v3
	v_and_b32_e32 v12, 0xffff, v12
	v_and_b32_e32 v18, 0x1f00, v10
	v_lshlrev_b16 v10, 8, v10
	v_perm_b32 v13, v13, v16, 0xc0c0105
	v_lshlrev_b16 v16, 8, v2
	v_lshl_or_b32 v3, v14, 16, v12
	v_lshrrev_b32_e32 v12, 16, v17
	v_add_nc_u16 v14, 0xf000, v18
	v_and_b32_e32 v2, 0x1f00, v2
	v_add_nc_u16 v16, 0xf000, v16
	s_waitcnt vmcnt(4)
	v_ashrrev_i32_e32 v18, v94, v61
	v_and_b32_e32 v17, 0x1f00, v12
	v_lshlrev_b16 v12, 8, v12
	v_add_nc_u16 v10, 0xf000, v10
	v_or_b32_sdwa v2, v2, v16 dst_sel:DWORD dst_unused:UNUSED_PAD src0_sel:DWORD src1_sel:BYTE_1
	v_lshlrev_b32_e32 v16, 4, v18
	v_lshlrev_b32_e32 v20, 11, v18
	;; [unrolled: 1-line block ×4, first 2 shown]
	v_add_nc_u16 v17, 0xf000, v17
	v_add_nc_u16 v12, 0xf000, v12
	v_and_b32_e32 v21, 0xf0f0f0f, v15
	v_and_b32_e32 v16, 16, v16
	;; [unrolled: 1-line block ×3, first 2 shown]
	v_add_nc_u16 v2, 0xf000, v2
	v_and_b32_e32 v59, 0x100000, v59
	v_and_b32_e32 v61, 0x10000000, v61
	v_perm_b32 v10, v10, v14, 0xc0c0105
	v_or3_b32 v14, v16, v21, v20
	v_perm_b32 v12, v12, v17, 0xc0c0105
	v_and_b32_e32 v2, 0xffff, v2
	v_or3_b32 v16, v21, v59, v61
	ds_write2_b32 v111, v5, v3 offset1:1
	v_and_b32_e32 v3, 0x1f00, v14
	v_lshl_or_b32 v5, v10, 16, v13
	v_lshl_or_b32 v2, v12, 16, v2
	v_lshrrev_b32_e32 v10, 16, v16
	v_lshrrev_b32_e32 v12, 4, v15
	v_lshlrev_b16 v13, 8, v14
	v_lshlrev_b32_e32 v14, 2, v18
	v_lshlrev_b32_e32 v15, 9, v18
	v_lshrrev_b32_e32 v16, 12, v18
	v_lshrrev_b32_e32 v17, 5, v18
	v_and_b32_e32 v12, 0xf0f0f0f, v12
	v_and_b32_e32 v14, 0x100000, v14
	;; [unrolled: 1-line block ×5, first 2 shown]
	v_add_nc_u16 v3, 0xf000, v3
	v_and_b32_e32 v18, 0x1f00, v10
	v_lshlrev_b16 v10, 8, v10
	v_or3_b32 v14, v12, v14, v15
	v_add_nc_u16 v13, 0xf000, v13
	v_or3_b32 v12, v16, v12, v17
	v_add_nc_u16 v15, 0xf000, v18
	v_add_nc_u16 v10, 0xf000, v10
	v_lshrrev_b32_e32 v14, 16, v14
	ds_write2_b32 v112, v5, v2 offset1:1
	v_perm_b32 v2, v13, v3, 0xc0c0105
	v_lshlrev_b16 v3, 8, v12
	v_perm_b32 v5, v10, v15, 0xc0c0105
	v_and_b32_e32 v10, 0x1f00, v14
	v_ashrrev_i32_e32 v13, v94, v60
	v_and_b32_e32 v12, 0x1f00, v12
	v_add_nc_u16 v3, 0xf000, v3
	v_lshl_or_b32 v2, v5, 16, v2
	v_add_nc_u16 v5, 0xf000, v10
	v_lshlrev_b32_e32 v10, 4, v13
	v_lshlrev_b16 v14, 8, v14
	v_or_b32_sdwa v3, v12, v3 dst_sel:DWORD dst_unused:UNUSED_PAD src0_sel:DWORD src1_sel:BYTE_1
	v_lshlrev_b32_e32 v12, 11, v13
	v_lshlrev_b32_e32 v16, 18, v13
	;; [unrolled: 1-line block ×3, first 2 shown]
	v_and_b32_e32 v15, 0xf0f0f0f, v19
	v_and_b32_e32 v10, 16, v10
	;; [unrolled: 1-line block ×3, first 2 shown]
	v_add_nc_u16 v14, 0xf000, v14
	v_and_b32_e32 v16, 0x100000, v16
	v_and_b32_e32 v17, 0x10000000, v17
	v_add_nc_u16 v3, 0xf000, v3
	v_or3_b32 v10, v10, v15, v12
	v_perm_b32 v5, v14, v5, 0xc0c0105
	v_lshrrev_b32_e32 v12, 4, v19
	v_or3_b32 v14, v15, v16, v17
	v_lshrrev_b32_e32 v16, 12, v13
	v_lshrrev_b32_e32 v17, 5, v13
	v_lshlrev_b32_e32 v18, 2, v13
	v_and_b32_e32 v12, 0xf0f0f0f, v12
	v_lshlrev_b32_e32 v13, 9, v13
	v_and_b32_e32 v16, 16, v16
	v_and_b32_e32 v17, 0x1000, v17
	;; [unrolled: 1-line block ×4, first 2 shown]
	v_lshlrev_b16 v10, 8, v10
	v_and_b32_e32 v18, 0x100000, v18
	v_and_b32_e32 v13, 0x10000000, v13
	v_or3_b32 v16, v16, v12, v17
	v_add_nc_u16 v15, 0xf000, v15
	v_add_nc_u16 v10, 0xf000, v10
	v_lshrrev_b32_e32 v14, 16, v14
	v_or3_b32 v12, v12, v18, v13
	v_lshl_or_b32 v3, v5, 16, v3
	v_lshlrev_b16 v5, 8, v16
	v_perm_b32 v10, v10, v15, 0xc0c0105
	v_and_b32_e32 v13, 0x1f00, v14
	v_lshrrev_b32_e32 v12, 16, v12
	v_and_b32_e32 v15, 0x1f00, v16
	v_add_nc_u16 v5, 0xf000, v5
	v_lshlrev_b16 v14, 8, v14
	v_add_nc_u16 v13, 0xf000, v13
	v_and_b32_e32 v16, 0x1f00, v12
	v_lshlrev_b16 v12, 8, v12
	v_or_b32_sdwa v5, v15, v5 dst_sel:DWORD dst_unused:UNUSED_PAD src0_sel:DWORD src1_sel:BYTE_1
	v_add_nc_u16 v14, 0xf000, v14
	v_ashrrev_i32_e32 v15, v94, v58
	v_add_nc_u16 v16, 0xf000, v16
	v_add_nc_u16 v12, 0xf000, v12
	;; [unrolled: 1-line block ×3, first 2 shown]
	v_perm_b32 v13, v14, v13, 0xc0c0105
	v_lshlrev_b32_e32 v14, 4, v15
	v_lshlrev_b32_e32 v17, 11, v15
	v_perm_b32 v12, v12, v16, 0xc0c0105
	v_and_b32_e32 v5, 0xffff, v5
	v_and_b32_e32 v16, 0xf0f0f0f, v57
	;; [unrolled: 1-line block ×4, first 2 shown]
	v_lshlrev_b32_e32 v18, 25, v15
	v_lshl_or_b32 v10, v13, 16, v10
	v_lshlrev_b32_e32 v13, 18, v15
	v_lshl_or_b32 v5, v12, 16, v5
	v_or3_b32 v12, v14, v16, v17
	v_lshrrev_b32_e32 v14, 4, v57
	v_and_b32_e32 v17, 0x10000000, v18
	v_lshlrev_b32_e32 v18, 2, v15
	v_lshlrev_b32_e32 v19, 9, v15
	v_and_b32_e32 v13, 0x100000, v13
	v_and_b32_e32 v14, 0xf0f0f0f, v14
	v_lshrrev_b32_e32 v20, 12, v15
	v_lshrrev_b32_e32 v15, 5, v15
	v_and_b32_e32 v18, 0x100000, v18
	v_and_b32_e32 v19, 0x10000000, v19
	v_or3_b32 v13, v16, v13, v17
	v_and_b32_e32 v16, 16, v20
	v_and_b32_e32 v15, 0x1000, v15
	;; [unrolled: 1-line block ×3, first 2 shown]
	v_or3_b32 v18, v14, v18, v19
	v_lshrrev_b32_e32 v13, 16, v13
	v_lshlrev_b16 v12, 8, v12
	v_or3_b32 v14, v16, v14, v15
	v_add_nc_u16 v15, 0xf000, v17
	v_lshrrev_b32_e32 v16, 16, v18
	v_and_b32_e32 v17, 0x1f00, v13
	v_lshlrev_b16 v13, 8, v13
	v_lshlrev_b16 v18, 8, v14
	v_add_nc_u16 v12, 0xf000, v12
	v_and_b32_e32 v19, 0x1f00, v16
	v_lshlrev_b16 v16, 8, v16
	v_and_b32_e32 v14, 0x1f00, v14
	v_add_nc_u16 v18, 0xf000, v18
	v_add_nc_u16 v17, 0xf000, v17
	v_add_nc_u16 v13, 0xf000, v13
	v_add_nc_u16 v19, 0xf000, v19
	v_add_nc_u16 v16, 0xf000, v16
	v_ashrrev_i32_e32 v9, v94, v9
	v_or_b32_sdwa v14, v14, v18 dst_sel:DWORD dst_unused:UNUSED_PAD src0_sel:DWORD src1_sel:BYTE_1
	v_perm_b32 v12, v12, v15, 0xc0c0105
	v_perm_b32 v13, v13, v17, 0xc0c0105
	;; [unrolled: 1-line block ×3, first 2 shown]
	v_lshlrev_b32_e32 v16, 4, v9
	v_lshlrev_b32_e32 v17, 11, v9
	v_and_b32_e32 v18, 0xf0f0f0f, v8
	v_lshlrev_b32_e32 v19, 18, v9
	v_lshlrev_b32_e32 v20, 25, v9
	v_lshrrev_b32_e32 v8, 4, v8
	v_lshrrev_b32_e32 v21, 12, v9
	;; [unrolled: 1-line block ×3, first 2 shown]
	v_and_b32_e32 v16, 16, v16
	v_and_b32_e32 v17, 0x1000, v17
	;; [unrolled: 1-line block ×5, first 2 shown]
	v_lshlrev_b32_e32 v58, 2, v9
	v_lshlrev_b32_e32 v9, 9, v9
	v_and_b32_e32 v21, 16, v21
	v_and_b32_e32 v57, 0x1000, v57
	v_or3_b32 v16, v16, v18, v17
	v_and_b32_e32 v17, 0x100000, v58
	v_and_b32_e32 v9, 0x10000000, v9
	v_or3_b32 v18, v18, v19, v20
	v_or3_b32 v19, v21, v8, v57
	v_and_b32_e32 v20, 0x1f00, v16
	v_lshlrev_b16 v16, 8, v16
	v_or3_b32 v8, v8, v17, v9
	v_lshrrev_b32_e32 v9, 16, v18
	v_lshlrev_b16 v17, 8, v19
	v_and_b32_e32 v19, 0x1f00, v19
	v_add_nc_u16 v18, 0xf000, v20
	v_lshrrev_b32_e32 v8, 16, v8
	v_and_b32_e32 v20, 0x1f00, v9
	v_add_nc_u16 v17, 0xf000, v17
	v_lshlrev_b16 v9, 8, v9
	v_add_nc_u16 v16, 0xf000, v16
	v_and_b32_e32 v21, 0x1f00, v8
	v_lshlrev_b16 v8, 8, v8
	v_or_b32_sdwa v17, v19, v17 dst_sel:DWORD dst_unused:UNUSED_PAD src0_sel:DWORD src1_sel:BYTE_1
	v_add_nc_u16 v19, 0xf000, v20
	v_add_nc_u16 v9, 0xf000, v9
	;; [unrolled: 1-line block ×6, first 2 shown]
	v_perm_b32 v16, v16, v18, 0xc0c0105
	v_perm_b32 v9, v9, v19, 0xc0c0105
	;; [unrolled: 1-line block ×3, first 2 shown]
	v_and_b32_e32 v17, 0xffff, v17
	v_and_b32_e32 v14, 0xffff, v14
	ds_write2_b32 v113, v2, v3 offset1:1
	v_lshl_or_b32 v2, v9, 16, v16
	v_lshl_or_b32 v12, v13, 16, v12
	;; [unrolled: 1-line block ×4, first 2 shown]
	ds_write2_b32 v115, v10, v5 offset1:1
	ds_write2_b32 v116, v12, v13 offset1:1
	s_waitcnt vmcnt(3)
	v_cvt_f32_f16_e32 v5, v6
	ds_write2_b32 v117, v2, v3 offset1:1
	s_waitcnt vmcnt(1)
	v_cvt_f32_f16_e32 v2, v11
	v_cvt_f32_f16_e32 v6, v7
	s_waitcnt vmcnt(0)
	v_cvt_f32_f16_e32 v3, v4
	ds_write_b32 v152, v5
	ds_write_b32 v153, v6
	;; [unrolled: 1-line block ×4, first 2 shown]
	s_cbranch_scc0 .LBB141_5
; %bb.7:                                ;   in Loop: Header=BB141_6 Depth=1
	v_add_nc_u32_e32 v14, s14, v90
	v_add_nc_u32_e32 v163, s14, v24
	v_add_nc_u32_e32 v164, v128, v129
	v_mov_b32_e32 v165, v146
	v_mov_b32_e32 v166, v139
	v_add_nc_u32_e32 v2, v14, v131
	v_add_nc_u32_e32 v4, v14, v132
	;; [unrolled: 1-line block ×5, first 2 shown]
	v_mad_u64_u32 v[12:13], null, v163, 36, s[2:3]
	v_mad_i64_i32 v[2:3], null, v2, 36, v[25:26]
	v_add_nc_u32_e32 v15, v14, v136
	v_mad_i64_i32 v[4:5], null, v4, 36, v[25:26]
	v_add_nc_u32_e32 v16, v14, v137
	;; [unrolled: 2-line block ×3, first 2 shown]
	v_mad_i64_i32 v[8:9], null, v8, 36, v[25:26]
	v_mad_i64_i32 v[10:11], null, v10, 36, v[25:26]
	v_mad_i64_i32 v[14:15], null, v15, 36, v[25:26]
	v_mad_i64_i32 v[16:17], null, v16, 36, v[25:26]
	v_mad_i64_i32 v[18:19], null, v18, 36, v[25:26]
	s_clause 0x8
	global_load_dword v12, v[12:13], off
	global_load_dword v2, v[2:3], off offset:4
	global_load_dword v3, v[4:5], off offset:4
	;; [unrolled: 1-line block ×8, first 2 shown]
	v_mov_b32_e32 v167, v145
	v_mov_b32_e32 v168, v144
	;; [unrolled: 1-line block ×5, first 2 shown]
	s_mov_b32 s0, -4
	s_waitcnt vmcnt(8)
	v_cvt_f32_f16_e32 v10, v12
	s_waitcnt vmcnt(7)
	ds_write_b32 v164, v2
	s_waitcnt vmcnt(6)
	ds_write_b32 v156, v3
	;; [unrolled: 2-line block ×8, first 2 shown]
	ds_write_b32 v130, v10
	s_waitcnt lgkmcnt(0)
	s_barrier
	buffer_gl0_inv
.LBB141_8:                              ;   Parent Loop BB141_6 Depth=1
                                        ; =>  This Inner Loop Header: Depth=2
	v_add_nc_u32_e32 v10, 0x2080, v166
	ds_read_b128 v[6:9], v165
	ds_read2_b32 v[63:64], v166 offset1:1
	ds_read_b128 v[2:5], v165 offset:16
	v_mov_b32_e32 v173, 0
	v_mov_b32_e32 v172, 0
	ds_read2_b32 v[59:60], v10 offset1:1
	v_add_nc_u32_e32 v10, 0x4100, v166
	v_mov_b32_e32 v174, 0
	v_mov_b32_e32 v175, 0
	v_mov_b32_e32 v176, 0
	ds_read2_b32 v[67:68], v166 offset0:2 offset1:3
	ds_read2_b32 v[65:66], v10 offset1:1
	v_add_nc_u32_e32 v10, 0x6180, v166
	v_mov_b32_e32 v177, 0
	v_mov_b32_e32 v178, 0
	ds_read2_b32 v[77:78], v166 offset0:4 offset1:5
	v_mov_b32_e32 v179, 0
	ds_read2_b32 v[69:70], v10 offset1:1
	v_mov_b32_e32 v180, 0
	v_mov_b32_e32 v181, 0
	;; [unrolled: 1-line block ×3, first 2 shown]
	s_waitcnt lgkmcnt(6)
	v_dot4c_i32_i8 v173, v63, v6
	v_mov_b32_e32 v199, 0
	s_add_i32 s0, s0, 4
	ds_read_b128 v[13:16], v165 offset:2048
	s_waitcnt lgkmcnt(5)
	v_dot4c_i32_i8 v172, v59, v6
	v_dot4c_i32_i8 v173, v64, v2
	s_cmp_lt_u32 s0, 12
	ds_read_b128 v[17:20], v165 offset:3072
	ds_read_b128 v[182:185], v165 offset:4096
	v_dot4c_i32_i8 v172, v60, v2
	s_waitcnt lgkmcnt(5)
	v_dot4c_i32_i8 v174, v65, v6
	v_dot4c_i32_i8 v173, v67, v7
	ds_read_b128 v[186:189], v165 offset:5136
	ds_read_b128 v[190:193], v165 offset:6160
	;; [unrolled: 1-line block ×3, first 2 shown]
	v_dot4c_i32_i8 v174, v66, v2
	s_waitcnt lgkmcnt(6)
	v_dot4c_i32_i8 v175, v69, v6
	v_dot4c_i32_i8 v173, v68, v3
	;; [unrolled: 1-line block ×3, first 2 shown]
	v_add_nc_u32_e32 v2, 0x2088, v166
	v_dot4c_i32_i8 v173, v77, v8
	s_waitcnt lgkmcnt(5)
	v_dot4c_i32_i8 v179, v69, v13
	ds_read2_b32 v[71:72], v2 offset1:1
	v_add_nc_u32_e32 v2, 0x4108, v166
	v_dot4c_i32_i8 v173, v78, v4
	s_waitcnt lgkmcnt(5)
	v_dot4c_i32_i8 v180, v69, v17
	s_waitcnt lgkmcnt(4)
	v_dot4c_i32_i8 v181, v65, v182
	ds_read2_b32 v[75:76], v2 offset1:1
	v_add_nc_u32_e32 v2, 0x6188, v166
	ds_read2_b32 v[79:80], v2 offset1:1
	v_add_nc_u32_e32 v2, 0x2090, v166
	;; [unrolled: 2-line block ×3, first 2 shown]
	s_waitcnt lgkmcnt(3)
	v_dot4c_i32_i8 v172, v71, v7
	ds_read2_b32 v[83:84], v2 offset1:1
	v_add_nc_u32_e32 v2, 0x6190, v166
	s_waitcnt lgkmcnt(3)
	v_dot4c_i32_i8 v174, v75, v7
	v_dot4c_i32_i8 v172, v72, v3
	ds_read2_b32 v[85:86], v2 offset1:1
	v_dot4c_i32_i8 v174, v76, v3
	s_waitcnt lgkmcnt(3)
	v_dot4c_i32_i8 v175, v79, v7
	v_dot4c_i32_i8 v175, v80, v3
	s_waitcnt lgkmcnt(2)
	v_dot4c_i32_i8 v172, v81, v8
	ds_read2_b32 v[2:3], v166 offset0:6 offset1:7
	v_dot4c_i32_i8 v172, v82, v4
	s_waitcnt lgkmcnt(2)
	v_dot4c_i32_i8 v174, v83, v8
	v_dot4c_i32_i8 v174, v84, v4
	s_waitcnt lgkmcnt(1)
	v_dot4c_i32_i8 v175, v85, v8
	v_dot4c_i32_i8 v175, v86, v4
	v_add_nc_u32_e32 v4, 0x2098, v166
	ds_read2_b32 v[57:58], v4 offset1:1
	v_add_nc_u32_e32 v4, 0x4118, v166
	s_waitcnt lgkmcnt(1)
	v_dot4c_i32_i8 v173, v2, v9
	ds_read2_b32 v[61:62], v4 offset1:1
	v_add_nc_u32_e32 v4, 0x6198, v166
	v_dot4c_i32_i8 v173, v3, v5
	v_add_nc_u32_e32 v166, 32, v166
	ds_read2_b32 v[73:74], v4 offset1:1
	v_mov_b32_e32 v4, 0
	s_waitcnt lgkmcnt(2)
	v_dot4c_i32_i8 v172, v57, v9
	v_dot4c_i32_i8 v172, v58, v5
	s_waitcnt lgkmcnt(1)
	v_dot4c_i32_i8 v174, v61, v9
	v_dot4c_i32_i8 v174, v62, v5
	s_waitcnt lgkmcnt(0)
	v_dot4c_i32_i8 v175, v73, v9
	ds_read_b128 v[9:12], v165 offset:1024
	v_dot4c_i32_i8 v175, v74, v5
	s_waitcnt lgkmcnt(0)
	v_dot4c_i32_i8 v4, v63, v9
	v_dot4c_i32_i8 v176, v59, v9
	;; [unrolled: 1-line block ×4, first 2 shown]
	ds_read_b128 v[6:9], v165 offset:1040
	s_waitcnt lgkmcnt(0)
	v_dot4c_i32_i8 v4, v64, v6
	v_dot4c_i32_i8 v176, v60, v6
	v_dot4c_i32_i8 v177, v66, v6
	v_dot4c_i32_i8 v178, v70, v6
	v_mov_b32_e32 v6, 0
	v_dot4c_i32_i8 v4, v67, v10
	v_dot4c_i32_i8 v176, v71, v10
	v_dot4c_i32_i8 v177, v75, v10
	v_dot4c_i32_i8 v178, v79, v10
	v_dot4c_i32_i8 v6, v63, v13
	v_dot4c_i32_i8 v4, v68, v7
	v_dot4c_i32_i8 v176, v72, v7
	v_dot4c_i32_i8 v177, v76, v7
	v_dot4c_i32_i8 v178, v80, v7
	v_mov_b32_e32 v7, 0
	v_dot4c_i32_i8 v4, v77, v11
	v_dot4c_i32_i8 v176, v81, v11
	v_dot4c_i32_i8 v177, v83, v11
	v_dot4c_i32_i8 v178, v85, v11
	v_dot4c_i32_i8 v7, v59, v13
	;; [unrolled: 10-line block ×3, first 2 shown]
	ds_read_b128 v[10:13], v165 offset:2064
	v_dot4c_i32_i8 v4, v3, v9
	v_dot4c_i32_i8 v176, v58, v9
	;; [unrolled: 1-line block ×4, first 2 shown]
	v_cvt_f32_i32_e32 v4, v4
	s_waitcnt lgkmcnt(0)
	v_dot4c_i32_i8 v6, v64, v10
	v_dot4c_i32_i8 v7, v60, v10
	v_dot4c_i32_i8 v8, v66, v10
	v_dot4c_i32_i8 v179, v70, v10
	v_mov_b32_e32 v10, 0
	v_dot4c_i32_i8 v6, v67, v14
	v_dot4c_i32_i8 v7, v71, v14
	v_dot4c_i32_i8 v8, v75, v14
	v_dot4c_i32_i8 v179, v79, v14
	v_dot4c_i32_i8 v10, v63, v17
	v_dot4c_i32_i8 v6, v68, v11
	v_dot4c_i32_i8 v7, v72, v11
	v_dot4c_i32_i8 v8, v76, v11
	v_dot4c_i32_i8 v179, v80, v11
	v_mov_b32_e32 v11, 0
	v_dot4c_i32_i8 v6, v77, v15
	v_dot4c_i32_i8 v7, v81, v15
	v_dot4c_i32_i8 v8, v83, v15
	v_dot4c_i32_i8 v179, v85, v15
	v_dot4c_i32_i8 v11, v59, v17
	;; [unrolled: 10-line block ×3, first 2 shown]
	ds_read_b128 v[14:17], v165 offset:3088
	v_dot4c_i32_i8 v6, v3, v13
	v_dot4c_i32_i8 v7, v58, v13
	v_dot4c_i32_i8 v8, v62, v13
	v_dot4c_i32_i8 v179, v74, v13
	s_waitcnt lgkmcnt(0)
	v_dot4c_i32_i8 v10, v64, v14
	v_dot4c_i32_i8 v11, v60, v14
	;; [unrolled: 1-line block ×4, first 2 shown]
	v_mov_b32_e32 v14, 0
	v_dot4c_i32_i8 v10, v67, v18
	v_dot4c_i32_i8 v11, v71, v18
	;; [unrolled: 1-line block ×9, first 2 shown]
	v_mov_b32_e32 v15, 0
	v_dot4c_i32_i8 v10, v77, v19
	v_dot4c_i32_i8 v11, v81, v19
	;; [unrolled: 1-line block ×9, first 2 shown]
	v_mov_b32_e32 v16, 0
	v_dot4c_i32_i8 v10, v2, v20
	v_dot4c_i32_i8 v11, v57, v20
	;; [unrolled: 1-line block ×4, first 2 shown]
	ds_read_b128 v[18:21], v165 offset:4112
	v_dot4c_i32_i8 v16, v63, v182
	v_dot4c_i32_i8 v10, v3, v17
	;; [unrolled: 1-line block ×5, first 2 shown]
	s_waitcnt lgkmcnt(0)
	v_dot4c_i32_i8 v16, v64, v18
	v_dot4c_i32_i8 v14, v60, v18
	v_dot4c_i32_i8 v181, v66, v18
	v_dot4c_i32_i8 v15, v70, v18
	v_mov_b32_e32 v18, 0
	v_dot4c_i32_i8 v16, v67, v183
	v_dot4c_i32_i8 v14, v71, v183
	v_dot4c_i32_i8 v181, v75, v183
	v_dot4c_i32_i8 v15, v79, v183
	v_dot4c_i32_i8 v16, v68, v19
	v_dot4c_i32_i8 v14, v72, v19
	v_dot4c_i32_i8 v181, v76, v19
	v_dot4c_i32_i8 v15, v80, v19
	v_mov_b32_e32 v19, 0
	v_dot4c_i32_i8 v16, v77, v184
	v_dot4c_i32_i8 v14, v81, v184
	v_dot4c_i32_i8 v181, v83, v184
	v_dot4c_i32_i8 v15, v85, v184
	v_dot4c_i32_i8 v16, v78, v20
	v_dot4c_i32_i8 v14, v82, v20
	v_dot4c_i32_i8 v181, v84, v20
	v_dot4c_i32_i8 v15, v86, v20
	v_mov_b32_e32 v20, 0
	v_dot4c_i32_i8 v16, v2, v185
	v_dot4c_i32_i8 v14, v57, v185
	v_dot4c_i32_i8 v181, v61, v185
	v_dot4c_i32_i8 v15, v73, v185
	ds_read_b128 v[182:185], v165 offset:5120
	v_dot4c_i32_i8 v16, v3, v21
	v_dot4c_i32_i8 v14, v58, v21
	;; [unrolled: 1-line block ×4, first 2 shown]
	s_waitcnt lgkmcnt(0)
	v_dot4c_i32_i8 v18, v63, v182
	v_dot4c_i32_i8 v19, v59, v182
	v_dot4c_i32_i8 v20, v65, v182
	v_dot4c_i32_i8 v198, v69, v182
	v_dot4c_i32_i8 v18, v64, v186
	v_dot4c_i32_i8 v19, v60, v186
	v_dot4c_i32_i8 v20, v66, v186
	v_dot4c_i32_i8 v198, v70, v186
	v_mov_b32_e32 v186, 0
	v_dot4c_i32_i8 v18, v67, v183
	v_dot4c_i32_i8 v19, v71, v183
	v_dot4c_i32_i8 v20, v75, v183
	v_dot4c_i32_i8 v198, v79, v183
	v_dot4c_i32_i8 v18, v68, v187
	v_dot4c_i32_i8 v19, v72, v187
	v_dot4c_i32_i8 v20, v76, v187
	v_dot4c_i32_i8 v198, v80, v187
	v_mov_b32_e32 v187, 0
	;; [unrolled: 9-line block ×3, first 2 shown]
	v_dot4c_i32_i8 v18, v2, v185
	v_dot4c_i32_i8 v19, v57, v185
	;; [unrolled: 1-line block ×4, first 2 shown]
	ds_read_b128 v[182:185], v165 offset:6144
	v_dot4c_i32_i8 v18, v3, v189
	v_dot4c_i32_i8 v19, v58, v189
	;; [unrolled: 1-line block ×4, first 2 shown]
	s_waitcnt lgkmcnt(0)
	v_dot4c_i32_i8 v186, v63, v182
	v_dot4c_i32_i8 v187, v59, v182
	;; [unrolled: 1-line block ×8, first 2 shown]
	v_mov_b32_e32 v190, 0
	v_dot4c_i32_i8 v186, v67, v183
	v_dot4c_i32_i8 v187, v71, v183
	;; [unrolled: 1-line block ×20, first 2 shown]
	ds_read_b128 v[182:185], v165 offset:7168
	v_dot4c_i32_i8 v186, v3, v193
	v_dot4c_i32_i8 v187, v58, v193
	;; [unrolled: 1-line block ×4, first 2 shown]
	v_add_nc_u32_e32 v165, 32, v165
	s_waitcnt lgkmcnt(0)
	v_dot4c_i32_i8 v190, v63, v182
	v_mov_b32_e32 v63, 0
	v_dot4c_i32_i8 v190, v64, v194
	v_dot4c_i32_i8 v63, v59, v182
	v_mov_b32_e32 v59, 0
	v_dot4c_i32_i8 v190, v67, v183
	v_dot4c_i32_i8 v63, v60, v194
	;; [unrolled: 1-line block ×3, first 2 shown]
	v_mov_b32_e32 v60, 0
	v_dot4c_i32_i8 v190, v68, v195
	v_dot4c_i32_i8 v63, v71, v183
	;; [unrolled: 1-line block ×17, first 2 shown]
	ds_read_b32 v5, v168
	ds_read_b32 v9, v169
	;; [unrolled: 1-line block ×4, first 2 shown]
	ds_read2_b32 v[2:3], v167 offset1:32
	v_dot4c_i32_i8 v59, v84, v196
	v_dot4c_i32_i8 v63, v57, v185
	;; [unrolled: 1-line block ×3, first 2 shown]
	v_add_nc_u32_e32 v171, 4, v171
	v_add_nc_u32_e32 v170, 4, v170
	v_dot4c_i32_i8 v59, v61, v185
	v_dot4c_i32_i8 v63, v58, v197
	;; [unrolled: 1-line block ×3, first 2 shown]
	v_add_nc_u32_e32 v169, 4, v169
	v_add_nc_u32_e32 v168, 4, v168
	v_dot4c_i32_i8 v59, v62, v197
	v_dot4c_i32_i8 v60, v73, v185
	;; [unrolled: 1-line block ×3, first 2 shown]
	s_waitcnt lgkmcnt(0)
	v_mul_f32_e32 v21, v5, v2
	v_mul_f32_e32 v57, v5, v3
	;; [unrolled: 1-line block ×8, first 2 shown]
	ds_read2_b32 v[2:3], v167 offset0:64 offset1:96
	v_fma_f32 v23, v57, v4, v23
	v_cvt_f32_i32_e32 v4, v173
	v_fmac_f32_e32 v22, v21, v4
	v_cvt_f32_i32_e32 v4, v10
	v_cvt_f32_i32_e32 v10, v199
	s_waitcnt lgkmcnt(0)
	v_mul_f32_e32 v67, v5, v2
	v_mul_f32_e32 v68, v5, v3
	;; [unrolled: 1-line block ×8, first 2 shown]
	ds_read2_b32 v[2:3], v167 offset0:128 offset1:160
	v_fma_f32 v42, v68, v4, v42
	v_cvt_f32_i32_e32 v4, v6
	v_cvt_f32_i32_e32 v6, v63
	v_fmac_f32_e32 v41, v67, v4
	v_cvt_f32_i32_e32 v4, v18
	s_waitcnt lgkmcnt(0)
	v_mul_f32_e32 v75, v5, v2
	v_mul_f32_e32 v76, v5, v3
	;; [unrolled: 1-line block ×8, first 2 shown]
	ds_read2_b32 v[2:3], v167 offset0:192 offset1:224
	v_fma_f32 v34, v76, v4, v34
	v_cvt_f32_i32_e32 v4, v16
	v_add_nc_u32_e32 v167, 4, v167
	v_fmac_f32_e32 v33, v75, v4
	v_cvt_f32_i32_e32 v4, v190
	s_waitcnt lgkmcnt(0)
	v_mul_f32_e32 v83, v5, v2
	v_mul_f32_e32 v5, v5, v3
	;; [unrolled: 1-line block ×6, first 2 shown]
	v_fma_f32 v28, v5, v4, v28
	v_cvt_f32_i32_e32 v4, v186
	v_mul_f32_e32 v2, v17, v2
	v_mul_f32_e32 v3, v17, v3
	v_cvt_f32_i32_e32 v5, v187
	v_fma_f32 v30, v9, v6, v30
	v_fmac_f32_e32 v27, v83, v4
	v_cvt_f32_i32_e32 v4, v176
	v_fmac_f32_e32 v35, v2, v10
	v_fmac_f32_e32 v29, v84, v5
	v_fma_f32 v52, v61, v4, v52
	v_cvt_f32_i32_e32 v4, v172
	v_fmac_f32_e32 v51, v58, v4
	v_cvt_f32_i32_e32 v4, v177
	v_fma_f32 v54, v64, v4, v54
	v_cvt_f32_i32_e32 v4, v174
	v_fmac_f32_e32 v53, v62, v4
	v_cvt_f32_i32_e32 v4, v178
	;; [unrolled: 4-line block ×3, first 2 shown]
	v_cvt_f32_i32_e32 v11, v60
	v_fma_f32 v46, v70, v4, v46
	v_cvt_f32_i32_e32 v4, v7
	v_cvt_f32_i32_e32 v7, v188
	v_fma_f32 v36, v3, v11, v36
	v_fmac_f32_e32 v45, v69, v4
	v_cvt_f32_i32_e32 v4, v12
	v_fmac_f32_e32 v31, v85, v7
	v_fma_f32 v48, v72, v4, v48
	v_cvt_f32_i32_e32 v4, v8
	v_cvt_f32_i32_e32 v8, v59
	v_fmac_f32_e32 v47, v71, v4
	v_cvt_f32_i32_e32 v4, v180
	v_fma_f32 v32, v13, v8, v32
	v_fma_f32 v50, v74, v4, v50
	v_cvt_f32_i32_e32 v4, v179
	v_fmac_f32_e32 v49, v73, v4
	v_cvt_f32_i32_e32 v4, v19
	v_fma_f32 v38, v78, v4, v38
	v_cvt_f32_i32_e32 v4, v14
	v_fmac_f32_e32 v37, v77, v4
	v_cvt_f32_i32_e32 v4, v20
	;; [unrolled: 4-line block ×3, first 2 shown]
	v_fma_f32 v44, v82, v4, v44
	v_cvt_f32_i32_e32 v4, v15
	v_fmac_f32_e32 v43, v81, v4
	s_cbranch_scc1 .LBB141_8
; %bb.9:                                ;   in Loop: Header=BB141_6 Depth=1
	s_and_b32 s0, s11, -4
	s_cmp_eq_u32 s0, 4
	s_barrier
	buffer_gl0_inv
	s_cbranch_scc1 .LBB141_5
; %bb.10:                               ;   in Loop: Header=BB141_6 Depth=1
	v_add_nc_u32_e32 v14, s14, v140
	v_add_nc_u32_e32 v12, 4, v163
	v_mov_b32_e32 v163, v145
	v_mov_b32_e32 v165, v146
	;; [unrolled: 1-line block ×3, first 2 shown]
	v_add_nc_u32_e32 v2, v14, v131
	v_add_nc_u32_e32 v4, v14, v132
	;; [unrolled: 1-line block ×5, first 2 shown]
	v_mad_u64_u32 v[12:13], null, v12, 36, s[2:3]
	v_mad_i64_i32 v[2:3], null, v2, 36, v[25:26]
	v_add_nc_u32_e32 v15, v14, v136
	v_mad_i64_i32 v[4:5], null, v4, 36, v[25:26]
	v_add_nc_u32_e32 v16, v14, v137
	;; [unrolled: 2-line block ×3, first 2 shown]
	v_mad_i64_i32 v[8:9], null, v8, 36, v[25:26]
	v_mad_i64_i32 v[10:11], null, v10, 36, v[25:26]
	;; [unrolled: 1-line block ×5, first 2 shown]
	s_clause 0x8
	global_load_dword v12, v[12:13], off
	global_load_dword v2, v[2:3], off offset:4
	global_load_dword v3, v[4:5], off offset:4
	;; [unrolled: 1-line block ×8, first 2 shown]
	v_mov_b32_e32 v167, v150
	v_mov_b32_e32 v168, v149
	;; [unrolled: 1-line block ×4, first 2 shown]
	s_mov_b32 s0, 12
	s_waitcnt vmcnt(8)
	v_cvt_f32_f16_e32 v10, v12
	s_waitcnt vmcnt(7)
	ds_write_b32 v164, v2
	s_waitcnt vmcnt(6)
	ds_write_b32 v156, v3
	;; [unrolled: 2-line block ×8, first 2 shown]
	ds_write_b32 v130, v10
	s_waitcnt lgkmcnt(0)
	s_barrier
	buffer_gl0_inv
.LBB141_11:                             ;   Parent Loop BB141_6 Depth=1
                                        ; =>  This Inner Loop Header: Depth=2
	v_add_nc_u32_e32 v10, 0x2080, v166
	ds_read_b128 v[6:9], v165
	ds_read2_b32 v[63:64], v166 offset1:1
	ds_read_b128 v[2:5], v165 offset:16
	v_mov_b32_e32 v171, 0
	v_mov_b32_e32 v164, 0
	ds_read2_b32 v[59:60], v10 offset1:1
	v_add_nc_u32_e32 v10, 0x4100, v166
	v_mov_b32_e32 v172, 0
	v_mov_b32_e32 v173, 0
	;; [unrolled: 1-line block ×3, first 2 shown]
	ds_read2_b32 v[67:68], v166 offset0:2 offset1:3
	ds_read2_b32 v[65:66], v10 offset1:1
	v_add_nc_u32_e32 v10, 0x6180, v166
	v_mov_b32_e32 v175, 0
	v_mov_b32_e32 v176, 0
	ds_read2_b32 v[77:78], v166 offset0:4 offset1:5
	v_mov_b32_e32 v177, 0
	ds_read2_b32 v[69:70], v10 offset1:1
	v_mov_b32_e32 v178, 0
	v_mov_b32_e32 v179, 0
	;; [unrolled: 1-line block ×3, first 2 shown]
	s_waitcnt lgkmcnt(6)
	v_dot4c_i32_i8 v171, v63, v6
	v_mov_b32_e32 v197, 0
	s_add_i32 s0, s0, 4
	ds_read_b128 v[13:16], v165 offset:2048
	s_waitcnt lgkmcnt(5)
	v_dot4c_i32_i8 v164, v59, v6
	v_dot4c_i32_i8 v171, v64, v2
	s_cmp_lt_u32 s0, 28
	ds_read_b128 v[17:20], v165 offset:3072
	ds_read_b128 v[180:183], v165 offset:4096
	v_dot4c_i32_i8 v164, v60, v2
	s_waitcnt lgkmcnt(5)
	v_dot4c_i32_i8 v172, v65, v6
	v_dot4c_i32_i8 v171, v67, v7
	ds_read_b128 v[184:187], v165 offset:5136
	ds_read_b128 v[188:191], v165 offset:6160
	;; [unrolled: 1-line block ×3, first 2 shown]
	v_dot4c_i32_i8 v172, v66, v2
	s_waitcnt lgkmcnt(6)
	v_dot4c_i32_i8 v173, v69, v6
	v_dot4c_i32_i8 v171, v68, v3
	;; [unrolled: 1-line block ×3, first 2 shown]
	v_add_nc_u32_e32 v2, 0x2088, v166
	v_dot4c_i32_i8 v171, v77, v8
	s_waitcnt lgkmcnt(5)
	v_dot4c_i32_i8 v177, v69, v13
	ds_read2_b32 v[71:72], v2 offset1:1
	v_add_nc_u32_e32 v2, 0x4108, v166
	v_dot4c_i32_i8 v171, v78, v4
	s_waitcnt lgkmcnt(5)
	v_dot4c_i32_i8 v178, v69, v17
	s_waitcnt lgkmcnt(4)
	v_dot4c_i32_i8 v179, v65, v180
	ds_read2_b32 v[75:76], v2 offset1:1
	v_add_nc_u32_e32 v2, 0x6188, v166
	ds_read2_b32 v[79:80], v2 offset1:1
	v_add_nc_u32_e32 v2, 0x2090, v166
	;; [unrolled: 2-line block ×3, first 2 shown]
	s_waitcnt lgkmcnt(3)
	v_dot4c_i32_i8 v164, v71, v7
	ds_read2_b32 v[83:84], v2 offset1:1
	v_add_nc_u32_e32 v2, 0x6190, v166
	s_waitcnt lgkmcnt(3)
	v_dot4c_i32_i8 v172, v75, v7
	v_dot4c_i32_i8 v164, v72, v3
	ds_read2_b32 v[85:86], v2 offset1:1
	v_dot4c_i32_i8 v172, v76, v3
	s_waitcnt lgkmcnt(3)
	v_dot4c_i32_i8 v173, v79, v7
	v_dot4c_i32_i8 v173, v80, v3
	s_waitcnt lgkmcnt(2)
	v_dot4c_i32_i8 v164, v81, v8
	ds_read2_b32 v[2:3], v166 offset0:6 offset1:7
	v_dot4c_i32_i8 v164, v82, v4
	s_waitcnt lgkmcnt(2)
	v_dot4c_i32_i8 v172, v83, v8
	v_dot4c_i32_i8 v172, v84, v4
	s_waitcnt lgkmcnt(1)
	v_dot4c_i32_i8 v173, v85, v8
	v_dot4c_i32_i8 v173, v86, v4
	v_add_nc_u32_e32 v4, 0x2098, v166
	ds_read2_b32 v[57:58], v4 offset1:1
	v_add_nc_u32_e32 v4, 0x4118, v166
	s_waitcnt lgkmcnt(1)
	v_dot4c_i32_i8 v171, v2, v9
	ds_read2_b32 v[61:62], v4 offset1:1
	v_add_nc_u32_e32 v4, 0x6198, v166
	v_dot4c_i32_i8 v171, v3, v5
	v_add_nc_u32_e32 v166, 32, v166
	ds_read2_b32 v[73:74], v4 offset1:1
	v_mov_b32_e32 v4, 0
	s_waitcnt lgkmcnt(2)
	v_dot4c_i32_i8 v164, v57, v9
	v_dot4c_i32_i8 v164, v58, v5
	s_waitcnt lgkmcnt(1)
	v_dot4c_i32_i8 v172, v61, v9
	v_dot4c_i32_i8 v172, v62, v5
	s_waitcnt lgkmcnt(0)
	v_dot4c_i32_i8 v173, v73, v9
	ds_read_b128 v[9:12], v165 offset:1024
	v_dot4c_i32_i8 v173, v74, v5
	s_waitcnt lgkmcnt(0)
	v_dot4c_i32_i8 v4, v63, v9
	v_dot4c_i32_i8 v174, v59, v9
	v_dot4c_i32_i8 v175, v65, v9
	v_dot4c_i32_i8 v176, v69, v9
	ds_read_b128 v[6:9], v165 offset:1040
	s_waitcnt lgkmcnt(0)
	v_dot4c_i32_i8 v4, v64, v6
	v_dot4c_i32_i8 v174, v60, v6
	v_dot4c_i32_i8 v175, v66, v6
	v_dot4c_i32_i8 v176, v70, v6
	v_mov_b32_e32 v6, 0
	v_dot4c_i32_i8 v4, v67, v10
	v_dot4c_i32_i8 v174, v71, v10
	v_dot4c_i32_i8 v175, v75, v10
	v_dot4c_i32_i8 v176, v79, v10
	v_dot4c_i32_i8 v6, v63, v13
	v_dot4c_i32_i8 v4, v68, v7
	v_dot4c_i32_i8 v174, v72, v7
	v_dot4c_i32_i8 v175, v76, v7
	v_dot4c_i32_i8 v176, v80, v7
	v_mov_b32_e32 v7, 0
	v_dot4c_i32_i8 v4, v77, v11
	v_dot4c_i32_i8 v174, v81, v11
	v_dot4c_i32_i8 v175, v83, v11
	v_dot4c_i32_i8 v176, v85, v11
	v_dot4c_i32_i8 v7, v59, v13
	;; [unrolled: 10-line block ×3, first 2 shown]
	ds_read_b128 v[10:13], v165 offset:2064
	v_dot4c_i32_i8 v4, v3, v9
	v_dot4c_i32_i8 v174, v58, v9
	;; [unrolled: 1-line block ×4, first 2 shown]
	v_cvt_f32_i32_e32 v4, v4
	s_waitcnt lgkmcnt(0)
	v_dot4c_i32_i8 v6, v64, v10
	v_dot4c_i32_i8 v7, v60, v10
	v_dot4c_i32_i8 v8, v66, v10
	v_dot4c_i32_i8 v177, v70, v10
	v_mov_b32_e32 v10, 0
	v_dot4c_i32_i8 v6, v67, v14
	v_dot4c_i32_i8 v7, v71, v14
	v_dot4c_i32_i8 v8, v75, v14
	v_dot4c_i32_i8 v177, v79, v14
	v_dot4c_i32_i8 v10, v63, v17
	v_dot4c_i32_i8 v6, v68, v11
	v_dot4c_i32_i8 v7, v72, v11
	v_dot4c_i32_i8 v8, v76, v11
	v_dot4c_i32_i8 v177, v80, v11
	v_mov_b32_e32 v11, 0
	v_dot4c_i32_i8 v6, v77, v15
	v_dot4c_i32_i8 v7, v81, v15
	v_dot4c_i32_i8 v8, v83, v15
	v_dot4c_i32_i8 v177, v85, v15
	v_dot4c_i32_i8 v11, v59, v17
	;; [unrolled: 10-line block ×3, first 2 shown]
	ds_read_b128 v[14:17], v165 offset:3088
	v_dot4c_i32_i8 v6, v3, v13
	v_dot4c_i32_i8 v7, v58, v13
	;; [unrolled: 1-line block ×4, first 2 shown]
	s_waitcnt lgkmcnt(0)
	v_dot4c_i32_i8 v10, v64, v14
	v_dot4c_i32_i8 v11, v60, v14
	;; [unrolled: 1-line block ×4, first 2 shown]
	v_mov_b32_e32 v14, 0
	v_dot4c_i32_i8 v10, v67, v18
	v_dot4c_i32_i8 v11, v71, v18
	;; [unrolled: 1-line block ×9, first 2 shown]
	v_mov_b32_e32 v15, 0
	v_dot4c_i32_i8 v10, v77, v19
	v_dot4c_i32_i8 v11, v81, v19
	;; [unrolled: 1-line block ×9, first 2 shown]
	v_mov_b32_e32 v16, 0
	v_dot4c_i32_i8 v10, v2, v20
	v_dot4c_i32_i8 v11, v57, v20
	;; [unrolled: 1-line block ×4, first 2 shown]
	ds_read_b128 v[18:21], v165 offset:4112
	v_dot4c_i32_i8 v16, v63, v180
	v_dot4c_i32_i8 v10, v3, v17
	;; [unrolled: 1-line block ×5, first 2 shown]
	s_waitcnt lgkmcnt(0)
	v_dot4c_i32_i8 v16, v64, v18
	v_dot4c_i32_i8 v14, v60, v18
	v_dot4c_i32_i8 v179, v66, v18
	v_dot4c_i32_i8 v15, v70, v18
	v_mov_b32_e32 v18, 0
	v_dot4c_i32_i8 v16, v67, v181
	v_dot4c_i32_i8 v14, v71, v181
	v_dot4c_i32_i8 v179, v75, v181
	v_dot4c_i32_i8 v15, v79, v181
	v_dot4c_i32_i8 v16, v68, v19
	v_dot4c_i32_i8 v14, v72, v19
	v_dot4c_i32_i8 v179, v76, v19
	v_dot4c_i32_i8 v15, v80, v19
	v_mov_b32_e32 v19, 0
	v_dot4c_i32_i8 v16, v77, v182
	v_dot4c_i32_i8 v14, v81, v182
	v_dot4c_i32_i8 v179, v83, v182
	v_dot4c_i32_i8 v15, v85, v182
	;; [unrolled: 9-line block ×3, first 2 shown]
	ds_read_b128 v[180:183], v165 offset:5120
	v_dot4c_i32_i8 v16, v3, v21
	v_dot4c_i32_i8 v14, v58, v21
	v_dot4c_i32_i8 v179, v62, v21
	v_dot4c_i32_i8 v15, v74, v21
	s_waitcnt lgkmcnt(0)
	v_dot4c_i32_i8 v18, v63, v180
	v_dot4c_i32_i8 v19, v59, v180
	v_dot4c_i32_i8 v20, v65, v180
	v_dot4c_i32_i8 v196, v69, v180
	v_dot4c_i32_i8 v18, v64, v184
	v_dot4c_i32_i8 v19, v60, v184
	v_dot4c_i32_i8 v20, v66, v184
	v_dot4c_i32_i8 v196, v70, v184
	v_mov_b32_e32 v184, 0
	v_dot4c_i32_i8 v18, v67, v181
	v_dot4c_i32_i8 v19, v71, v181
	v_dot4c_i32_i8 v20, v75, v181
	v_dot4c_i32_i8 v196, v79, v181
	v_dot4c_i32_i8 v18, v68, v185
	v_dot4c_i32_i8 v19, v72, v185
	v_dot4c_i32_i8 v20, v76, v185
	v_dot4c_i32_i8 v196, v80, v185
	v_mov_b32_e32 v185, 0
	;; [unrolled: 9-line block ×3, first 2 shown]
	v_dot4c_i32_i8 v18, v2, v183
	v_dot4c_i32_i8 v19, v57, v183
	;; [unrolled: 1-line block ×4, first 2 shown]
	ds_read_b128 v[180:183], v165 offset:6144
	v_dot4c_i32_i8 v18, v3, v187
	v_dot4c_i32_i8 v19, v58, v187
	;; [unrolled: 1-line block ×4, first 2 shown]
	s_waitcnt lgkmcnt(0)
	v_dot4c_i32_i8 v184, v63, v180
	v_dot4c_i32_i8 v185, v59, v180
	;; [unrolled: 1-line block ×8, first 2 shown]
	v_mov_b32_e32 v188, 0
	v_dot4c_i32_i8 v184, v67, v181
	v_dot4c_i32_i8 v185, v71, v181
	;; [unrolled: 1-line block ×20, first 2 shown]
	ds_read_b128 v[180:183], v165 offset:7168
	v_dot4c_i32_i8 v184, v3, v191
	v_dot4c_i32_i8 v185, v58, v191
	;; [unrolled: 1-line block ×4, first 2 shown]
	v_add_nc_u32_e32 v165, 32, v165
	s_waitcnt lgkmcnt(0)
	v_dot4c_i32_i8 v188, v63, v180
	v_mov_b32_e32 v63, 0
	v_dot4c_i32_i8 v188, v64, v192
	v_dot4c_i32_i8 v63, v59, v180
	v_mov_b32_e32 v59, 0
	v_dot4c_i32_i8 v188, v67, v181
	v_dot4c_i32_i8 v63, v60, v192
	;; [unrolled: 1-line block ×3, first 2 shown]
	v_mov_b32_e32 v60, 0
	v_dot4c_i32_i8 v188, v68, v193
	v_dot4c_i32_i8 v63, v71, v181
	;; [unrolled: 1-line block ×17, first 2 shown]
	ds_read_b32 v5, v167
	ds_read_b32 v9, v168
	;; [unrolled: 1-line block ×4, first 2 shown]
	ds_read2_b32 v[2:3], v163 offset1:32
	v_dot4c_i32_i8 v59, v84, v194
	v_dot4c_i32_i8 v63, v57, v183
	;; [unrolled: 1-line block ×3, first 2 shown]
	v_add_nc_u32_e32 v170, 4, v170
	v_add_nc_u32_e32 v169, 4, v169
	v_dot4c_i32_i8 v59, v61, v183
	v_dot4c_i32_i8 v63, v58, v195
	;; [unrolled: 1-line block ×3, first 2 shown]
	v_add_nc_u32_e32 v168, 4, v168
	v_add_nc_u32_e32 v167, 4, v167
	v_dot4c_i32_i8 v59, v62, v195
	v_dot4c_i32_i8 v60, v73, v183
	v_dot4c_i32_i8 v60, v74, v195
	s_waitcnt lgkmcnt(0)
	v_mul_f32_e32 v21, v5, v2
	v_mul_f32_e32 v57, v5, v3
	;; [unrolled: 1-line block ×8, first 2 shown]
	ds_read2_b32 v[2:3], v163 offset0:64 offset1:96
	v_fma_f32 v23, v57, v4, v23
	v_cvt_f32_i32_e32 v4, v171
	v_fmac_f32_e32 v22, v21, v4
	v_cvt_f32_i32_e32 v4, v10
	v_cvt_f32_i32_e32 v10, v197
	s_waitcnt lgkmcnt(0)
	v_mul_f32_e32 v67, v5, v2
	v_mul_f32_e32 v68, v5, v3
	v_mul_f32_e32 v69, v9, v2
	v_mul_f32_e32 v70, v9, v3
	v_mul_f32_e32 v71, v13, v2
	v_mul_f32_e32 v72, v13, v3
	v_mul_f32_e32 v73, v17, v2
	v_mul_f32_e32 v74, v17, v3
	ds_read2_b32 v[2:3], v163 offset0:128 offset1:160
	v_fma_f32 v42, v68, v4, v42
	v_cvt_f32_i32_e32 v4, v6
	v_cvt_f32_i32_e32 v6, v63
	v_fmac_f32_e32 v41, v67, v4
	v_cvt_f32_i32_e32 v4, v18
	s_waitcnt lgkmcnt(0)
	v_mul_f32_e32 v75, v5, v2
	v_mul_f32_e32 v76, v5, v3
	;; [unrolled: 1-line block ×8, first 2 shown]
	ds_read2_b32 v[2:3], v163 offset0:192 offset1:224
	v_fma_f32 v34, v76, v4, v34
	v_cvt_f32_i32_e32 v4, v16
	v_add_nc_u32_e32 v163, 4, v163
	v_fmac_f32_e32 v33, v75, v4
	v_cvt_f32_i32_e32 v4, v188
	s_waitcnt lgkmcnt(0)
	v_mul_f32_e32 v83, v5, v2
	v_mul_f32_e32 v5, v5, v3
	;; [unrolled: 1-line block ×6, first 2 shown]
	v_fma_f32 v28, v5, v4, v28
	v_cvt_f32_i32_e32 v4, v184
	v_mul_f32_e32 v2, v17, v2
	v_mul_f32_e32 v3, v17, v3
	v_cvt_f32_i32_e32 v5, v185
	v_fma_f32 v30, v9, v6, v30
	v_fmac_f32_e32 v27, v83, v4
	v_cvt_f32_i32_e32 v4, v174
	v_fmac_f32_e32 v35, v2, v10
	v_fmac_f32_e32 v29, v84, v5
	v_fma_f32 v52, v61, v4, v52
	v_cvt_f32_i32_e32 v4, v164
	v_fmac_f32_e32 v51, v58, v4
	v_cvt_f32_i32_e32 v4, v175
	v_fma_f32 v54, v64, v4, v54
	v_cvt_f32_i32_e32 v4, v172
	v_fmac_f32_e32 v53, v62, v4
	v_cvt_f32_i32_e32 v4, v176
	;; [unrolled: 4-line block ×3, first 2 shown]
	v_cvt_f32_i32_e32 v11, v60
	v_fma_f32 v46, v70, v4, v46
	v_cvt_f32_i32_e32 v4, v7
	v_cvt_f32_i32_e32 v7, v186
	v_fma_f32 v36, v3, v11, v36
	v_fmac_f32_e32 v45, v69, v4
	v_cvt_f32_i32_e32 v4, v12
	v_fmac_f32_e32 v31, v85, v7
	v_fma_f32 v48, v72, v4, v48
	v_cvt_f32_i32_e32 v4, v8
	v_cvt_f32_i32_e32 v8, v59
	v_fmac_f32_e32 v47, v71, v4
	v_cvt_f32_i32_e32 v4, v178
	v_fma_f32 v32, v13, v8, v32
	v_fma_f32 v50, v74, v4, v50
	v_cvt_f32_i32_e32 v4, v177
	v_fmac_f32_e32 v49, v73, v4
	v_cvt_f32_i32_e32 v4, v19
	v_fma_f32 v38, v78, v4, v38
	v_cvt_f32_i32_e32 v4, v14
	v_fmac_f32_e32 v37, v77, v4
	v_cvt_f32_i32_e32 v4, v20
	v_fma_f32 v40, v80, v4, v40
	v_cvt_f32_i32_e32 v4, v179
	v_fmac_f32_e32 v39, v79, v4
	v_cvt_f32_i32_e32 v4, v196
	v_fma_f32 v44, v82, v4, v44
	v_cvt_f32_i32_e32 v4, v15
	v_fmac_f32_e32 v43, v81, v4
	s_cbranch_scc1 .LBB141_11
; %bb.12:                               ;   in Loop: Header=BB141_6 Depth=1
	s_barrier
	buffer_gl0_inv
	s_branch .LBB141_5
.LBB141_13:
	v_cvt_f16_f32_e32 v12, v22
	v_cvt_f16_f32_e32 v13, v51
	;; [unrolled: 1-line block ×32, first 2 shown]
	v_mov_b32_e32 v27, v87
.LBB141_14:
	s_mov_b32 s0, exec_lo
	v_cmpx_gt_u32_e64 s8, v27
	s_cbranch_execz .LBB141_65
; %bb.15:
	v_add_nc_u32_e32 v0, s6, v0
	v_mul_lo_u32 v27, v27, s10
	v_cmp_gt_u32_e32 vcc_lo, s10, v0
	s_and_saveexec_b32 s1, vcc_lo
	s_cbranch_execz .LBB141_17
; %bb.16:
	v_add_nc_u32_e32 v28, v0, v27
	v_mov_b32_e32 v29, 0
	v_lshlrev_b64 v[28:29], 1, v[28:29]
	s_waitcnt lgkmcnt(0)
	v_add_co_u32 v28, s0, s12, v28
	v_add_co_ci_u32_e64 v29, null, s13, v29, s0
	global_store_short v[28:29], v12, off
.LBB141_17:
	s_or_b32 exec_lo, exec_lo, s1
	v_add_nc_u32_e32 v12, 32, v0
	v_cmp_gt_u32_e64 s0, s10, v12
	s_and_saveexec_b32 s2, s0
	s_cbranch_execz .LBB141_19
; %bb.18:
	v_add_nc_u32_e32 v28, v12, v27
	v_mov_b32_e32 v29, 0
	v_lshlrev_b64 v[28:29], 1, v[28:29]
	s_waitcnt lgkmcnt(0)
	v_add_co_u32 v28, s1, s12, v28
	v_add_co_ci_u32_e64 v29, null, s13, v29, s1
	global_store_short v[28:29], v13, off
.LBB141_19:
	s_or_b32 exec_lo, exec_lo, s2
	v_add_nc_u32_e32 v13, 64, v0
	v_cmp_gt_u32_e64 s1, s10, v13
	s_and_saveexec_b32 s3, s1
	;; [unrolled: 14-line block ×3, first 2 shown]
	s_cbranch_execz .LBB141_23
; %bb.22:
	v_add_nc_u32_e32 v27, v14, v27
	v_mov_b32_e32 v28, 0
	v_lshlrev_b64 v[27:28], 1, v[27:28]
	s_waitcnt lgkmcnt(0)
	v_add_co_u32 v27, s3, s12, v27
	v_add_co_ci_u32_e64 v28, null, s13, v28, s3
	global_store_short v[27:28], v58, off
.LBB141_23:
	s_or_b32 exec_lo, exec_lo, s4
	v_add3_u32 v27, v1, s7, 8
	v_cmp_gt_u32_e64 s3, s8, v27
	s_and_b32 exec_lo, exec_lo, s3
	s_cbranch_execz .LBB141_65
; %bb.24:
	v_mul_lo_u32 v27, v27, s10
	s_and_saveexec_b32 s4, vcc_lo
	s_cbranch_execnz .LBB141_66
; %bb.25:
	s_or_b32 exec_lo, exec_lo, s4
	s_and_saveexec_b32 s4, s0
	s_cbranch_execnz .LBB141_67
.LBB141_26:
	s_or_b32 exec_lo, exec_lo, s4
	s_and_saveexec_b32 s4, s1
	s_cbranch_execnz .LBB141_68
.LBB141_27:
	s_or_b32 exec_lo, exec_lo, s4
	s_and_saveexec_b32 s4, s2
	s_cbranch_execz .LBB141_29
.LBB141_28:
	v_add_nc_u32_e32 v27, v27, v14
	v_mov_b32_e32 v28, 0
	v_lshlrev_b64 v[27:28], 1, v[27:28]
	s_waitcnt lgkmcnt(0)
	v_add_co_u32 v27, s3, s12, v27
	v_add_co_ci_u32_e64 v28, null, s13, v28, s3
	global_store_short v[27:28], v52, off
.LBB141_29:
	s_or_b32 exec_lo, exec_lo, s4
	v_add3_u32 v27, v1, s7, 16
	v_cmp_gt_u32_e64 s3, s8, v27
	s_and_b32 exec_lo, exec_lo, s3
	s_cbranch_execz .LBB141_65
; %bb.30:
	v_mul_lo_u32 v27, v27, s10
	s_and_saveexec_b32 s4, vcc_lo
	s_cbranch_execnz .LBB141_69
; %bb.31:
	s_or_b32 exec_lo, exec_lo, s4
	s_and_saveexec_b32 s4, s0
	s_cbranch_execnz .LBB141_70
.LBB141_32:
	s_or_b32 exec_lo, exec_lo, s4
	s_and_saveexec_b32 s4, s1
	s_cbranch_execnz .LBB141_71
.LBB141_33:
	s_or_b32 exec_lo, exec_lo, s4
	s_and_saveexec_b32 s4, s2
	s_cbranch_execz .LBB141_35
.LBB141_34:
	v_add_nc_u32_e32 v26, v27, v14
	v_mov_b32_e32 v27, 0
	v_lshlrev_b64 v[26:27], 1, v[26:27]
	s_waitcnt lgkmcnt(0)
	v_add_co_u32 v26, s3, s12, v26
	v_add_co_ci_u32_e64 v27, null, s13, v27, s3
	global_store_short v[26:27], v25, off
.LBB141_35:
	s_or_b32 exec_lo, exec_lo, s4
	v_add3_u32 v25, v1, s7, 24
	v_cmp_gt_u32_e64 s3, s8, v25
	s_and_b32 exec_lo, exec_lo, s3
	s_cbranch_execz .LBB141_65
; %bb.36:
	v_mul_lo_u32 v25, v25, s10
	s_and_saveexec_b32 s4, vcc_lo
	s_cbranch_execnz .LBB141_72
; %bb.37:
	s_or_b32 exec_lo, exec_lo, s4
	s_and_saveexec_b32 s4, s0
	s_cbranch_execnz .LBB141_73
.LBB141_38:
	s_or_b32 exec_lo, exec_lo, s4
	s_and_saveexec_b32 s4, s1
	s_cbranch_execnz .LBB141_74
.LBB141_39:
	s_or_b32 exec_lo, exec_lo, s4
	s_and_saveexec_b32 s4, s2
	s_cbranch_execz .LBB141_41
.LBB141_40:
	v_add_nc_u32_e32 v22, v25, v14
	v_mov_b32_e32 v23, 0
	v_lshlrev_b64 v[22:23], 1, v[22:23]
	s_waitcnt lgkmcnt(0)
	v_add_co_u32 v22, s3, s12, v22
	v_add_co_ci_u32_e64 v23, null, s13, v23, s3
	global_store_short v[22:23], v21, off
.LBB141_41:
	s_or_b32 exec_lo, exec_lo, s4
	v_add3_u32 v21, v1, s7, 32
	v_cmp_gt_u32_e64 s3, s8, v21
	s_and_b32 exec_lo, exec_lo, s3
	s_cbranch_execz .LBB141_65
; %bb.42:
	v_mul_lo_u32 v21, v21, s10
	s_and_saveexec_b32 s4, vcc_lo
	s_cbranch_execnz .LBB141_75
; %bb.43:
	s_or_b32 exec_lo, exec_lo, s4
	s_and_saveexec_b32 s4, s0
	s_cbranch_execnz .LBB141_76
.LBB141_44:
	s_or_b32 exec_lo, exec_lo, s4
	s_and_saveexec_b32 s4, s1
	s_cbranch_execnz .LBB141_77
.LBB141_45:
	s_or_b32 exec_lo, exec_lo, s4
	s_and_saveexec_b32 s4, s2
	s_cbranch_execz .LBB141_47
.LBB141_46:
	v_add_nc_u32_e32 v18, v21, v14
	v_mov_b32_e32 v19, 0
	v_lshlrev_b64 v[18:19], 1, v[18:19]
	s_waitcnt lgkmcnt(0)
	v_add_co_u32 v18, s3, s12, v18
	v_add_co_ci_u32_e64 v19, null, s13, v19, s3
	global_store_short v[18:19], v17, off
.LBB141_47:
	s_or_b32 exec_lo, exec_lo, s4
	v_add3_u32 v17, v1, s7, 40
	v_cmp_gt_u32_e64 s3, s8, v17
	s_and_b32 exec_lo, exec_lo, s3
	s_cbranch_execz .LBB141_65
; %bb.48:
	v_mul_lo_u32 v17, v17, s10
	s_and_saveexec_b32 s4, vcc_lo
	s_cbranch_execnz .LBB141_78
; %bb.49:
	s_or_b32 exec_lo, exec_lo, s4
	s_and_saveexec_b32 s4, s0
	s_cbranch_execnz .LBB141_79
.LBB141_50:
	s_or_b32 exec_lo, exec_lo, s4
	s_and_saveexec_b32 s4, s1
	s_cbranch_execnz .LBB141_80
.LBB141_51:
	s_or_b32 exec_lo, exec_lo, s4
	s_and_saveexec_b32 s4, s2
	s_cbranch_execz .LBB141_53
.LBB141_52:
	v_add_nc_u32_e32 v15, v17, v14
	v_mov_b32_e32 v16, 0
	v_lshlrev_b64 v[15:16], 1, v[15:16]
	s_waitcnt lgkmcnt(0)
	v_add_co_u32 v15, s3, s12, v15
	v_add_co_ci_u32_e64 v16, null, s13, v16, s3
	global_store_short v[15:16], v10, off
.LBB141_53:
	s_or_b32 exec_lo, exec_lo, s4
	v_add3_u32 v10, v1, s7, 48
	v_cmp_gt_u32_e64 s3, s8, v10
	s_and_b32 exec_lo, exec_lo, s3
	s_cbranch_execz .LBB141_65
; %bb.54:
	v_mul_lo_u32 v10, v10, s10
	s_and_saveexec_b32 s4, vcc_lo
	s_cbranch_execnz .LBB141_81
; %bb.55:
	s_or_b32 exec_lo, exec_lo, s4
	s_and_saveexec_b32 s4, s0
	s_cbranch_execnz .LBB141_82
.LBB141_56:
	s_or_b32 exec_lo, exec_lo, s4
	s_and_saveexec_b32 s4, s1
	s_cbranch_execnz .LBB141_83
.LBB141_57:
	s_or_b32 exec_lo, exec_lo, s4
	s_and_saveexec_b32 s4, s2
	s_cbranch_execz .LBB141_59
.LBB141_58:
	v_add_nc_u32_e32 v7, v10, v14
	v_mov_b32_e32 v8, 0
	v_lshlrev_b64 v[7:8], 1, v[7:8]
	s_waitcnt lgkmcnt(0)
	v_add_co_u32 v7, s3, s12, v7
	v_add_co_ci_u32_e64 v8, null, s13, v8, s3
	global_store_short v[7:8], v6, off
.LBB141_59:
	s_or_b32 exec_lo, exec_lo, s4
	v_add3_u32 v1, v1, s7, 56
	v_cmp_gt_u32_e64 s3, s8, v1
	s_and_b32 exec_lo, exec_lo, s3
	s_cbranch_execz .LBB141_65
; %bb.60:
	v_mul_lo_u32 v1, v1, s10
	s_and_saveexec_b32 s3, vcc_lo
	s_cbranch_execnz .LBB141_84
; %bb.61:
	s_or_b32 exec_lo, exec_lo, s3
	s_and_saveexec_b32 s3, s0
	s_cbranch_execnz .LBB141_85
.LBB141_62:
	s_or_b32 exec_lo, exec_lo, s3
	s_and_saveexec_b32 s0, s1
	s_cbranch_execnz .LBB141_86
.LBB141_63:
	s_or_b32 exec_lo, exec_lo, s0
	s_and_b32 exec_lo, exec_lo, s2
	s_cbranch_execz .LBB141_65
.LBB141_64:
	v_add_nc_u32_e32 v0, v1, v14
	v_mov_b32_e32 v1, 0
	v_lshlrev_b64 v[0:1], 1, v[0:1]
	s_waitcnt lgkmcnt(0)
	v_add_co_u32 v0, vcc_lo, s12, v0
	v_add_co_ci_u32_e64 v1, null, s13, v1, vcc_lo
	global_store_short v[0:1], v2, off
.LBB141_65:
	s_endpgm
.LBB141_66:
	v_add_nc_u32_e32 v28, v27, v0
	v_mov_b32_e32 v29, 0
	v_lshlrev_b64 v[28:29], 1, v[28:29]
	s_waitcnt lgkmcnt(0)
	v_add_co_u32 v28, s3, s12, v28
	v_add_co_ci_u32_e64 v29, null, s13, v29, s3
	global_store_short v[28:29], v57, off
	s_or_b32 exec_lo, exec_lo, s4
	s_and_saveexec_b32 s4, s0
	s_cbranch_execz .LBB141_26
.LBB141_67:
	v_add_nc_u32_e32 v28, v27, v12
	v_mov_b32_e32 v29, 0
	v_lshlrev_b64 v[28:29], 1, v[28:29]
	s_waitcnt lgkmcnt(0)
	v_add_co_u32 v28, s3, s12, v28
	v_add_co_ci_u32_e64 v29, null, s13, v29, s3
	global_store_short v[28:29], v55, off
	s_or_b32 exec_lo, exec_lo, s4
	s_and_saveexec_b32 s4, s1
	s_cbranch_execz .LBB141_27
.LBB141_68:
	v_add_nc_u32_e32 v28, v27, v13
	v_mov_b32_e32 v29, 0
	v_lshlrev_b64 v[28:29], 1, v[28:29]
	s_waitcnt lgkmcnt(0)
	v_add_co_u32 v28, s3, s12, v28
	v_add_co_ci_u32_e64 v29, null, s13, v29, s3
	global_store_short v[28:29], v53, off
	s_or_b32 exec_lo, exec_lo, s4
	s_and_saveexec_b32 s4, s2
	s_cbranch_execnz .LBB141_28
	s_branch .LBB141_29
.LBB141_69:
	v_add_nc_u32_e32 v28, v27, v0
	v_mov_b32_e32 v29, 0
	v_lshlrev_b64 v[28:29], 1, v[28:29]
	s_waitcnt lgkmcnt(0)
	v_add_co_u32 v28, s3, s12, v28
	v_add_co_ci_u32_e64 v29, null, s13, v29, s3
	global_store_short v[28:29], v51, off
	s_or_b32 exec_lo, exec_lo, s4
	s_and_saveexec_b32 s4, s0
	s_cbranch_execz .LBB141_32
.LBB141_70:
	v_add_nc_u32_e32 v28, v27, v12
	v_mov_b32_e32 v29, 0
	v_lshlrev_b64 v[28:29], 1, v[28:29]
	s_waitcnt lgkmcnt(0)
	v_add_co_u32 v28, s3, s12, v28
	v_add_co_ci_u32_e64 v29, null, s13, v29, s3
	global_store_short v[28:29], v41, off
	s_or_b32 exec_lo, exec_lo, s4
	s_and_saveexec_b32 s4, s1
	s_cbranch_execz .LBB141_33
.LBB141_71:
	v_add_nc_u32_e32 v28, v27, v13
	v_mov_b32_e32 v29, 0
	v_lshlrev_b64 v[28:29], 1, v[28:29]
	s_waitcnt lgkmcnt(0)
	v_add_co_u32 v28, s3, s12, v28
	v_add_co_ci_u32_e64 v29, null, s13, v29, s3
	global_store_short v[28:29], v26, off
	s_or_b32 exec_lo, exec_lo, s4
	s_and_saveexec_b32 s4, s2
	s_cbranch_execnz .LBB141_34
	s_branch .LBB141_35
.LBB141_72:
	v_add_nc_u32_e32 v26, v25, v0
	v_mov_b32_e32 v27, 0
	v_lshlrev_b64 v[26:27], 1, v[26:27]
	s_waitcnt lgkmcnt(0)
	v_add_co_u32 v26, s3, s12, v26
	v_add_co_ci_u32_e64 v27, null, s13, v27, s3
	global_store_short v[26:27], v24, off
	s_or_b32 exec_lo, exec_lo, s4
	s_and_saveexec_b32 s4, s0
	s_cbranch_execz .LBB141_38
.LBB141_73:
	v_add_nc_u32_e32 v26, v25, v12
	v_mov_b32_e32 v27, 0
	v_lshlrev_b64 v[26:27], 1, v[26:27]
	s_waitcnt lgkmcnt(0)
	v_add_co_u32 v26, s3, s12, v26
	v_add_co_ci_u32_e64 v27, null, s13, v27, s3
	global_store_short v[26:27], v23, off
	s_or_b32 exec_lo, exec_lo, s4
	s_and_saveexec_b32 s4, s1
	s_cbranch_execz .LBB141_39
.LBB141_74:
	v_add_nc_u32_e32 v23, v25, v13
	v_mov_b32_e32 v24, 0
	v_lshlrev_b64 v[23:24], 1, v[23:24]
	s_waitcnt lgkmcnt(0)
	v_add_co_u32 v23, s3, s12, v23
	v_add_co_ci_u32_e64 v24, null, s13, v24, s3
	global_store_short v[23:24], v22, off
	s_or_b32 exec_lo, exec_lo, s4
	s_and_saveexec_b32 s4, s2
	s_cbranch_execnz .LBB141_40
	s_branch .LBB141_41
.LBB141_75:
	v_add_nc_u32_e32 v22, v21, v0
	v_mov_b32_e32 v23, 0
	v_lshlrev_b64 v[22:23], 1, v[22:23]
	s_waitcnt lgkmcnt(0)
	v_add_co_u32 v22, s3, s12, v22
	v_add_co_ci_u32_e64 v23, null, s13, v23, s3
	global_store_short v[22:23], v20, off
	s_or_b32 exec_lo, exec_lo, s4
	s_and_saveexec_b32 s4, s0
	s_cbranch_execz .LBB141_44
.LBB141_76:
	v_add_nc_u32_e32 v22, v21, v12
	v_mov_b32_e32 v23, 0
	v_lshlrev_b64 v[22:23], 1, v[22:23]
	s_waitcnt lgkmcnt(0)
	v_add_co_u32 v22, s3, s12, v22
	v_add_co_ci_u32_e64 v23, null, s13, v23, s3
	global_store_short v[22:23], v19, off
	s_or_b32 exec_lo, exec_lo, s4
	s_and_saveexec_b32 s4, s1
	s_cbranch_execz .LBB141_45
.LBB141_77:
	v_add_nc_u32_e32 v19, v21, v13
	v_mov_b32_e32 v20, 0
	v_lshlrev_b64 v[19:20], 1, v[19:20]
	s_waitcnt lgkmcnt(0)
	v_add_co_u32 v19, s3, s12, v19
	v_add_co_ci_u32_e64 v20, null, s13, v20, s3
	global_store_short v[19:20], v18, off
	s_or_b32 exec_lo, exec_lo, s4
	s_and_saveexec_b32 s4, s2
	s_cbranch_execnz .LBB141_46
	s_branch .LBB141_47
.LBB141_78:
	v_add_nc_u32_e32 v18, v17, v0
	v_mov_b32_e32 v19, 0
	v_lshlrev_b64 v[18:19], 1, v[18:19]
	s_waitcnt lgkmcnt(0)
	v_add_co_u32 v18, s3, s12, v18
	v_add_co_ci_u32_e64 v19, null, s13, v19, s3
	global_store_short v[18:19], v16, off
	s_or_b32 exec_lo, exec_lo, s4
	s_and_saveexec_b32 s4, s0
	s_cbranch_execz .LBB141_50
.LBB141_79:
	v_add_nc_u32_e32 v18, v17, v12
	v_mov_b32_e32 v19, 0
	v_lshlrev_b64 v[18:19], 1, v[18:19]
	s_waitcnt lgkmcnt(0)
	v_add_co_u32 v18, s3, s12, v18
	v_add_co_ci_u32_e64 v19, null, s13, v19, s3
	global_store_short v[18:19], v15, off
	s_or_b32 exec_lo, exec_lo, s4
	s_and_saveexec_b32 s4, s1
	s_cbranch_execz .LBB141_51
.LBB141_80:
	v_add_nc_u32_e32 v15, v17, v13
	v_mov_b32_e32 v16, 0
	v_lshlrev_b64 v[15:16], 1, v[15:16]
	s_waitcnt lgkmcnt(0)
	v_add_co_u32 v15, s3, s12, v15
	v_add_co_ci_u32_e64 v16, null, s13, v16, s3
	global_store_short v[15:16], v11, off
	s_or_b32 exec_lo, exec_lo, s4
	s_and_saveexec_b32 s4, s2
	s_cbranch_execnz .LBB141_52
	s_branch .LBB141_53
.LBB141_81:
	v_add_nc_u32_e32 v15, v10, v0
	v_mov_b32_e32 v16, 0
	v_lshlrev_b64 v[15:16], 1, v[15:16]
	s_waitcnt lgkmcnt(0)
	v_add_co_u32 v15, s3, s12, v15
	v_add_co_ci_u32_e64 v16, null, s13, v16, s3
	global_store_short v[15:16], v9, off
	s_or_b32 exec_lo, exec_lo, s4
	s_and_saveexec_b32 s4, s0
	s_cbranch_execz .LBB141_56
.LBB141_82:
	v_add_nc_u32_e32 v15, v10, v12
	v_mov_b32_e32 v16, 0
	v_lshlrev_b64 v[15:16], 1, v[15:16]
	s_waitcnt lgkmcnt(0)
	v_add_co_u32 v15, s3, s12, v15
	v_add_co_ci_u32_e64 v16, null, s13, v16, s3
	global_store_short v[15:16], v8, off
	s_or_b32 exec_lo, exec_lo, s4
	s_and_saveexec_b32 s4, s1
	s_cbranch_execz .LBB141_57
.LBB141_83:
	v_add_nc_u32_e32 v8, v10, v13
	v_mov_b32_e32 v9, 0
	v_lshlrev_b64 v[8:9], 1, v[8:9]
	s_waitcnt lgkmcnt(0)
	v_add_co_u32 v8, s3, s12, v8
	v_add_co_ci_u32_e64 v9, null, s13, v9, s3
	global_store_short v[8:9], v7, off
	s_or_b32 exec_lo, exec_lo, s4
	s_and_saveexec_b32 s4, s2
	s_cbranch_execnz .LBB141_58
	s_branch .LBB141_59
.LBB141_84:
	v_add_nc_u32_e32 v6, v1, v0
	v_mov_b32_e32 v7, 0
	v_lshlrev_b64 v[6:7], 1, v[6:7]
	s_waitcnt lgkmcnt(0)
	v_add_co_u32 v6, vcc_lo, s12, v6
	v_add_co_ci_u32_e64 v7, null, s13, v7, vcc_lo
	global_store_short v[6:7], v5, off
	s_or_b32 exec_lo, exec_lo, s3
	s_and_saveexec_b32 s3, s0
	s_cbranch_execz .LBB141_62
.LBB141_85:
	v_add_nc_u32_e32 v5, v1, v12
	v_mov_b32_e32 v6, 0
	v_lshlrev_b64 v[5:6], 1, v[5:6]
	s_waitcnt lgkmcnt(0)
	v_add_co_u32 v5, vcc_lo, s12, v5
	v_add_co_ci_u32_e64 v6, null, s13, v6, vcc_lo
	global_store_short v[5:6], v4, off
	s_or_b32 exec_lo, exec_lo, s3
	s_and_saveexec_b32 s0, s1
	s_cbranch_execz .LBB141_63
.LBB141_86:
	v_add_nc_u32_e32 v4, v1, v13
	v_mov_b32_e32 v5, 0
	v_lshlrev_b64 v[4:5], 1, v[4:5]
	s_waitcnt lgkmcnt(0)
	v_add_co_u32 v4, vcc_lo, s12, v4
	v_add_co_ci_u32_e64 v5, null, s13, v5, vcc_lo
	global_store_short v[4:5], v3, off
	s_or_b32 exec_lo, exec_lo, s0
	s_and_b32 exec_lo, exec_lo, s2
	s_cbranch_execnz .LBB141_64
	s_branch .LBB141_65
	.section	.rodata,"a",@progbits
	.p2align	6, 0x0
	.amdhsa_kernel _ZL12mul_mat_q5_0IN3c104HalfELb0EEvPKvS3_PT_iiiii
		.amdhsa_group_segment_fixed_size 46720
		.amdhsa_private_segment_fixed_size 0
		.amdhsa_kernarg_size 44
		.amdhsa_user_sgpr_count 6
		.amdhsa_user_sgpr_private_segment_buffer 1
		.amdhsa_user_sgpr_dispatch_ptr 0
		.amdhsa_user_sgpr_queue_ptr 0
		.amdhsa_user_sgpr_kernarg_segment_ptr 1
		.amdhsa_user_sgpr_dispatch_id 0
		.amdhsa_user_sgpr_flat_scratch_init 0
		.amdhsa_user_sgpr_private_segment_size 0
		.amdhsa_wavefront_size32 1
		.amdhsa_uses_dynamic_stack 0
		.amdhsa_system_sgpr_private_segment_wavefront_offset 0
		.amdhsa_system_sgpr_workgroup_id_x 1
		.amdhsa_system_sgpr_workgroup_id_y 1
		.amdhsa_system_sgpr_workgroup_id_z 0
		.amdhsa_system_sgpr_workgroup_info 0
		.amdhsa_system_vgpr_workitem_id 1
		.amdhsa_next_free_vgpr 200
		.amdhsa_next_free_sgpr 15
		.amdhsa_reserve_vcc 1
		.amdhsa_reserve_flat_scratch 0
		.amdhsa_float_round_mode_32 0
		.amdhsa_float_round_mode_16_64 0
		.amdhsa_float_denorm_mode_32 3
		.amdhsa_float_denorm_mode_16_64 3
		.amdhsa_dx10_clamp 1
		.amdhsa_ieee_mode 1
		.amdhsa_fp16_overflow 0
		.amdhsa_workgroup_processor_mode 1
		.amdhsa_memory_ordered 1
		.amdhsa_forward_progress 1
		.amdhsa_shared_vgpr_count 0
		.amdhsa_exception_fp_ieee_invalid_op 0
		.amdhsa_exception_fp_denorm_src 0
		.amdhsa_exception_fp_ieee_div_zero 0
		.amdhsa_exception_fp_ieee_overflow 0
		.amdhsa_exception_fp_ieee_underflow 0
		.amdhsa_exception_fp_ieee_inexact 0
		.amdhsa_exception_int_div_zero 0
	.end_amdhsa_kernel
	.section	.text._ZL12mul_mat_q5_0IN3c104HalfELb0EEvPKvS3_PT_iiiii,"axG",@progbits,_ZL12mul_mat_q5_0IN3c104HalfELb0EEvPKvS3_PT_iiiii,comdat
.Lfunc_end141:
	.size	_ZL12mul_mat_q5_0IN3c104HalfELb0EEvPKvS3_PT_iiiii, .Lfunc_end141-_ZL12mul_mat_q5_0IN3c104HalfELb0EEvPKvS3_PT_iiiii
                                        ; -- End function
	.set _ZL12mul_mat_q5_0IN3c104HalfELb0EEvPKvS3_PT_iiiii.num_vgpr, 200
	.set _ZL12mul_mat_q5_0IN3c104HalfELb0EEvPKvS3_PT_iiiii.num_agpr, 0
	.set _ZL12mul_mat_q5_0IN3c104HalfELb0EEvPKvS3_PT_iiiii.numbered_sgpr, 15
	.set _ZL12mul_mat_q5_0IN3c104HalfELb0EEvPKvS3_PT_iiiii.num_named_barrier, 0
	.set _ZL12mul_mat_q5_0IN3c104HalfELb0EEvPKvS3_PT_iiiii.private_seg_size, 0
	.set _ZL12mul_mat_q5_0IN3c104HalfELb0EEvPKvS3_PT_iiiii.uses_vcc, 1
	.set _ZL12mul_mat_q5_0IN3c104HalfELb0EEvPKvS3_PT_iiiii.uses_flat_scratch, 0
	.set _ZL12mul_mat_q5_0IN3c104HalfELb0EEvPKvS3_PT_iiiii.has_dyn_sized_stack, 0
	.set _ZL12mul_mat_q5_0IN3c104HalfELb0EEvPKvS3_PT_iiiii.has_recursion, 0
	.set _ZL12mul_mat_q5_0IN3c104HalfELb0EEvPKvS3_PT_iiiii.has_indirect_call, 0
	.section	.AMDGPU.csdata,"",@progbits
; Kernel info:
; codeLenInByte = 16072
; TotalNumSgprs: 17
; NumVgprs: 200
; ScratchSize: 0
; MemoryBound: 0
; FloatMode: 240
; IeeeMode: 1
; LDSByteSize: 46720 bytes/workgroup (compile time only)
; SGPRBlocks: 0
; VGPRBlocks: 24
; NumSGPRsForWavesPerEU: 17
; NumVGPRsForWavesPerEU: 200
; Occupancy: 4
; WaveLimiterHint : 0
; COMPUTE_PGM_RSRC2:SCRATCH_EN: 0
; COMPUTE_PGM_RSRC2:USER_SGPR: 6
; COMPUTE_PGM_RSRC2:TRAP_HANDLER: 0
; COMPUTE_PGM_RSRC2:TGID_X_EN: 1
; COMPUTE_PGM_RSRC2:TGID_Y_EN: 1
; COMPUTE_PGM_RSRC2:TGID_Z_EN: 0
; COMPUTE_PGM_RSRC2:TIDIG_COMP_CNT: 1
	.section	.text._ZL12mul_mat_q5_0IN3c104HalfELb1EEvPKvS3_PT_iiiii,"axG",@progbits,_ZL12mul_mat_q5_0IN3c104HalfELb1EEvPKvS3_PT_iiiii,comdat
	.globl	_ZL12mul_mat_q5_0IN3c104HalfELb1EEvPKvS3_PT_iiiii ; -- Begin function _ZL12mul_mat_q5_0IN3c104HalfELb1EEvPKvS3_PT_iiiii
	.p2align	8
	.type	_ZL12mul_mat_q5_0IN3c104HalfELb1EEvPKvS3_PT_iiiii,@function
_ZL12mul_mat_q5_0IN3c104HalfELb1EEvPKvS3_PT_iiiii: ; @_ZL12mul_mat_q5_0IN3c104HalfELb1EEvPKvS3_PT_iiiii
; %bb.0:
	s_clause 0x1
	s_load_dwordx4 s[8:11], s[4:5], 0x18
	s_load_dword s14, s[4:5], 0x28
	s_lshl_b32 s7, s7, 6
	v_add_nc_u32_e32 v103, s7, v1
	s_waitcnt lgkmcnt(0)
	s_cmp_gt_i32 s8, 31
	s_cbranch_scc1 .LBB142_2
; %bb.1:
	v_add_nc_u32_e32 v34, s7, v1
	s_mov_b32 s0, 0
	s_branch .LBB142_3
.LBB142_2:
	s_mov_b32 s0, -1
                                        ; implicit-def: $vgpr34
.LBB142_3:
	s_load_dwordx2 s[12:13], s[4:5], 0x10
	v_mov_b32_e32 v2, 0
	v_mov_b32_e32 v6, 0
	v_mov_b32_e32 v10, 0
	v_mov_b32_e32 v17, 0
	v_mov_b32_e32 v21, 0
	v_mov_b32_e32 v25, 0
	v_mov_b32_e32 v29, 0
	v_mov_b32_e32 v33, 0
	v_mov_b32_e32 v3, 0
	v_mov_b32_e32 v7, 0
	v_mov_b32_e32 v11, 0
	v_mov_b32_e32 v18, 0
	v_mov_b32_e32 v22, 0
	v_mov_b32_e32 v26, 0
	v_mov_b32_e32 v30, 0
	v_mov_b32_e32 v14, 0
	v_mov_b32_e32 v4, 0
	v_mov_b32_e32 v8, 0
	v_mov_b32_e32 v15, 0
	v_mov_b32_e32 v19, 0
	v_mov_b32_e32 v23, 0
	v_mov_b32_e32 v27, 0
	v_mov_b32_e32 v31, 0
	v_mov_b32_e32 v13, 0
	v_mov_b32_e32 v5, 0
	v_mov_b32_e32 v9, 0
	v_mov_b32_e32 v16, 0
	v_mov_b32_e32 v20, 0
	v_mov_b32_e32 v24, 0
	v_mov_b32_e32 v28, 0
	v_mov_b32_e32 v32, 0
	v_mov_b32_e32 v12, 0
	s_andn2_b32 vcc_lo, exec_lo, s0
	s_lshl_b32 s6, s6, 7
	s_cbranch_vccnz .LBB142_14
; %bb.4:
	s_load_dwordx4 s[0:3], s[4:5], 0x0
	s_ashr_i32 s4, s8, 31
	s_ashr_i32 s5, s11, 31
	s_lshr_b32 s4, s4, 27
	s_lshr_b32 s5, s5, 27
	s_add_i32 s4, s8, s4
	s_add_i32 s5, s11, s5
	s_ashr_i32 s4, s4, 5
	s_ashr_i32 s11, s5, 5
	s_mul_i32 s8, s4, s6
	v_add_nc_u32_e32 v21, 8, v1
	s_mul_i32 s5, s8, 22
	s_mul_hi_i32 s8, s8, 22
	v_lshlrev_b32_e32 v3, 3, v0
	v_add_nc_u32_e32 v23, 16, v1
	v_add_nc_u32_e32 v42, 24, v1
	v_add_nc_u32_e32 v43, 32, v1
	v_add_nc_u32_e32 v44, 40, v1
	v_add_nc_u32_e32 v45, 48, v1
	v_add_nc_u32_e32 v46, 56, v1
	s_waitcnt lgkmcnt(0)
	s_add_u32 s5, s0, s5
	s_addc_u32 s8, s1, s8
	s_not_b32 s0, s6
	v_lshrrev_b32_e32 v117, 3, v0
	s_add_i32 s0, s9, s0
	v_and_b32_e32 v123, 7, v0
	v_min_i32_e32 v4, s0, v1
	v_min_i32_e32 v5, s0, v21
	;; [unrolled: 1-line block ×3, first 2 shown]
	v_lshl_add_u32 v41, v1, 2, v117
	v_add_nc_u32_e32 v9, 16, v103
	v_mad_u64_u32 v[24:25], null, 0x104, v4, v[3:4]
	v_mul_lo_u32 v106, v4, s4
	v_mad_u64_u32 v[25:26], null, 0x104, v5, v[3:4]
	v_min_i32_e32 v4, s0, v42
	v_mul_lo_u32 v107, v5, s4
	v_min_i32_e32 v5, s0, v43
	v_mul_lo_u32 v108, v6, s4
	v_min_i32_e32 v47, s0, v41
	v_mad_u64_u32 v[26:27], null, 0x104, v6, v[3:4]
	v_mul_lo_u32 v109, v4, s4
	v_mad_u64_u32 v[27:28], null, 0x104, v4, v[3:4]
	v_min_i32_e32 v4, s0, v44
	v_mul_lo_u32 v110, v5, s4
	v_add_nc_u32_e32 v6, 64, v1
	v_ashrrev_i32_e32 v7, 31, v47
	v_add_nc_u32_e32 v11, 24, v103
	v_mad_u64_u32 v[28:29], null, 0x104, v5, v[3:4]
	v_mul_lo_u32 v111, v4, s4
	v_min_i32_e32 v5, s0, v45
	v_mad_u64_u32 v[29:30], null, 0x104, v4, v[3:4]
	v_min_i32_e32 v4, s0, v46
	v_add_nc_u32_e32 v13, 32, v103
	v_mul_lo_u32 v112, v5, s4
	v_add_nc_u32_e32 v15, 40, v103
	s_add_i32 s1, s10, -1
	v_mad_u64_u32 v[30:31], null, 0x104, v5, v[3:4]
	v_mul_lo_u32 v113, v4, s4
	v_min_i32_e32 v5, s0, v6
	v_add_nc_u32_e32 v6, 0x48, v1
	v_mad_u64_u32 v[31:32], null, 0x104, v4, v[3:4]
	v_add_nc_u32_e32 v4, 0x50, v1
	v_mul_lo_u32 v114, v5, s4
	v_min_i32_e32 v6, s0, v6
	v_cvt_f64_u32_e32 v[9:10], v9
	v_cvt_f64_u32_e32 v[11:12], v11
	v_mad_u64_u32 v[32:33], null, 0x104, v5, v[3:4]
	v_min_i32_e32 v4, s0, v4
	v_add_nc_u32_e32 v5, 0x58, v1
	v_mul_lo_u32 v115, v6, s4
	v_add_nc_u32_e32 v18, 48, v103
	v_cvt_f64_u32_e32 v[13:14], v13
	v_mad_u64_u32 v[33:34], null, 0x104, v6, v[3:4]
	v_add_nc_u32_e32 v6, 0x60, v1
	v_mul_lo_u32 v116, v4, s4
	v_min_i32_e32 v5, s0, v5
	v_mad_u64_u32 v[34:35], null, 0x104, v4, v[3:4]
	v_min_i32_e32 v4, s0, v6
	v_add_nc_u32_e32 v6, 0x68, v1
	v_mul_lo_u32 v118, v5, s4
	v_cvt_f64_u32_e32 v[15:16], v15
	v_add_nc_u32_e32 v19, 64, v41
	v_mad_u64_u32 v[35:36], null, 0x104, v5, v[3:4]
	v_min_i32_e32 v5, s0, v6
	v_add_nc_u32_e32 v6, 0x70, v1
	v_mul_lo_u32 v119, v4, s4
	v_mad_u64_u32 v[36:37], null, 0x104, v4, v[3:4]
	v_mul_lo_u32 v120, v5, s4
	v_min_i32_e32 v4, s0, v6
	v_add_nc_u32_e32 v6, 0x78, v1
	v_add_nc_u32_e32 v20, 56, v103
	v_min_i32_e32 v51, s0, v19
	v_lshrrev_b32_e32 v104, 2, v0
	v_mad_u64_u32 v[37:38], null, 0x104, v5, v[3:4]
	v_min_i32_e32 v5, s0, v6
	v_lshrrev_b32_e32 v6, 30, v7
	v_add_nc_u32_e32 v7, 32, v41
	v_mul_lo_u32 v121, v4, s4
	v_mad_u64_u32 v[38:39], null, 0x104, v4, v[3:4]
	v_add_nc_u32_e32 v4, v47, v6
	v_min_i32_e32 v48, s0, v7
	v_add_nc_u32_e32 v7, 8, v103
	v_mul_lo_u32 v122, v5, s4
	v_cvt_f64_u32_e32 v[19:20], v20
	v_mad_u64_u32 v[39:40], null, 0x104, v5, v[3:4]
	v_and_b32_e32 v17, -4, v4
	v_lshlrev_b32_e32 v40, 2, v123
	v_cvt_f64_i32_e32 v[3:4], s1
	v_cvt_f64_u32_e32 v[5:6], v103
	v_cvt_f64_u32_e32 v[7:8], v7
	v_ashrrev_i32_e32 v52, 31, v51
	v_add3_u32 v50, v17, v40, 0xa200
	v_cvt_f64_u32_e32 v[17:18], v18
	v_ashrrev_i32_e32 v49, 31, v48
	v_add_nc_u32_e32 v41, 0x60, v41
	v_lshrrev_b32_e32 v52, 30, v52
	v_mul_lo_u32 v125, v48, s4
	v_and_b32_e32 v2, 3, v0
	v_lshrrev_b32_e32 v49, 30, v49
	v_min_i32_e32 v41, s0, v41
	v_add_nc_u32_e32 v52, v51, v52
	v_mov_b32_e32 v22, 0
	v_lshlrev_b32_e32 v105, 2, v2
	v_add_nc_u32_e32 v49, v48, v49
	v_ashrrev_i32_e32 v53, 31, v41
	v_and_b32_e32 v52, -4, v52
	v_mul_lo_u32 v124, v47, s4
	v_lshlrev_b32_e32 v47, 5, v47
	v_and_b32_e32 v49, -4, v49
	v_min_f64 v[9:10], v[9:10], v[3:4]
	v_min_f64 v[5:6], v[5:6], v[3:4]
	;; [unrolled: 1-line block ×8, first 2 shown]
	v_lshlrev_b32_e32 v19, 5, v48
	v_add3_u32 v48, v52, v40, 0xa200
	v_lshl_add_u32 v52, v1, 3, v104
	v_lshrrev_b32_e32 v53, 30, v53
	v_add3_u32 v49, v49, v40, 0xa200
	v_mul_lo_u32 v126, v51, s4
	v_lshlrev_b32_e32 v51, 5, v51
	v_mul_lo_u32 v127, v41, s4
	v_add_nc_u32_e32 v20, v41, v53
	v_lshlrev_b32_e32 v131, 7, v1
	v_add_nc_u32_e32 v152, v50, v47
	v_add_nc_u32_e32 v153, v49, v19
	;; [unrolled: 1-line block ×3, first 2 shown]
	v_and_b32_e32 v20, -4, v20
	v_mul_u32_u24_e32 v139, 0x104, v0
	v_cvt_i32_f64_e32 v5, v[5:6]
	v_cvt_i32_f64_e32 v6, v[7:8]
	;; [unrolled: 1-line block ×8, first 2 shown]
	v_and_b32_e32 v7, 63, v52
	v_lshlrev_b32_e32 v15, 2, v0
	v_and_b32_e32 v17, 31, v0
	v_add3_u32 v9, v20, v40, 0xa200
	v_lshlrev_b32_e32 v11, 5, v41
	v_or_b32_e32 v13, s7, v7
	v_lshl_or_b32 v7, v7, 4, v105
	v_lshl_or_b32 v128, v17, 2, 0x8200
	v_and_b32_e32 v17, 0xfc, v0
	v_lshl_add_u32 v145, v1, 4, 0xb280
	v_min_i32_e32 v4, s1, v13
	v_and_b32_e32 v13, 28, v15
	v_lshlrev_b32_e32 v15, 5, v0
	v_add_nc_u32_e32 v129, 0xb280, v7
	v_mul_lo_u32 v130, s11, v5
	v_mul_lo_u32 v132, s11, v6
	;; [unrolled: 1-line block ×6, first 2 shown]
	v_add_nc_u32_e32 v10, 0x60, v0
	v_add_nc_u32_e32 v12, 64, v0
	;; [unrolled: 1-line block ×3, first 2 shown]
	v_mul_lo_u32 v137, s11, v16
	v_mad_u64_u32 v[40:41], null, v4, s11, v[2:3]
	v_and_b32_e32 v10, 0x1fc, v10
	v_and_b32_e32 v12, 0x1fc, v12
	;; [unrolled: 1-line block ×3, first 2 shown]
	v_lshlrev_b32_e32 v4, 7, v23
	v_mov_b32_e32 v23, v22
	v_lshlrev_b32_e32 v2, 7, v21
	v_lshlrev_b32_e32 v5, 7, v42
	;; [unrolled: 1-line block ×5, first 2 shown]
	v_mul_lo_u32 v138, s11, v3
	v_lshlrev_b32_e32 v3, 7, v46
	v_lshrrev_b32_e32 v140, 3, v14
	v_add_nc_u32_e32 v10, v15, v10
	v_add_nc_u32_e32 v12, v15, v12
	;; [unrolled: 1-line block ×4, first 2 shown]
	v_add_co_u32 v41, s0, s2, v13
	v_add_co_ci_u32_e64 v42, null, s3, 0, s0
	s_movk_i32 s0, 0x80
	v_mov_b32_e32 v58, v23
	v_mov_b32_e32 v50, v23
	;; [unrolled: 1-line block ×15, first 2 shown]
	v_add_nc_u32_e32 v141, 0xae00, v10
	v_add_nc_u32_e32 v142, 0xaa00, v12
	;; [unrolled: 1-line block ×9, first 2 shown]
	v_mad_u32_u24 v151, 0x104, v0, s0
	v_add_nc_u32_e32 v155, v9, v11
	v_add_nc_u32_e32 v156, v128, v2
	;; [unrolled: 1-line block ×8, first 2 shown]
	v_mov_b32_e32 v57, v22
	v_mov_b32_e32 v49, v22
	;; [unrolled: 1-line block ×15, first 2 shown]
	s_add_i32 s9, s4, 3
	s_mov_b32 s11, 0
	s_branch .LBB142_6
.LBB142_5:                              ;   in Loop: Header=BB142_6 Depth=1
	s_add_i32 s11, s11, 8
	s_add_i32 s9, s9, -8
	s_cmp_ge_i32 s11, s4
	s_cbranch_scc1 .LBB142_13
.LBB142_6:                              ; =>This Loop Header: Depth=1
                                        ;     Child Loop BB142_8 Depth 2
                                        ;     Child Loop BB142_11 Depth 2
	s_mul_i32 s0, s11, 22
	s_mul_hi_u32 s1, s11, 22
	s_add_u32 s0, s5, s0
	s_addc_u32 s1, s8, s1
	s_cmp_gt_u32 s9, 3
	v_mad_u64_u32 v[2:3], null, v104, 22, s[0:1]
	v_mad_i64_i32 v[4:5], null, v106, 22, v[2:3]
	v_mad_i64_i32 v[6:7], null, v107, 22, v[2:3]
	v_mad_i64_i32 v[13:14], null, v108, 22, v[2:3]
	v_mad_i64_i32 v[15:16], null, v109, 22, v[2:3]
	v_add_co_u32 v8, vcc_lo, v4, v105
	v_add_co_ci_u32_e64 v9, null, 0, v5, vcc_lo
	v_add_co_u32 v10, vcc_lo, v6, v105
	v_add_co_ci_u32_e64 v11, null, 0, v7, vcc_lo
	;; [unrolled: 2-line block ×4, first 2 shown]
	s_clause 0x7
	global_load_dword v12, v[8:9], off offset:6
	global_load_dword v10, v[10:11], off offset:6
	;; [unrolled: 1-line block ×8, first 2 shown]
	v_mad_i64_i32 v[16:17], null, v110, 22, v[2:3]
	v_mad_i64_i32 v[18:19], null, v111, 22, v[2:3]
	;; [unrolled: 1-line block ×4, first 2 shown]
	v_add_co_u32 v75, vcc_lo, v16, v105
	v_add_co_ci_u32_e64 v76, null, 0, v17, vcc_lo
	v_add_co_u32 v77, vcc_lo, v18, v105
	v_add_co_ci_u32_e64 v78, null, 0, v19, vcc_lo
	s_clause 0x5
	global_load_dword v5, v[73:74], off offset:2
	global_load_dword v7, v[20:21], off offset:2
	;; [unrolled: 1-line block ×6, first 2 shown]
	v_add_co_u32 v16, vcc_lo, v20, v105
	v_add_co_ci_u32_e64 v17, null, 0, v21, vcc_lo
	v_add_co_u32 v18, vcc_lo, v73, v105
	v_add_co_ci_u32_e64 v19, null, 0, v74, vcc_lo
	s_clause 0x1
	global_load_dword v6, v[16:17], off offset:6
	global_load_dword v4, v[18:19], off offset:6
	v_mad_i64_i32 v[18:19], null, v114, 22, v[2:3]
	v_mad_i64_i32 v[20:21], null, v115, 22, v[2:3]
	;; [unrolled: 1-line block ×8, first 2 shown]
	v_add_co_u32 v2, vcc_lo, v18, v105
	v_add_co_ci_u32_e64 v3, null, 0, v19, vcc_lo
	v_add_co_u32 v16, vcc_lo, v20, v105
	v_add_co_ci_u32_e64 v17, null, 0, v21, vcc_lo
	;; [unrolled: 2-line block ×4, first 2 shown]
	s_clause 0x7
	global_load_dword v95, v[2:3], off offset:6
	global_load_dword v96, v[16:17], off offset:6
	global_load_dword v16, v[85:86], off offset:6
	global_load_dword v2, v[87:88], off offset:6
	global_load_dword v3, v[75:76], off offset:2
	global_load_dword v17, v[73:74], off offset:2
	global_load_dword v20, v[20:21], off offset:2
	global_load_dword v18, v[18:19], off offset:2
	v_add_co_u32 v89, vcc_lo, v77, v105
	v_add_co_ci_u32_e64 v90, null, 0, v78, vcc_lo
	s_waitcnt vmcnt(23)
	v_and_b32_e32 v19, 0xf0f0f0f, v12
	v_lshrrev_b32_e32 v12, 4, v12
	s_waitcnt vmcnt(22)
	v_and_b32_e32 v21, 0xf0f0f0f, v10
	v_lshrrev_b32_e32 v10, 4, v10
	s_waitcnt vmcnt(19)
	v_ashrrev_i32_e32 v11, v105, v11
	s_waitcnt vmcnt(18)
	v_ashrrev_i32_e32 v13, v105, v13
	;; [unrolled: 2-line block ×4, first 2 shown]
	v_and_b32_e32 v73, 0xf0f0f0f, v8
	v_lshrrev_b32_e32 v8, 4, v8
	v_lshlrev_b32_e32 v167, 4, v13
	v_lshlrev_b32_e32 v100, 4, v14
	v_lshrrev_b32_e32 v97, 12, v15
	v_lshrrev_b32_e32 v98, 5, v15
	v_lshlrev_b32_e32 v99, 2, v15
	v_lshlrev_b32_e32 v101, 11, v14
	;; [unrolled: 1-line block ×4, first 2 shown]
	v_lshrrev_b32_e32 v164, 12, v14
	v_lshrrev_b32_e32 v165, 5, v14
	v_lshlrev_b32_e32 v166, 2, v14
	s_waitcnt vmcnt(13)
	v_ashrrev_i32_e32 v86, v105, v91
	s_waitcnt vmcnt(12)
	v_ashrrev_i32_e32 v75, v105, v92
	s_waitcnt vmcnt(11)
	v_and_b32_e32 v76, 0xf0f0f0f, v93
	v_lshrrev_b32_e32 v85, 4, v93
	s_waitcnt vmcnt(10)
	v_and_b32_e32 v87, 0xf0f0f0f, v94
	v_lshrrev_b32_e32 v88, 4, v94
	v_lshlrev_b32_e32 v91, 4, v15
	v_lshlrev_b32_e32 v92, 11, v15
	v_lshlrev_b32_e32 v93, 18, v15
	v_lshlrev_b32_e32 v94, 25, v15
	v_lshlrev_b32_e32 v15, 9, v15
	v_lshlrev_b32_e32 v14, 9, v14
	v_lshlrev_b32_e32 v168, 11, v13
	v_lshlrev_b32_e32 v169, 18, v13
	v_lshlrev_b32_e32 v170, 25, v13
	v_lshrrev_b32_e32 v171, 12, v13
	v_lshrrev_b32_e32 v172, 5, v13
	v_lshlrev_b32_e32 v173, 2, v13
	v_lshlrev_b32_e32 v13, 9, v13
	;; [unrolled: 1-line block ×4, first 2 shown]
	v_and_b32_e32 v74, 0xf0f0f0f, v9
	v_lshrrev_b32_e32 v9, 4, v9
	v_lshlrev_b32_e32 v176, 18, v11
	v_lshlrev_b32_e32 v177, 25, v11
	v_lshrrev_b32_e32 v178, 12, v11
	v_lshrrev_b32_e32 v179, 5, v11
	v_lshlrev_b32_e32 v180, 2, v11
	v_lshlrev_b32_e32 v11, 9, v11
	;; [unrolled: 1-line block ×4, first 2 shown]
	v_and_b32_e32 v12, 0xf0f0f0f, v12
	v_lshlrev_b32_e32 v188, 4, v86
	v_lshlrev_b32_e32 v189, 11, v86
	;; [unrolled: 1-line block ×4, first 2 shown]
	v_lshrrev_b32_e32 v192, 12, v86
	v_lshrrev_b32_e32 v193, 5, v86
	v_lshlrev_b32_e32 v194, 2, v86
	v_lshlrev_b32_e32 v86, 9, v86
	v_and_b32_e32 v91, 16, v91
	v_and_b32_e32 v92, 0x1000, v92
	;; [unrolled: 1-line block ×25, first 2 shown]
	v_lshlrev_b32_e32 v183, 18, v75
	v_lshlrev_b32_e32 v184, 25, v75
	v_lshrrev_b32_e32 v185, 12, v75
	v_lshrrev_b32_e32 v186, 5, v75
	v_lshlrev_b32_e32 v187, 2, v75
	v_lshlrev_b32_e32 v75, 9, v75
	v_and_b32_e32 v178, 16, v178
	v_and_b32_e32 v179, 0x1000, v179
	;; [unrolled: 1-line block ×11, first 2 shown]
	v_or3_b32 v91, v91, v19, v92
	v_or3_b32 v19, v19, v93, v94
	v_or3_b32 v92, v97, v12, v98
	v_and_b32_e32 v102, 0x100000, v102
	v_and_b32_e32 v163, 0x10000000, v163
	v_or3_b32 v12, v12, v99, v15
	v_or3_b32 v15, v100, v21, v101
	v_and_b32_e32 v169, 0x100000, v169
	v_and_b32_e32 v170, 0x10000000, v170
	v_or3_b32 v93, v164, v10, v165
	v_or3_b32 v10, v10, v166, v14
	;; [unrolled: 1-line block ×3, first 2 shown]
	v_and_b32_e32 v176, 0x100000, v176
	v_and_b32_e32 v177, 0x10000000, v177
	v_or3_b32 v94, v171, v8, v172
	v_or3_b32 v8, v8, v173, v13
	;; [unrolled: 1-line block ×3, first 2 shown]
	v_and_b32_e32 v85, 0xf0f0f0f, v85
	v_and_b32_e32 v183, 0x100000, v183
	;; [unrolled: 1-line block ×5, first 2 shown]
	v_or3_b32 v97, v178, v9, v179
	v_or3_b32 v9, v9, v180, v11
	;; [unrolled: 1-line block ×5, first 2 shown]
	v_lshrrev_b32_e32 v19, 16, v19
	v_and_b32_e32 v88, 0x1f00, v91
	v_lshlrev_b16 v91, 8, v91
	v_and_b32_e32 v100, 0x1f00, v92
	v_lshlrev_b16 v92, 8, v92
	v_or3_b32 v21, v21, v102, v163
	v_and_b32_e32 v101, 0x1f00, v15
	v_lshlrev_b16 v15, 8, v15
	v_or3_b32 v73, v73, v169, v170
	;; [unrolled: 3-line block ×3, first 2 shown]
	v_and_b32_e32 v165, 0x1f00, v13
	v_lshlrev_b16 v13, 8, v13
	v_and_b32_e32 v185, 16, v185
	v_and_b32_e32 v186, 0x1000, v186
	v_or3_b32 v76, v76, v183, v184
	v_or3_b32 v75, v85, v187, v75
	v_and_b32_e32 v167, 0x1f00, v11
	v_lshlrev_b16 v11, 8, v11
	v_lshrrev_b32_e32 v12, 16, v12
	v_add_nc_u16 v88, 0xf000, v88
	v_add_nc_u16 v91, 0xf000, v91
	v_and_b32_e32 v170, 0x1f00, v19
	v_lshlrev_b16 v19, 8, v19
	v_add_nc_u16 v92, 0xf000, v92
	v_lshrrev_b32_e32 v21, 16, v21
	v_lshrrev_b32_e32 v10, 16, v10
	v_add_nc_u16 v15, 0xf000, v15
	v_and_b32_e32 v102, 0x1f00, v93
	v_lshlrev_b16 v93, 8, v93
	v_lshrrev_b32_e32 v73, 16, v73
	v_lshrrev_b32_e32 v8, 16, v8
	v_add_nc_u16 v14, 0xf000, v14
	v_and_b32_e32 v164, 0x1f00, v94
	v_lshlrev_b16 v94, 8, v94
	v_lshrrev_b32_e32 v74, 16, v74
	v_lshrrev_b32_e32 v9, 16, v9
	v_add_nc_u16 v13, 0xf000, v13
	v_or3_b32 v98, v185, v85, v186
	v_and_b32_e32 v166, 0x1f00, v97
	v_lshlrev_b16 v97, 8, v97
	v_lshrrev_b32_e32 v76, 16, v76
	v_lshrrev_b32_e32 v75, 16, v75
	v_add_nc_u16 v11, 0xf000, v11
	v_and_b32_e32 v171, 0x1f00, v12
	v_lshlrev_b16 v12, 8, v12
	v_perm_b32 v88, v91, v88, 0xc0c0105
	v_add_nc_u16 v91, 0xf000, v170
	v_add_nc_u16 v19, 0xf000, v19
	v_or_b32_sdwa v92, v100, v92 dst_sel:DWORD dst_unused:UNUSED_PAD src0_sel:DWORD src1_sel:BYTE_1
	v_and_b32_e32 v172, 0x1f00, v21
	v_lshlrev_b16 v21, 8, v21
	v_and_b32_e32 v173, 0x1f00, v10
	v_lshlrev_b16 v10, 8, v10
	v_or_b32_sdwa v15, v101, v15 dst_sel:DWORD dst_unused:UNUSED_PAD src0_sel:DWORD src1_sel:BYTE_1
	v_add_nc_u16 v102, 0xf000, v102
	v_add_nc_u16 v93, 0xf000, v93
	v_and_b32_e32 v174, 0x1f00, v73
	v_lshlrev_b16 v73, 8, v73
	v_and_b32_e32 v175, 0x1f00, v8
	v_lshlrev_b16 v8, 8, v8
	v_or_b32_sdwa v14, v163, v14 dst_sel:DWORD dst_unused:UNUSED_PAD src0_sel:DWORD src1_sel:BYTE_1
	v_add_nc_u16 v164, 0xf000, v164
	v_add_nc_u16 v94, 0xf000, v94
	v_and_b32_e32 v176, 0x1f00, v74
	v_lshlrev_b16 v74, 8, v74
	v_and_b32_e32 v177, 0x1f00, v9
	v_lshlrev_b16 v9, 8, v9
	v_or_b32_sdwa v13, v165, v13 dst_sel:DWORD dst_unused:UNUSED_PAD src0_sel:DWORD src1_sel:BYTE_1
	v_and_b32_e32 v168, 0x1f00, v98
	v_lshlrev_b16 v98, 8, v98
	v_add_nc_u16 v166, 0xf000, v166
	v_add_nc_u16 v97, 0xf000, v97
	v_and_b32_e32 v178, 0x1f00, v76
	v_lshlrev_b16 v76, 8, v76
	v_and_b32_e32 v179, 0x1f00, v75
	v_lshlrev_b16 v75, 8, v75
	v_or_b32_sdwa v11, v167, v11 dst_sel:DWORD dst_unused:UNUSED_PAD src0_sel:DWORD src1_sel:BYTE_1
	v_add_nc_u16 v170, 0xf000, v171
	v_add_nc_u16 v12, 0xf000, v12
	v_perm_b32 v19, v19, v91, 0xc0c0105
	v_add_nc_u16 v91, 0xf000, v92
	v_add_nc_u16 v100, 0xf000, v172
	;; [unrolled: 1-line block ×6, first 2 shown]
	v_perm_b32 v93, v93, v102, 0xc0c0105
	v_add_nc_u16 v102, 0xf000, v174
	v_add_nc_u16 v73, 0xf000, v73
	;; [unrolled: 1-line block ×5, first 2 shown]
	v_perm_b32 v94, v94, v164, 0xc0c0105
	v_add_nc_u16 v164, 0xf000, v176
	v_add_nc_u16 v74, 0xf000, v74
	;; [unrolled: 1-line block ×7, first 2 shown]
	v_perm_b32 v97, v97, v166, 0xc0c0105
	v_add_nc_u16 v166, 0xf000, v178
	v_add_nc_u16 v76, 0xf000, v76
	;; [unrolled: 1-line block ×5, first 2 shown]
	v_perm_b32 v12, v12, v170, 0xc0c0105
	v_lshl_or_b32 v19, v19, 16, v88
	v_and_b32_e32 v88, 0xffff, v91
	v_perm_b32 v21, v21, v100, 0xc0c0105
	v_perm_b32 v10, v10, v101, 0xc0c0105
	v_and_b32_e32 v15, 0xffff, v15
	v_perm_b32 v73, v73, v102, 0xc0c0105
	v_perm_b32 v8, v8, v163, 0xc0c0105
	;; [unrolled: 3-line block ×4, first 2 shown]
	v_perm_b32 v75, v75, v167, 0xc0c0105
	v_and_b32_e32 v11, 0xffff, v11
	v_lshl_or_b32 v12, v12, 16, v88
	v_lshl_or_b32 v10, v10, 16, v93
	;; [unrolled: 1-line block ×9, first 2 shown]
	ds_write2_b32 v24, v19, v12 offset1:1
	ds_write2_b32 v25, v15, v10 offset1:1
	;; [unrolled: 1-line block ×5, first 2 shown]
	v_add_co_u32 v8, vcc_lo, v79, v105
	v_add_co_ci_u32_e64 v9, null, 0, v80, vcc_lo
	v_add_co_u32 v10, vcc_lo, v81, v105
	v_add_co_ci_u32_e64 v11, null, 0, v82, vcc_lo
	;; [unrolled: 2-line block ×3, first 2 shown]
	s_clause 0x7
	global_load_dword v15, v[89:90], off offset:6
	global_load_dword v19, v[8:9], off offset:6
	;; [unrolled: 1-line block ×8, first 2 shown]
	v_and_b32_e32 v188, 16, v188
	v_and_b32_e32 v189, 0x1000, v189
	;; [unrolled: 1-line block ×4, first 2 shown]
	v_lshlrev_b16 v14, 8, v99
	v_and_b32_e32 v13, 0x1f00, v99
	v_or3_b32 v85, v188, v87, v189
	v_ashrrev_i32_e32 v7, v105, v7
	v_or3_b32 v87, v87, v190, v191
	v_add_nc_u16 v14, 0xf000, v14
	v_lshrrev_b32_e32 v12, 16, v86
	s_waitcnt vmcnt(17)
	v_and_b32_e32 v79, 0xf0f0f0f, v6
	v_lshlrev_b32_e32 v76, 18, v7
	v_lshrrev_b32_e32 v87, 16, v87
	v_or_b32_sdwa v13, v13, v14 dst_sel:DWORD dst_unused:UNUSED_PAD src0_sel:DWORD src1_sel:BYTE_1
	v_lshlrev_b32_e32 v14, 4, v7
	v_lshlrev_b32_e32 v77, 25, v7
	;; [unrolled: 1-line block ×3, first 2 shown]
	v_and_b32_e32 v180, 0x1f00, v87
	v_lshlrev_b16 v87, 8, v87
	v_and_b32_e32 v14, 16, v14
	v_and_b32_e32 v76, 0x100000, v76
	v_and_b32_e32 v77, 0x10000000, v77
	v_add_nc_u16 v10, 0xf000, v180
	v_add_nc_u16 v11, 0xf000, v87
	v_and_b32_e32 v78, 0x1000, v78
	v_add_nc_u16 v13, 0xf000, v13
	v_or3_b32 v76, v79, v76, v77
	v_lshrrev_b32_e32 v6, 4, v6
	v_perm_b32 v10, v11, v10, 0xc0c0105
	v_and_b32_e32 v11, 0x1f00, v12
	v_lshlrev_b16 v12, 8, v12
	v_or3_b32 v14, v14, v79, v78
	v_lshrrev_b32_e32 v77, 12, v7
	v_lshrrev_b32_e32 v78, 5, v7
	v_add_nc_u16 v11, 0xf000, v11
	v_add_nc_u16 v12, 0xf000, v12
	v_lshlrev_b32_e32 v79, 2, v7
	v_lshlrev_b32_e32 v7, 9, v7
	v_and_b32_e32 v6, 0xf0f0f0f, v6
	v_and_b32_e32 v77, 16, v77
	v_perm_b32 v11, v12, v11, 0xc0c0105
	v_and_b32_e32 v12, 0xffff, v13
	v_lshrrev_b32_e32 v13, 16, v76
	v_and_b32_e32 v76, 0x1f00, v14
	v_lshlrev_b16 v14, 8, v14
	v_and_b32_e32 v78, 0x1000, v78
	v_and_b32_e32 v79, 0x100000, v79
	;; [unrolled: 1-line block ×3, first 2 shown]
	v_add_nc_u16 v76, 0xf000, v76
	v_add_nc_u16 v14, 0xf000, v14
	v_or3_b32 v77, v77, v6, v78
	v_lshl_or_b32 v11, v11, 16, v12
	v_or3_b32 v6, v6, v79, v7
	v_and_b32_e32 v169, 0x1f00, v85
	v_perm_b32 v12, v14, v76, 0xc0c0105
	v_lshlrev_b16 v14, 8, v77
	v_lshlrev_b16 v85, 8, v85
	v_and_b32_e32 v7, 0x1f00, v13
	v_lshlrev_b16 v13, 8, v13
	v_lshrrev_b32_e32 v6, 16, v6
	v_and_b32_e32 v76, 0x1f00, v77
	v_add_nc_u16 v14, 0xf000, v14
	v_add_nc_u16 v169, 0xf000, v169
	;; [unrolled: 1-line block ×5, first 2 shown]
	v_and_b32_e32 v77, 0x1f00, v6
	v_ashrrev_i32_e32 v5, v105, v5
	v_lshlrev_b16 v6, 8, v6
	v_or_b32_sdwa v14, v76, v14 dst_sel:DWORD dst_unused:UNUSED_PAD src0_sel:DWORD src1_sel:BYTE_1
	v_perm_b32 v85, v85, v169, 0xc0c0105
	v_perm_b32 v7, v13, v7, 0xc0c0105
	v_add_nc_u16 v13, 0xf000, v77
	v_lshlrev_b32_e32 v76, 4, v5
	v_add_nc_u16 v6, 0xf000, v6
	v_add_nc_u16 v14, 0xf000, v14
	v_lshlrev_b32_e32 v77, 11, v5
	v_lshlrev_b32_e32 v79, 18, v5
	v_lshlrev_b32_e32 v80, 25, v5
	v_lshl_or_b32 v10, v10, 16, v85
	s_waitcnt vmcnt(16)
	v_and_b32_e32 v78, 0xf0f0f0f, v4
	v_and_b32_e32 v76, 16, v76
	;; [unrolled: 1-line block ×3, first 2 shown]
	v_perm_b32 v6, v6, v13, 0xc0c0105
	v_and_b32_e32 v13, 0xffff, v14
	v_and_b32_e32 v14, 0x100000, v79
	;; [unrolled: 1-line block ×3, first 2 shown]
	v_or3_b32 v76, v76, v78, v77
	ds_write2_b32 v29, v10, v11 offset1:1
	v_lshl_or_b32 v7, v7, 16, v12
	v_lshl_or_b32 v6, v6, 16, v13
	v_or3_b32 v10, v78, v14, v79
	v_lshrrev_b32_e32 v4, 4, v4
	v_lshlrev_b32_e32 v12, 2, v5
	v_lshlrev_b32_e32 v13, 9, v5
	v_and_b32_e32 v11, 0x1f00, v76
	v_lshrrev_b32_e32 v10, 16, v10
	v_and_b32_e32 v4, 0xf0f0f0f, v4
	v_and_b32_e32 v12, 0x100000, v12
	;; [unrolled: 1-line block ×3, first 2 shown]
	v_lshlrev_b16 v14, 8, v76
	v_lshrrev_b32_e32 v76, 12, v5
	v_lshrrev_b32_e32 v5, 5, v5
	v_add_nc_u16 v11, 0xf000, v11
	v_and_b32_e32 v77, 0x1f00, v10
	v_or3_b32 v12, v4, v12, v13
	v_lshlrev_b16 v10, 8, v10
	v_and_b32_e32 v13, 16, v76
	v_and_b32_e32 v5, 0x1000, v5
	v_add_nc_u16 v14, 0xf000, v14
	v_add_nc_u16 v76, 0xf000, v77
	;; [unrolled: 1-line block ×3, first 2 shown]
	ds_write2_b32 v30, v7, v6 offset1:1
	v_or3_b32 v4, v13, v4, v5
	v_perm_b32 v6, v14, v11, 0xc0c0105
	s_waitcnt vmcnt(8)
	v_ashrrev_i32_e32 v11, v105, v18
	v_perm_b32 v7, v10, v76, 0xc0c0105
	v_and_b32_e32 v77, 0xf0f0f0f, v95
	v_lshlrev_b16 v10, 8, v4
	v_and_b32_e32 v4, 0x1f00, v4
	v_lshlrev_b32_e32 v13, 4, v11
	v_lshlrev_b32_e32 v14, 18, v11
	;; [unrolled: 1-line block ×4, first 2 shown]
	v_add_nc_u16 v10, 0xf000, v10
	v_and_b32_e32 v13, 16, v13
	v_and_b32_e32 v14, 0x100000, v14
	;; [unrolled: 1-line block ×4, first 2 shown]
	v_lshrrev_b32_e32 v12, 16, v12
	v_or_b32_sdwa v4, v4, v10 dst_sel:DWORD dst_unused:UNUSED_PAD src0_sel:DWORD src1_sel:BYTE_1
	v_lshl_or_b32 v78, v7, 16, v6
	v_or3_b32 v6, v77, v14, v18
	v_or3_b32 v7, v13, v77, v76
	v_lshrrev_b32_e32 v10, 4, v95
	v_lshlrev_b32_e32 v13, 2, v11
	v_lshlrev_b32_e32 v14, 9, v11
	v_lshrrev_b32_e32 v18, 12, v11
	v_lshrrev_b32_e32 v11, 5, v11
	v_and_b32_e32 v5, 0x1f00, v12
	v_lshlrev_b16 v12, 8, v12
	v_and_b32_e32 v10, 0xf0f0f0f, v10
	v_and_b32_e32 v13, 0x100000, v13
	;; [unrolled: 1-line block ×5, first 2 shown]
	v_add_nc_u16 v5, 0xf000, v5
	v_add_nc_u16 v12, 0xf000, v12
	v_or3_b32 v13, v10, v13, v14
	v_lshrrev_b32_e32 v6, 16, v6
	v_or3_b32 v10, v18, v10, v11
	v_ashrrev_i32_e32 v18, v105, v20
	v_perm_b32 v5, v12, v5, 0xc0c0105
	v_and_b32_e32 v12, 0x1f00, v7
	v_lshlrev_b16 v7, 8, v7
	v_lshrrev_b32_e32 v11, 16, v13
	v_lshlrev_b16 v13, 8, v10
	v_and_b32_e32 v14, 0x1f00, v6
	v_add_nc_u16 v12, 0xf000, v12
	v_add_nc_u16 v7, 0xf000, v7
	v_and_b32_e32 v10, 0x1f00, v10
	v_add_nc_u16 v13, 0xf000, v13
	v_lshlrev_b16 v6, 8, v6
	v_lshlrev_b32_e32 v77, 18, v18
	v_perm_b32 v7, v7, v12, 0xc0c0105
	v_add_nc_u16 v12, 0xf000, v14
	v_and_b32_e32 v14, 0x1f00, v11
	v_lshlrev_b16 v11, 8, v11
	v_or_b32_sdwa v10, v10, v13 dst_sel:DWORD dst_unused:UNUSED_PAD src0_sel:DWORD src1_sel:BYTE_1
	v_lshlrev_b32_e32 v79, 25, v18
	v_add_nc_u16 v4, 0xf000, v4
	v_add_nc_u16 v14, 0xf000, v14
	v_lshlrev_b32_e32 v20, 4, v18
	v_lshlrev_b32_e32 v13, 11, v18
	v_add_nc_u16 v11, 0xf000, v11
	v_add_nc_u16 v10, 0xf000, v10
	;; [unrolled: 1-line block ×3, first 2 shown]
	v_and_b32_e32 v76, 0xf0f0f0f, v96
	v_and_b32_e32 v77, 0x100000, v77
	;; [unrolled: 1-line block ×6, first 2 shown]
	v_perm_b32 v11, v11, v14, 0xc0c0105
	v_and_b32_e32 v10, 0xffff, v10
	v_perm_b32 v6, v6, v12, 0xc0c0105
	v_or3_b32 v12, v76, v77, v79
	v_or3_b32 v13, v20, v76, v13
	v_lshl_or_b32 v20, v5, 16, v4
	v_lshl_or_b32 v77, v11, 16, v10
	v_lshrrev_b32_e32 v4, 4, v96
	v_lshlrev_b32_e32 v5, 2, v18
	v_lshlrev_b32_e32 v10, 9, v18
	v_lshl_or_b32 v76, v6, 16, v7
	v_lshrrev_b32_e32 v6, 16, v12
	v_lshrrev_b32_e32 v11, 12, v18
	;; [unrolled: 1-line block ×3, first 2 shown]
	v_and_b32_e32 v14, 0x1f00, v13
	v_lshlrev_b16 v7, 8, v13
	v_and_b32_e32 v13, 0xf0f0f0f, v4
	v_and_b32_e32 v18, 0x100000, v5
	;; [unrolled: 1-line block ×3, first 2 shown]
	v_mad_u64_u32 v[4:5], null, v123, 22, s[0:1]
	v_and_b32_e32 v11, 16, v11
	v_and_b32_e32 v12, 0x1000, v12
	v_or3_b32 v10, v13, v18, v10
	v_add_nc_u16 v18, 0xf000, v7
	v_and_b32_e32 v79, 0x1f00, v6
	v_lshlrev_b16 v80, 8, v6
	v_or3_b32 v81, v11, v13, v12
	v_mad_i64_i32 v[6:7], null, v124, 22, v[4:5]
	v_mad_i64_i32 v[12:13], null, v126, 22, v[4:5]
	v_lshrrev_b32_e32 v82, 16, v10
	v_mad_i64_i32 v[10:11], null, v125, 22, v[4:5]
	v_mad_i64_i32 v[4:5], null, v127, 22, v[4:5]
	s_clause 0x3
	global_load_ushort v6, v[6:7], off
	global_load_ushort v7, v[10:11], off
	;; [unrolled: 1-line block ×4, first 2 shown]
	v_lshlrev_b16 v83, 8, v81
	v_and_b32_e32 v81, 0x1f00, v81
	v_add_nc_u16 v14, 0xf000, v14
	v_and_b32_e32 v84, 0x1f00, v82
	v_add_nc_u16 v5, 0xf000, v79
	v_add_nc_u16 v10, 0xf000, v83
	v_lshlrev_b16 v12, 8, v82
	v_add_nc_u16 v13, 0xf000, v80
	v_ashrrev_i32_e32 v17, v105, v17
	v_add_nc_u16 v79, 0xf000, v84
	v_or_b32_sdwa v10, v81, v10 dst_sel:DWORD dst_unused:UNUSED_PAD src0_sel:DWORD src1_sel:BYTE_1
	v_add_nc_u16 v12, 0xf000, v12
	v_perm_b32 v14, v18, v14, 0xc0c0105
	v_perm_b32 v5, v13, v5, 0xc0c0105
	v_lshlrev_b32_e32 v13, 4, v17
	v_add_nc_u16 v10, 0xf000, v10
	v_lshlrev_b32_e32 v18, 11, v17
	v_perm_b32 v12, v12, v79, 0xc0c0105
	v_and_b32_e32 v79, 0xf0f0f0f, v16
	v_and_b32_e32 v13, 16, v13
	;; [unrolled: 1-line block ×3, first 2 shown]
	v_lshlrev_b32_e32 v80, 18, v17
	v_lshlrev_b32_e32 v81, 25, v17
	v_and_b32_e32 v18, 0x1000, v18
	v_lshl_or_b32 v5, v5, 16, v14
	v_lshl_or_b32 v10, v12, 16, v10
	v_and_b32_e32 v12, 0x100000, v80
	v_and_b32_e32 v14, 0x10000000, v81
	v_or3_b32 v13, v13, v79, v18
	ds_write2_b32 v31, v78, v20 offset1:1
	ds_write2_b32 v32, v76, v77 offset1:1
	;; [unrolled: 1-line block ×3, first 2 shown]
	v_lshrrev_b32_e32 v18, 12, v17
	v_ashrrev_i32_e32 v3, v105, v3
	v_or3_b32 v5, v79, v12, v14
	v_and_b32_e32 v10, 0x1f00, v13
	v_lshlrev_b16 v12, 8, v13
	v_lshrrev_b32_e32 v13, 4, v16
	v_lshlrev_b32_e32 v14, 2, v17
	v_lshlrev_b32_e32 v16, 9, v17
	v_lshrrev_b32_e32 v17, 5, v17
	v_and_b32_e32 v18, 16, v18
	v_and_b32_e32 v13, 0xf0f0f0f, v13
	;; [unrolled: 1-line block ×5, first 2 shown]
	v_lshrrev_b32_e32 v5, 16, v5
	v_add_nc_u16 v10, 0xf000, v10
	v_add_nc_u16 v12, 0xf000, v12
	v_or3_b32 v14, v13, v14, v16
	v_or3_b32 v13, v18, v13, v17
	v_and_b32_e32 v16, 0x1f00, v5
	v_lshlrev_b16 v5, 8, v5
	v_perm_b32 v10, v12, v10, 0xc0c0105
	v_lshrrev_b32_e32 v14, 16, v14
	v_lshlrev_b16 v12, 8, v13
	v_add_nc_u16 v16, 0xf000, v16
	v_add_nc_u16 v5, 0xf000, v5
	v_and_b32_e32 v13, 0x1f00, v13
	v_and_b32_e32 v17, 0x1f00, v14
	v_add_nc_u16 v12, 0xf000, v12
	v_lshlrev_b32_e32 v18, 25, v3
	v_perm_b32 v5, v5, v16, 0xc0c0105
	v_lshlrev_b32_e32 v20, 11, v3
	v_add_nc_u16 v16, 0xf000, v17
	v_or_b32_sdwa v12, v13, v12 dst_sel:DWORD dst_unused:UNUSED_PAD src0_sel:DWORD src1_sel:BYTE_1
	v_lshlrev_b32_e32 v13, 4, v3
	v_lshlrev_b32_e32 v17, 18, v3
	v_lshlrev_b16 v14, 8, v14
	v_and_b32_e32 v76, 0xf0f0f0f, v2
	v_and_b32_e32 v18, 0x10000000, v18
	;; [unrolled: 1-line block ×5, first 2 shown]
	v_add_nc_u16 v14, 0xf000, v14
	v_lshl_or_b32 v5, v5, 16, v10
	v_lshrrev_b32_e32 v2, 4, v2
	v_or3_b32 v10, v76, v17, v18
	v_or3_b32 v13, v13, v76, v20
	v_lshlrev_b32_e32 v17, 2, v3
	v_lshlrev_b32_e32 v18, 9, v3
	v_lshrrev_b32_e32 v20, 12, v3
	v_lshrrev_b32_e32 v3, 5, v3
	v_perm_b32 v14, v14, v16, 0xc0c0105
	v_and_b32_e32 v16, 0x1f00, v13
	v_and_b32_e32 v2, 0xf0f0f0f, v2
	;; [unrolled: 1-line block ×4, first 2 shown]
	v_lshlrev_b16 v13, 8, v13
	v_and_b32_e32 v20, 16, v20
	v_and_b32_e32 v3, 0x1000, v3
	v_add_nc_u16 v12, 0xf000, v12
	v_lshrrev_b32_e32 v10, 16, v10
	v_add_nc_u16 v16, 0xf000, v16
	v_or3_b32 v17, v2, v17, v18
	v_add_nc_u16 v13, 0xf000, v13
	v_or3_b32 v2, v20, v2, v3
	v_and_b32_e32 v12, 0xffff, v12
	v_and_b32_e32 v18, 0x1f00, v10
	v_lshlrev_b16 v10, 8, v10
	v_perm_b32 v13, v13, v16, 0xc0c0105
	v_lshlrev_b16 v16, 8, v2
	v_lshl_or_b32 v3, v14, 16, v12
	v_lshrrev_b32_e32 v12, 16, v17
	v_add_nc_u16 v14, 0xf000, v18
	v_and_b32_e32 v2, 0x1f00, v2
	v_add_nc_u16 v16, 0xf000, v16
	s_waitcnt vmcnt(4)
	v_ashrrev_i32_e32 v18, v105, v75
	v_and_b32_e32 v17, 0x1f00, v12
	v_lshlrev_b16 v12, 8, v12
	v_add_nc_u16 v10, 0xf000, v10
	v_or_b32_sdwa v2, v2, v16 dst_sel:DWORD dst_unused:UNUSED_PAD src0_sel:DWORD src1_sel:BYTE_1
	v_lshlrev_b32_e32 v16, 4, v18
	v_lshlrev_b32_e32 v20, 11, v18
	;; [unrolled: 1-line block ×4, first 2 shown]
	v_add_nc_u16 v17, 0xf000, v17
	v_add_nc_u16 v12, 0xf000, v12
	v_and_b32_e32 v75, 0xf0f0f0f, v15
	v_and_b32_e32 v16, 16, v16
	;; [unrolled: 1-line block ×3, first 2 shown]
	v_add_nc_u16 v2, 0xf000, v2
	v_and_b32_e32 v76, 0x100000, v76
	v_and_b32_e32 v77, 0x10000000, v77
	v_perm_b32 v10, v10, v14, 0xc0c0105
	v_or3_b32 v14, v16, v75, v20
	v_perm_b32 v12, v12, v17, 0xc0c0105
	v_and_b32_e32 v2, 0xffff, v2
	v_or3_b32 v16, v75, v76, v77
	ds_write2_b32 v34, v5, v3 offset1:1
	v_and_b32_e32 v3, 0x1f00, v14
	v_lshl_or_b32 v5, v10, 16, v13
	v_lshl_or_b32 v2, v12, 16, v2
	v_lshrrev_b32_e32 v10, 16, v16
	v_lshrrev_b32_e32 v12, 4, v15
	v_lshlrev_b16 v13, 8, v14
	v_lshlrev_b32_e32 v14, 2, v18
	v_lshlrev_b32_e32 v15, 9, v18
	v_lshrrev_b32_e32 v16, 12, v18
	v_lshrrev_b32_e32 v17, 5, v18
	v_and_b32_e32 v12, 0xf0f0f0f, v12
	v_and_b32_e32 v14, 0x100000, v14
	;; [unrolled: 1-line block ×5, first 2 shown]
	v_add_nc_u16 v3, 0xf000, v3
	v_and_b32_e32 v18, 0x1f00, v10
	v_lshlrev_b16 v10, 8, v10
	v_or3_b32 v14, v12, v14, v15
	v_add_nc_u16 v13, 0xf000, v13
	v_or3_b32 v12, v16, v12, v17
	v_add_nc_u16 v15, 0xf000, v18
	v_add_nc_u16 v10, 0xf000, v10
	v_lshrrev_b32_e32 v14, 16, v14
	ds_write2_b32 v35, v5, v2 offset1:1
	v_perm_b32 v2, v13, v3, 0xc0c0105
	v_lshlrev_b16 v3, 8, v12
	v_perm_b32 v5, v10, v15, 0xc0c0105
	v_and_b32_e32 v10, 0x1f00, v14
	v_ashrrev_i32_e32 v13, v105, v74
	v_and_b32_e32 v12, 0x1f00, v12
	v_add_nc_u16 v3, 0xf000, v3
	v_lshl_or_b32 v2, v5, 16, v2
	v_add_nc_u16 v5, 0xf000, v10
	v_lshlrev_b32_e32 v10, 4, v13
	v_lshlrev_b16 v14, 8, v14
	v_or_b32_sdwa v3, v12, v3 dst_sel:DWORD dst_unused:UNUSED_PAD src0_sel:DWORD src1_sel:BYTE_1
	v_lshlrev_b32_e32 v12, 11, v13
	v_lshlrev_b32_e32 v16, 18, v13
	;; [unrolled: 1-line block ×3, first 2 shown]
	v_and_b32_e32 v15, 0xf0f0f0f, v19
	v_and_b32_e32 v10, 16, v10
	;; [unrolled: 1-line block ×3, first 2 shown]
	v_add_nc_u16 v14, 0xf000, v14
	v_and_b32_e32 v16, 0x100000, v16
	v_and_b32_e32 v17, 0x10000000, v17
	v_add_nc_u16 v3, 0xf000, v3
	v_or3_b32 v10, v10, v15, v12
	v_perm_b32 v5, v14, v5, 0xc0c0105
	v_lshrrev_b32_e32 v12, 4, v19
	v_or3_b32 v14, v15, v16, v17
	v_lshrrev_b32_e32 v16, 12, v13
	v_lshrrev_b32_e32 v17, 5, v13
	v_lshlrev_b32_e32 v18, 2, v13
	v_and_b32_e32 v12, 0xf0f0f0f, v12
	v_lshlrev_b32_e32 v13, 9, v13
	v_and_b32_e32 v16, 16, v16
	v_and_b32_e32 v17, 0x1000, v17
	;; [unrolled: 1-line block ×4, first 2 shown]
	v_lshlrev_b16 v10, 8, v10
	v_and_b32_e32 v18, 0x100000, v18
	v_and_b32_e32 v13, 0x10000000, v13
	v_or3_b32 v16, v16, v12, v17
	v_add_nc_u16 v15, 0xf000, v15
	v_add_nc_u16 v10, 0xf000, v10
	v_lshrrev_b32_e32 v14, 16, v14
	v_or3_b32 v12, v12, v18, v13
	v_lshl_or_b32 v3, v5, 16, v3
	v_lshlrev_b16 v5, 8, v16
	v_perm_b32 v10, v10, v15, 0xc0c0105
	v_and_b32_e32 v13, 0x1f00, v14
	v_lshrrev_b32_e32 v12, 16, v12
	v_and_b32_e32 v15, 0x1f00, v16
	v_add_nc_u16 v5, 0xf000, v5
	v_lshlrev_b16 v14, 8, v14
	v_add_nc_u16 v13, 0xf000, v13
	v_and_b32_e32 v16, 0x1f00, v12
	v_lshlrev_b16 v12, 8, v12
	v_or_b32_sdwa v5, v15, v5 dst_sel:DWORD dst_unused:UNUSED_PAD src0_sel:DWORD src1_sel:BYTE_1
	v_add_nc_u16 v14, 0xf000, v14
	v_ashrrev_i32_e32 v15, v105, v73
	v_add_nc_u16 v16, 0xf000, v16
	v_add_nc_u16 v12, 0xf000, v12
	;; [unrolled: 1-line block ×3, first 2 shown]
	v_perm_b32 v13, v14, v13, 0xc0c0105
	v_lshlrev_b32_e32 v14, 4, v15
	v_lshlrev_b32_e32 v17, 11, v15
	v_perm_b32 v12, v12, v16, 0xc0c0105
	v_and_b32_e32 v5, 0xffff, v5
	v_and_b32_e32 v16, 0xf0f0f0f, v21
	;; [unrolled: 1-line block ×4, first 2 shown]
	v_lshlrev_b32_e32 v18, 25, v15
	v_lshl_or_b32 v10, v13, 16, v10
	v_lshlrev_b32_e32 v13, 18, v15
	v_lshl_or_b32 v5, v12, 16, v5
	v_or3_b32 v12, v14, v16, v17
	v_lshrrev_b32_e32 v14, 4, v21
	v_and_b32_e32 v17, 0x10000000, v18
	v_lshlrev_b32_e32 v18, 2, v15
	v_lshlrev_b32_e32 v19, 9, v15
	v_and_b32_e32 v13, 0x100000, v13
	v_and_b32_e32 v14, 0xf0f0f0f, v14
	v_lshrrev_b32_e32 v20, 12, v15
	v_lshrrev_b32_e32 v15, 5, v15
	v_and_b32_e32 v18, 0x100000, v18
	v_and_b32_e32 v19, 0x10000000, v19
	v_or3_b32 v13, v16, v13, v17
	v_and_b32_e32 v16, 16, v20
	v_and_b32_e32 v15, 0x1000, v15
	;; [unrolled: 1-line block ×3, first 2 shown]
	v_or3_b32 v18, v14, v18, v19
	v_lshrrev_b32_e32 v13, 16, v13
	v_lshlrev_b16 v12, 8, v12
	v_or3_b32 v14, v16, v14, v15
	v_add_nc_u16 v15, 0xf000, v17
	v_lshrrev_b32_e32 v16, 16, v18
	v_and_b32_e32 v17, 0x1f00, v13
	v_lshlrev_b16 v13, 8, v13
	v_lshlrev_b16 v18, 8, v14
	v_add_nc_u16 v12, 0xf000, v12
	v_and_b32_e32 v19, 0x1f00, v16
	v_lshlrev_b16 v16, 8, v16
	v_and_b32_e32 v14, 0x1f00, v14
	v_add_nc_u16 v18, 0xf000, v18
	v_add_nc_u16 v17, 0xf000, v17
	;; [unrolled: 1-line block ×5, first 2 shown]
	v_ashrrev_i32_e32 v9, v105, v9
	v_or_b32_sdwa v14, v14, v18 dst_sel:DWORD dst_unused:UNUSED_PAD src0_sel:DWORD src1_sel:BYTE_1
	v_perm_b32 v12, v12, v15, 0xc0c0105
	v_perm_b32 v13, v13, v17, 0xc0c0105
	;; [unrolled: 1-line block ×3, first 2 shown]
	v_lshlrev_b32_e32 v16, 4, v9
	v_lshlrev_b32_e32 v17, 11, v9
	v_and_b32_e32 v18, 0xf0f0f0f, v8
	v_lshlrev_b32_e32 v19, 18, v9
	v_lshlrev_b32_e32 v20, 25, v9
	v_lshrrev_b32_e32 v8, 4, v8
	v_lshrrev_b32_e32 v21, 12, v9
	;; [unrolled: 1-line block ×3, first 2 shown]
	v_and_b32_e32 v16, 16, v16
	v_and_b32_e32 v17, 0x1000, v17
	;; [unrolled: 1-line block ×5, first 2 shown]
	v_lshlrev_b32_e32 v74, 2, v9
	v_lshlrev_b32_e32 v9, 9, v9
	v_and_b32_e32 v21, 16, v21
	v_and_b32_e32 v73, 0x1000, v73
	v_or3_b32 v16, v16, v18, v17
	v_and_b32_e32 v17, 0x100000, v74
	v_and_b32_e32 v9, 0x10000000, v9
	v_or3_b32 v18, v18, v19, v20
	v_or3_b32 v19, v21, v8, v73
	v_and_b32_e32 v20, 0x1f00, v16
	v_lshlrev_b16 v16, 8, v16
	v_or3_b32 v8, v8, v17, v9
	v_lshrrev_b32_e32 v9, 16, v18
	v_lshlrev_b16 v17, 8, v19
	v_and_b32_e32 v19, 0x1f00, v19
	v_add_nc_u16 v18, 0xf000, v20
	v_lshrrev_b32_e32 v8, 16, v8
	v_and_b32_e32 v20, 0x1f00, v9
	v_add_nc_u16 v17, 0xf000, v17
	v_lshlrev_b16 v9, 8, v9
	v_add_nc_u16 v16, 0xf000, v16
	v_and_b32_e32 v21, 0x1f00, v8
	v_lshlrev_b16 v8, 8, v8
	v_or_b32_sdwa v17, v19, v17 dst_sel:DWORD dst_unused:UNUSED_PAD src0_sel:DWORD src1_sel:BYTE_1
	v_add_nc_u16 v19, 0xf000, v20
	v_add_nc_u16 v9, 0xf000, v9
	;; [unrolled: 1-line block ×6, first 2 shown]
	v_perm_b32 v16, v16, v18, 0xc0c0105
	v_perm_b32 v9, v9, v19, 0xc0c0105
	;; [unrolled: 1-line block ×3, first 2 shown]
	v_and_b32_e32 v17, 0xffff, v17
	v_and_b32_e32 v14, 0xffff, v14
	ds_write2_b32 v36, v2, v3 offset1:1
	v_lshl_or_b32 v2, v9, 16, v16
	v_lshl_or_b32 v12, v13, 16, v12
	;; [unrolled: 1-line block ×4, first 2 shown]
	ds_write2_b32 v37, v10, v5 offset1:1
	ds_write2_b32 v38, v12, v13 offset1:1
	s_waitcnt vmcnt(3)
	v_cvt_f32_f16_e32 v5, v6
	ds_write2_b32 v39, v2, v3 offset1:1
	s_waitcnt vmcnt(1)
	v_cvt_f32_f16_e32 v2, v11
	v_cvt_f32_f16_e32 v6, v7
	s_waitcnt vmcnt(0)
	v_cvt_f32_f16_e32 v3, v4
	ds_write_b32 v152, v5
	ds_write_b32 v153, v6
	ds_write_b32 v154, v2
	ds_write_b32 v155, v3
	s_cbranch_scc0 .LBB142_5
; %bb.7:                                ;   in Loop: Header=BB142_6 Depth=1
	v_add_nc_u32_e32 v14, s11, v117
	v_add_nc_u32_e32 v163, s11, v40
	;; [unrolled: 1-line block ×3, first 2 shown]
	v_mov_b32_e32 v165, v146
	v_mov_b32_e32 v166, v139
	v_add_nc_u32_e32 v2, v14, v130
	v_add_nc_u32_e32 v4, v14, v132
	;; [unrolled: 1-line block ×5, first 2 shown]
	v_mad_u64_u32 v[12:13], null, v163, 36, s[2:3]
	v_mad_i64_i32 v[2:3], null, v2, 36, v[41:42]
	v_add_nc_u32_e32 v15, v14, v136
	v_mad_i64_i32 v[4:5], null, v4, 36, v[41:42]
	v_add_nc_u32_e32 v16, v14, v137
	;; [unrolled: 2-line block ×3, first 2 shown]
	v_mad_i64_i32 v[8:9], null, v8, 36, v[41:42]
	v_mad_i64_i32 v[10:11], null, v10, 36, v[41:42]
	;; [unrolled: 1-line block ×5, first 2 shown]
	s_clause 0x8
	global_load_dword v12, v[12:13], off
	global_load_dword v2, v[2:3], off offset:4
	global_load_dword v3, v[4:5], off offset:4
	;; [unrolled: 1-line block ×8, first 2 shown]
	v_mov_b32_e32 v167, v145
	v_mov_b32_e32 v168, v144
	;; [unrolled: 1-line block ×5, first 2 shown]
	s_mov_b32 s0, -4
	s_waitcnt vmcnt(8)
	v_cvt_f32_f16_e32 v10, v12
	s_waitcnt vmcnt(7)
	ds_write_b32 v164, v2
	s_waitcnt vmcnt(6)
	ds_write_b32 v156, v3
	;; [unrolled: 2-line block ×8, first 2 shown]
	ds_write_b32 v129, v10
	s_waitcnt lgkmcnt(0)
	s_barrier
	buffer_gl0_inv
.LBB142_8:                              ;   Parent Loop BB142_6 Depth=1
                                        ; =>  This Inner Loop Header: Depth=2
	v_add_nc_u32_e32 v10, 0x2080, v166
	ds_read_b128 v[6:9], v165
	ds_read2_b32 v[79:80], v166 offset1:1
	ds_read_b128 v[2:5], v165 offset:16
	v_mov_b32_e32 v173, 0
	v_mov_b32_e32 v172, 0
	ds_read2_b32 v[75:76], v10 offset1:1
	v_add_nc_u32_e32 v10, 0x4100, v166
	v_mov_b32_e32 v174, 0
	v_mov_b32_e32 v175, 0
	;; [unrolled: 1-line block ×3, first 2 shown]
	ds_read2_b32 v[83:84], v166 offset0:2 offset1:3
	ds_read2_b32 v[81:82], v10 offset1:1
	v_add_nc_u32_e32 v10, 0x6180, v166
	v_mov_b32_e32 v177, 0
	v_mov_b32_e32 v178, 0
	ds_read2_b32 v[93:94], v166 offset0:4 offset1:5
	v_mov_b32_e32 v179, 0
	ds_read2_b32 v[85:86], v10 offset1:1
	v_mov_b32_e32 v180, 0
	v_mov_b32_e32 v181, 0
	v_mov_b32_e32 v198, 0
	s_waitcnt lgkmcnt(6)
	v_dot4c_i32_i8 v173, v79, v6
	v_mov_b32_e32 v199, 0
	s_add_i32 s0, s0, 4
	ds_read_b128 v[13:16], v165 offset:2048
	s_waitcnt lgkmcnt(5)
	v_dot4c_i32_i8 v172, v75, v6
	v_dot4c_i32_i8 v173, v80, v2
	s_cmp_lt_u32 s0, 12
	ds_read_b128 v[17:20], v165 offset:3072
	ds_read_b128 v[182:185], v165 offset:4096
	v_dot4c_i32_i8 v172, v76, v2
	s_waitcnt lgkmcnt(5)
	v_dot4c_i32_i8 v174, v81, v6
	v_dot4c_i32_i8 v173, v83, v7
	ds_read_b128 v[186:189], v165 offset:5136
	ds_read_b128 v[190:193], v165 offset:6160
	;; [unrolled: 1-line block ×3, first 2 shown]
	v_dot4c_i32_i8 v174, v82, v2
	s_waitcnt lgkmcnt(6)
	v_dot4c_i32_i8 v175, v85, v6
	v_dot4c_i32_i8 v173, v84, v3
	;; [unrolled: 1-line block ×3, first 2 shown]
	v_add_nc_u32_e32 v2, 0x2088, v166
	v_dot4c_i32_i8 v173, v93, v8
	s_waitcnt lgkmcnt(5)
	v_dot4c_i32_i8 v179, v85, v13
	ds_read2_b32 v[87:88], v2 offset1:1
	v_add_nc_u32_e32 v2, 0x4108, v166
	v_dot4c_i32_i8 v173, v94, v4
	s_waitcnt lgkmcnt(5)
	v_dot4c_i32_i8 v180, v85, v17
	s_waitcnt lgkmcnt(4)
	v_dot4c_i32_i8 v181, v81, v182
	ds_read2_b32 v[91:92], v2 offset1:1
	v_add_nc_u32_e32 v2, 0x6188, v166
	ds_read2_b32 v[95:96], v2 offset1:1
	v_add_nc_u32_e32 v2, 0x2090, v166
	;; [unrolled: 2-line block ×3, first 2 shown]
	s_waitcnt lgkmcnt(3)
	v_dot4c_i32_i8 v172, v87, v7
	ds_read2_b32 v[99:100], v2 offset1:1
	v_add_nc_u32_e32 v2, 0x6190, v166
	s_waitcnt lgkmcnt(3)
	v_dot4c_i32_i8 v174, v91, v7
	v_dot4c_i32_i8 v172, v88, v3
	ds_read2_b32 v[101:102], v2 offset1:1
	v_dot4c_i32_i8 v174, v92, v3
	s_waitcnt lgkmcnt(3)
	v_dot4c_i32_i8 v175, v95, v7
	v_dot4c_i32_i8 v175, v96, v3
	s_waitcnt lgkmcnt(2)
	v_dot4c_i32_i8 v172, v97, v8
	ds_read2_b32 v[2:3], v166 offset0:6 offset1:7
	v_dot4c_i32_i8 v172, v98, v4
	s_waitcnt lgkmcnt(2)
	v_dot4c_i32_i8 v174, v99, v8
	v_dot4c_i32_i8 v174, v100, v4
	s_waitcnt lgkmcnt(1)
	v_dot4c_i32_i8 v175, v101, v8
	v_dot4c_i32_i8 v175, v102, v4
	v_add_nc_u32_e32 v4, 0x2098, v166
	ds_read2_b32 v[73:74], v4 offset1:1
	v_add_nc_u32_e32 v4, 0x4118, v166
	s_waitcnt lgkmcnt(1)
	v_dot4c_i32_i8 v173, v2, v9
	ds_read2_b32 v[77:78], v4 offset1:1
	v_add_nc_u32_e32 v4, 0x6198, v166
	v_dot4c_i32_i8 v173, v3, v5
	v_add_nc_u32_e32 v166, 32, v166
	ds_read2_b32 v[89:90], v4 offset1:1
	v_mov_b32_e32 v4, 0
	s_waitcnt lgkmcnt(2)
	v_dot4c_i32_i8 v172, v73, v9
	v_dot4c_i32_i8 v172, v74, v5
	s_waitcnt lgkmcnt(1)
	v_dot4c_i32_i8 v174, v77, v9
	v_dot4c_i32_i8 v174, v78, v5
	s_waitcnt lgkmcnt(0)
	v_dot4c_i32_i8 v175, v89, v9
	ds_read_b128 v[9:12], v165 offset:1024
	v_dot4c_i32_i8 v175, v90, v5
	s_waitcnt lgkmcnt(0)
	v_dot4c_i32_i8 v4, v79, v9
	v_dot4c_i32_i8 v176, v75, v9
	;; [unrolled: 1-line block ×4, first 2 shown]
	ds_read_b128 v[6:9], v165 offset:1040
	s_waitcnt lgkmcnt(0)
	v_dot4c_i32_i8 v4, v80, v6
	v_dot4c_i32_i8 v176, v76, v6
	v_dot4c_i32_i8 v177, v82, v6
	v_dot4c_i32_i8 v178, v86, v6
	v_mov_b32_e32 v6, 0
	v_dot4c_i32_i8 v4, v83, v10
	v_dot4c_i32_i8 v176, v87, v10
	v_dot4c_i32_i8 v177, v91, v10
	v_dot4c_i32_i8 v178, v95, v10
	v_dot4c_i32_i8 v6, v79, v13
	v_dot4c_i32_i8 v4, v84, v7
	v_dot4c_i32_i8 v176, v88, v7
	v_dot4c_i32_i8 v177, v92, v7
	v_dot4c_i32_i8 v178, v96, v7
	v_mov_b32_e32 v7, 0
	v_dot4c_i32_i8 v4, v93, v11
	v_dot4c_i32_i8 v176, v97, v11
	v_dot4c_i32_i8 v177, v99, v11
	v_dot4c_i32_i8 v178, v101, v11
	v_dot4c_i32_i8 v7, v75, v13
	v_dot4c_i32_i8 v4, v94, v8
	v_dot4c_i32_i8 v176, v98, v8
	v_dot4c_i32_i8 v177, v100, v8
	v_dot4c_i32_i8 v178, v102, v8
	v_mov_b32_e32 v8, 0
	v_dot4c_i32_i8 v4, v2, v12
	v_dot4c_i32_i8 v176, v73, v12
	v_dot4c_i32_i8 v177, v77, v12
	v_dot4c_i32_i8 v178, v89, v12
	v_dot4c_i32_i8 v8, v81, v13
	ds_read_b128 v[10:13], v165 offset:2064
	v_dot4c_i32_i8 v4, v3, v9
	v_dot4c_i32_i8 v176, v74, v9
	;; [unrolled: 1-line block ×4, first 2 shown]
	v_cvt_f32_i32_e32 v4, v4
	s_waitcnt lgkmcnt(0)
	v_dot4c_i32_i8 v6, v80, v10
	v_dot4c_i32_i8 v7, v76, v10
	v_dot4c_i32_i8 v8, v82, v10
	v_dot4c_i32_i8 v179, v86, v10
	v_mov_b32_e32 v10, 0
	v_dot4c_i32_i8 v6, v83, v14
	v_dot4c_i32_i8 v7, v87, v14
	v_dot4c_i32_i8 v8, v91, v14
	v_dot4c_i32_i8 v179, v95, v14
	v_dot4c_i32_i8 v10, v79, v17
	v_dot4c_i32_i8 v6, v84, v11
	v_dot4c_i32_i8 v7, v88, v11
	v_dot4c_i32_i8 v8, v92, v11
	v_dot4c_i32_i8 v179, v96, v11
	v_mov_b32_e32 v11, 0
	v_dot4c_i32_i8 v6, v93, v15
	v_dot4c_i32_i8 v7, v97, v15
	v_dot4c_i32_i8 v8, v99, v15
	v_dot4c_i32_i8 v179, v101, v15
	v_dot4c_i32_i8 v11, v75, v17
	;; [unrolled: 10-line block ×3, first 2 shown]
	ds_read_b128 v[14:17], v165 offset:3088
	v_dot4c_i32_i8 v6, v3, v13
	v_dot4c_i32_i8 v7, v74, v13
	;; [unrolled: 1-line block ×4, first 2 shown]
	s_waitcnt lgkmcnt(0)
	v_dot4c_i32_i8 v10, v80, v14
	v_dot4c_i32_i8 v11, v76, v14
	;; [unrolled: 1-line block ×4, first 2 shown]
	v_mov_b32_e32 v14, 0
	v_dot4c_i32_i8 v10, v83, v18
	v_dot4c_i32_i8 v11, v87, v18
	;; [unrolled: 1-line block ×9, first 2 shown]
	v_mov_b32_e32 v15, 0
	v_dot4c_i32_i8 v10, v93, v19
	v_dot4c_i32_i8 v11, v97, v19
	;; [unrolled: 1-line block ×9, first 2 shown]
	v_mov_b32_e32 v16, 0
	v_dot4c_i32_i8 v10, v2, v20
	v_dot4c_i32_i8 v11, v73, v20
	;; [unrolled: 1-line block ×4, first 2 shown]
	ds_read_b128 v[18:21], v165 offset:4112
	v_dot4c_i32_i8 v16, v79, v182
	v_dot4c_i32_i8 v10, v3, v17
	v_dot4c_i32_i8 v11, v74, v17
	v_dot4c_i32_i8 v12, v78, v17
	v_dot4c_i32_i8 v180, v90, v17
	s_waitcnt lgkmcnt(0)
	v_dot4c_i32_i8 v16, v80, v18
	v_dot4c_i32_i8 v14, v76, v18
	v_dot4c_i32_i8 v181, v82, v18
	v_dot4c_i32_i8 v15, v86, v18
	v_mov_b32_e32 v18, 0
	v_dot4c_i32_i8 v16, v83, v183
	v_dot4c_i32_i8 v14, v87, v183
	v_dot4c_i32_i8 v181, v91, v183
	v_dot4c_i32_i8 v15, v95, v183
	v_dot4c_i32_i8 v16, v84, v19
	v_dot4c_i32_i8 v14, v88, v19
	v_dot4c_i32_i8 v181, v92, v19
	v_dot4c_i32_i8 v15, v96, v19
	v_mov_b32_e32 v19, 0
	v_dot4c_i32_i8 v16, v93, v184
	v_dot4c_i32_i8 v14, v97, v184
	v_dot4c_i32_i8 v181, v99, v184
	v_dot4c_i32_i8 v15, v101, v184
	;; [unrolled: 9-line block ×3, first 2 shown]
	ds_read_b128 v[182:185], v165 offset:5120
	v_dot4c_i32_i8 v16, v3, v21
	v_dot4c_i32_i8 v14, v74, v21
	;; [unrolled: 1-line block ×4, first 2 shown]
	s_waitcnt lgkmcnt(0)
	v_dot4c_i32_i8 v18, v79, v182
	v_dot4c_i32_i8 v19, v75, v182
	v_dot4c_i32_i8 v20, v81, v182
	v_dot4c_i32_i8 v198, v85, v182
	v_dot4c_i32_i8 v18, v80, v186
	v_dot4c_i32_i8 v19, v76, v186
	v_dot4c_i32_i8 v20, v82, v186
	v_dot4c_i32_i8 v198, v86, v186
	v_mov_b32_e32 v186, 0
	v_dot4c_i32_i8 v18, v83, v183
	v_dot4c_i32_i8 v19, v87, v183
	v_dot4c_i32_i8 v20, v91, v183
	v_dot4c_i32_i8 v198, v95, v183
	v_dot4c_i32_i8 v18, v84, v187
	v_dot4c_i32_i8 v19, v88, v187
	v_dot4c_i32_i8 v20, v92, v187
	v_dot4c_i32_i8 v198, v96, v187
	v_mov_b32_e32 v187, 0
	;; [unrolled: 9-line block ×3, first 2 shown]
	v_dot4c_i32_i8 v18, v2, v185
	v_dot4c_i32_i8 v19, v73, v185
	;; [unrolled: 1-line block ×4, first 2 shown]
	ds_read_b128 v[182:185], v165 offset:6144
	v_dot4c_i32_i8 v18, v3, v189
	v_dot4c_i32_i8 v19, v74, v189
	;; [unrolled: 1-line block ×4, first 2 shown]
	s_waitcnt lgkmcnt(0)
	v_dot4c_i32_i8 v186, v79, v182
	v_dot4c_i32_i8 v187, v75, v182
	;; [unrolled: 1-line block ×8, first 2 shown]
	v_mov_b32_e32 v190, 0
	v_dot4c_i32_i8 v186, v83, v183
	v_dot4c_i32_i8 v187, v87, v183
	;; [unrolled: 1-line block ×20, first 2 shown]
	ds_read_b128 v[182:185], v165 offset:7168
	v_dot4c_i32_i8 v186, v3, v193
	v_dot4c_i32_i8 v187, v74, v193
	;; [unrolled: 1-line block ×4, first 2 shown]
	v_add_nc_u32_e32 v165, 32, v165
	s_waitcnt lgkmcnt(0)
	v_dot4c_i32_i8 v190, v79, v182
	v_mov_b32_e32 v79, 0
	v_dot4c_i32_i8 v190, v80, v194
	v_dot4c_i32_i8 v79, v75, v182
	v_mov_b32_e32 v75, 0
	v_dot4c_i32_i8 v190, v83, v183
	v_dot4c_i32_i8 v79, v76, v194
	v_dot4c_i32_i8 v75, v81, v182
	v_mov_b32_e32 v76, 0
	v_dot4c_i32_i8 v190, v84, v195
	v_dot4c_i32_i8 v79, v87, v183
	;; [unrolled: 1-line block ×17, first 2 shown]
	ds_read_b32 v5, v168
	ds_read_b32 v9, v169
	;; [unrolled: 1-line block ×4, first 2 shown]
	ds_read2_b32 v[2:3], v167 offset1:32
	v_dot4c_i32_i8 v75, v100, v196
	v_dot4c_i32_i8 v79, v73, v185
	;; [unrolled: 1-line block ×3, first 2 shown]
	v_add_nc_u32_e32 v171, 4, v171
	v_add_nc_u32_e32 v170, 4, v170
	v_dot4c_i32_i8 v75, v77, v185
	v_dot4c_i32_i8 v79, v74, v197
	;; [unrolled: 1-line block ×3, first 2 shown]
	v_add_nc_u32_e32 v169, 4, v169
	v_add_nc_u32_e32 v168, 4, v168
	v_dot4c_i32_i8 v75, v78, v197
	v_dot4c_i32_i8 v76, v89, v185
	;; [unrolled: 1-line block ×3, first 2 shown]
	s_waitcnt lgkmcnt(0)
	v_mul_f32_e32 v21, v5, v2
	v_mul_f32_e32 v73, v5, v3
	;; [unrolled: 1-line block ×8, first 2 shown]
	ds_read2_b32 v[2:3], v167 offset0:64 offset1:96
	v_fma_f32 v23, v73, v4, v23
	v_cvt_f32_i32_e32 v4, v173
	v_fmac_f32_e32 v22, v21, v4
	v_cvt_f32_i32_e32 v4, v10
	v_cvt_f32_i32_e32 v10, v199
	s_waitcnt lgkmcnt(0)
	v_mul_f32_e32 v83, v5, v2
	v_mul_f32_e32 v84, v5, v3
	;; [unrolled: 1-line block ×8, first 2 shown]
	ds_read2_b32 v[2:3], v167 offset0:128 offset1:160
	v_fma_f32 v58, v84, v4, v58
	v_cvt_f32_i32_e32 v4, v6
	v_cvt_f32_i32_e32 v6, v79
	v_fmac_f32_e32 v57, v83, v4
	v_cvt_f32_i32_e32 v4, v18
	s_waitcnt lgkmcnt(0)
	v_mul_f32_e32 v91, v5, v2
	v_mul_f32_e32 v92, v5, v3
	v_mul_f32_e32 v93, v9, v2
	v_mul_f32_e32 v94, v9, v3
	v_mul_f32_e32 v95, v13, v2
	v_mul_f32_e32 v96, v13, v3
	v_mul_f32_e32 v97, v17, v2
	v_mul_f32_e32 v98, v17, v3
	ds_read2_b32 v[2:3], v167 offset0:192 offset1:224
	v_fma_f32 v50, v92, v4, v50
	v_cvt_f32_i32_e32 v4, v16
	v_add_nc_u32_e32 v167, 4, v167
	v_fmac_f32_e32 v49, v91, v4
	v_cvt_f32_i32_e32 v4, v190
	s_waitcnt lgkmcnt(0)
	v_mul_f32_e32 v99, v5, v2
	v_mul_f32_e32 v5, v5, v3
	;; [unrolled: 1-line block ×6, first 2 shown]
	v_fma_f32 v44, v5, v4, v44
	v_cvt_f32_i32_e32 v4, v186
	v_mul_f32_e32 v2, v17, v2
	v_mul_f32_e32 v3, v17, v3
	v_cvt_f32_i32_e32 v5, v187
	v_fma_f32 v46, v9, v6, v46
	v_fmac_f32_e32 v43, v99, v4
	v_cvt_f32_i32_e32 v4, v176
	v_fmac_f32_e32 v51, v2, v10
	v_fmac_f32_e32 v45, v100, v5
	v_fma_f32 v68, v77, v4, v68
	v_cvt_f32_i32_e32 v4, v172
	v_fmac_f32_e32 v67, v74, v4
	v_cvt_f32_i32_e32 v4, v177
	v_fma_f32 v70, v80, v4, v70
	v_cvt_f32_i32_e32 v4, v174
	v_fmac_f32_e32 v69, v78, v4
	v_cvt_f32_i32_e32 v4, v178
	;; [unrolled: 4-line block ×3, first 2 shown]
	v_cvt_f32_i32_e32 v11, v76
	v_fma_f32 v62, v86, v4, v62
	v_cvt_f32_i32_e32 v4, v7
	v_cvt_f32_i32_e32 v7, v188
	v_fma_f32 v52, v3, v11, v52
	v_fmac_f32_e32 v61, v85, v4
	v_cvt_f32_i32_e32 v4, v12
	v_fmac_f32_e32 v47, v101, v7
	v_fma_f32 v64, v88, v4, v64
	v_cvt_f32_i32_e32 v4, v8
	v_cvt_f32_i32_e32 v8, v75
	v_fmac_f32_e32 v63, v87, v4
	v_cvt_f32_i32_e32 v4, v180
	v_fma_f32 v48, v13, v8, v48
	v_fma_f32 v66, v90, v4, v66
	v_cvt_f32_i32_e32 v4, v179
	v_fmac_f32_e32 v65, v89, v4
	v_cvt_f32_i32_e32 v4, v19
	v_fma_f32 v54, v94, v4, v54
	v_cvt_f32_i32_e32 v4, v14
	v_fmac_f32_e32 v53, v93, v4
	v_cvt_f32_i32_e32 v4, v20
	;; [unrolled: 4-line block ×3, first 2 shown]
	v_fma_f32 v60, v98, v4, v60
	v_cvt_f32_i32_e32 v4, v15
	v_fmac_f32_e32 v59, v97, v4
	s_cbranch_scc1 .LBB142_8
; %bb.9:                                ;   in Loop: Header=BB142_6 Depth=1
	s_and_b32 s0, s9, -4
	s_cmp_eq_u32 s0, 4
	s_barrier
	buffer_gl0_inv
	s_cbranch_scc1 .LBB142_5
; %bb.10:                               ;   in Loop: Header=BB142_6 Depth=1
	v_add_nc_u32_e32 v14, s11, v140
	v_add_nc_u32_e32 v12, 4, v163
	v_mov_b32_e32 v163, v145
	v_mov_b32_e32 v165, v146
	;; [unrolled: 1-line block ×3, first 2 shown]
	v_add_nc_u32_e32 v2, v14, v130
	v_add_nc_u32_e32 v4, v14, v132
	;; [unrolled: 1-line block ×5, first 2 shown]
	v_mad_u64_u32 v[12:13], null, v12, 36, s[2:3]
	v_mad_i64_i32 v[2:3], null, v2, 36, v[41:42]
	v_add_nc_u32_e32 v15, v14, v136
	v_mad_i64_i32 v[4:5], null, v4, 36, v[41:42]
	v_add_nc_u32_e32 v16, v14, v137
	;; [unrolled: 2-line block ×3, first 2 shown]
	v_mad_i64_i32 v[8:9], null, v8, 36, v[41:42]
	v_mad_i64_i32 v[10:11], null, v10, 36, v[41:42]
	;; [unrolled: 1-line block ×5, first 2 shown]
	s_clause 0x8
	global_load_dword v12, v[12:13], off
	global_load_dword v2, v[2:3], off offset:4
	global_load_dword v3, v[4:5], off offset:4
	;; [unrolled: 1-line block ×8, first 2 shown]
	v_mov_b32_e32 v167, v150
	v_mov_b32_e32 v168, v149
	v_mov_b32_e32 v169, v148
	v_mov_b32_e32 v170, v147
	s_mov_b32 s0, 12
	s_waitcnt vmcnt(8)
	v_cvt_f32_f16_e32 v10, v12
	s_waitcnt vmcnt(7)
	ds_write_b32 v164, v2
	s_waitcnt vmcnt(6)
	ds_write_b32 v156, v3
	;; [unrolled: 2-line block ×8, first 2 shown]
	ds_write_b32 v129, v10
	s_waitcnt lgkmcnt(0)
	s_barrier
	buffer_gl0_inv
.LBB142_11:                             ;   Parent Loop BB142_6 Depth=1
                                        ; =>  This Inner Loop Header: Depth=2
	v_add_nc_u32_e32 v10, 0x2080, v166
	ds_read_b128 v[6:9], v165
	ds_read2_b32 v[79:80], v166 offset1:1
	ds_read_b128 v[2:5], v165 offset:16
	v_mov_b32_e32 v171, 0
	v_mov_b32_e32 v164, 0
	ds_read2_b32 v[75:76], v10 offset1:1
	v_add_nc_u32_e32 v10, 0x4100, v166
	v_mov_b32_e32 v172, 0
	v_mov_b32_e32 v173, 0
	;; [unrolled: 1-line block ×3, first 2 shown]
	ds_read2_b32 v[83:84], v166 offset0:2 offset1:3
	ds_read2_b32 v[81:82], v10 offset1:1
	v_add_nc_u32_e32 v10, 0x6180, v166
	v_mov_b32_e32 v175, 0
	v_mov_b32_e32 v176, 0
	ds_read2_b32 v[93:94], v166 offset0:4 offset1:5
	v_mov_b32_e32 v177, 0
	ds_read2_b32 v[85:86], v10 offset1:1
	v_mov_b32_e32 v178, 0
	v_mov_b32_e32 v179, 0
	;; [unrolled: 1-line block ×3, first 2 shown]
	s_waitcnt lgkmcnt(6)
	v_dot4c_i32_i8 v171, v79, v6
	v_mov_b32_e32 v197, 0
	s_add_i32 s0, s0, 4
	ds_read_b128 v[13:16], v165 offset:2048
	s_waitcnt lgkmcnt(5)
	v_dot4c_i32_i8 v164, v75, v6
	v_dot4c_i32_i8 v171, v80, v2
	s_cmp_lt_u32 s0, 28
	ds_read_b128 v[17:20], v165 offset:3072
	ds_read_b128 v[180:183], v165 offset:4096
	v_dot4c_i32_i8 v164, v76, v2
	s_waitcnt lgkmcnt(5)
	v_dot4c_i32_i8 v172, v81, v6
	v_dot4c_i32_i8 v171, v83, v7
	ds_read_b128 v[184:187], v165 offset:5136
	ds_read_b128 v[188:191], v165 offset:6160
	;; [unrolled: 1-line block ×3, first 2 shown]
	v_dot4c_i32_i8 v172, v82, v2
	s_waitcnt lgkmcnt(6)
	v_dot4c_i32_i8 v173, v85, v6
	v_dot4c_i32_i8 v171, v84, v3
	;; [unrolled: 1-line block ×3, first 2 shown]
	v_add_nc_u32_e32 v2, 0x2088, v166
	v_dot4c_i32_i8 v171, v93, v8
	s_waitcnt lgkmcnt(5)
	v_dot4c_i32_i8 v177, v85, v13
	ds_read2_b32 v[87:88], v2 offset1:1
	v_add_nc_u32_e32 v2, 0x4108, v166
	v_dot4c_i32_i8 v171, v94, v4
	s_waitcnt lgkmcnt(5)
	v_dot4c_i32_i8 v178, v85, v17
	s_waitcnt lgkmcnt(4)
	v_dot4c_i32_i8 v179, v81, v180
	ds_read2_b32 v[91:92], v2 offset1:1
	v_add_nc_u32_e32 v2, 0x6188, v166
	ds_read2_b32 v[95:96], v2 offset1:1
	v_add_nc_u32_e32 v2, 0x2090, v166
	;; [unrolled: 2-line block ×3, first 2 shown]
	s_waitcnt lgkmcnt(3)
	v_dot4c_i32_i8 v164, v87, v7
	ds_read2_b32 v[99:100], v2 offset1:1
	v_add_nc_u32_e32 v2, 0x6190, v166
	s_waitcnt lgkmcnt(3)
	v_dot4c_i32_i8 v172, v91, v7
	v_dot4c_i32_i8 v164, v88, v3
	ds_read2_b32 v[101:102], v2 offset1:1
	v_dot4c_i32_i8 v172, v92, v3
	s_waitcnt lgkmcnt(3)
	v_dot4c_i32_i8 v173, v95, v7
	v_dot4c_i32_i8 v173, v96, v3
	s_waitcnt lgkmcnt(2)
	v_dot4c_i32_i8 v164, v97, v8
	ds_read2_b32 v[2:3], v166 offset0:6 offset1:7
	v_dot4c_i32_i8 v164, v98, v4
	s_waitcnt lgkmcnt(2)
	v_dot4c_i32_i8 v172, v99, v8
	v_dot4c_i32_i8 v172, v100, v4
	s_waitcnt lgkmcnt(1)
	v_dot4c_i32_i8 v173, v101, v8
	v_dot4c_i32_i8 v173, v102, v4
	v_add_nc_u32_e32 v4, 0x2098, v166
	ds_read2_b32 v[73:74], v4 offset1:1
	v_add_nc_u32_e32 v4, 0x4118, v166
	s_waitcnt lgkmcnt(1)
	v_dot4c_i32_i8 v171, v2, v9
	ds_read2_b32 v[77:78], v4 offset1:1
	v_add_nc_u32_e32 v4, 0x6198, v166
	v_dot4c_i32_i8 v171, v3, v5
	v_add_nc_u32_e32 v166, 32, v166
	ds_read2_b32 v[89:90], v4 offset1:1
	v_mov_b32_e32 v4, 0
	s_waitcnt lgkmcnt(2)
	v_dot4c_i32_i8 v164, v73, v9
	v_dot4c_i32_i8 v164, v74, v5
	s_waitcnt lgkmcnt(1)
	v_dot4c_i32_i8 v172, v77, v9
	v_dot4c_i32_i8 v172, v78, v5
	s_waitcnt lgkmcnt(0)
	v_dot4c_i32_i8 v173, v89, v9
	ds_read_b128 v[9:12], v165 offset:1024
	v_dot4c_i32_i8 v173, v90, v5
	s_waitcnt lgkmcnt(0)
	v_dot4c_i32_i8 v4, v79, v9
	v_dot4c_i32_i8 v174, v75, v9
	;; [unrolled: 1-line block ×4, first 2 shown]
	ds_read_b128 v[6:9], v165 offset:1040
	s_waitcnt lgkmcnt(0)
	v_dot4c_i32_i8 v4, v80, v6
	v_dot4c_i32_i8 v174, v76, v6
	v_dot4c_i32_i8 v175, v82, v6
	v_dot4c_i32_i8 v176, v86, v6
	v_mov_b32_e32 v6, 0
	v_dot4c_i32_i8 v4, v83, v10
	v_dot4c_i32_i8 v174, v87, v10
	v_dot4c_i32_i8 v175, v91, v10
	v_dot4c_i32_i8 v176, v95, v10
	v_dot4c_i32_i8 v6, v79, v13
	v_dot4c_i32_i8 v4, v84, v7
	v_dot4c_i32_i8 v174, v88, v7
	v_dot4c_i32_i8 v175, v92, v7
	v_dot4c_i32_i8 v176, v96, v7
	v_mov_b32_e32 v7, 0
	v_dot4c_i32_i8 v4, v93, v11
	v_dot4c_i32_i8 v174, v97, v11
	v_dot4c_i32_i8 v175, v99, v11
	v_dot4c_i32_i8 v176, v101, v11
	v_dot4c_i32_i8 v7, v75, v13
	;; [unrolled: 10-line block ×3, first 2 shown]
	ds_read_b128 v[10:13], v165 offset:2064
	v_dot4c_i32_i8 v4, v3, v9
	v_dot4c_i32_i8 v174, v74, v9
	;; [unrolled: 1-line block ×4, first 2 shown]
	v_cvt_f32_i32_e32 v4, v4
	s_waitcnt lgkmcnt(0)
	v_dot4c_i32_i8 v6, v80, v10
	v_dot4c_i32_i8 v7, v76, v10
	v_dot4c_i32_i8 v8, v82, v10
	v_dot4c_i32_i8 v177, v86, v10
	v_mov_b32_e32 v10, 0
	v_dot4c_i32_i8 v6, v83, v14
	v_dot4c_i32_i8 v7, v87, v14
	v_dot4c_i32_i8 v8, v91, v14
	v_dot4c_i32_i8 v177, v95, v14
	v_dot4c_i32_i8 v10, v79, v17
	v_dot4c_i32_i8 v6, v84, v11
	v_dot4c_i32_i8 v7, v88, v11
	v_dot4c_i32_i8 v8, v92, v11
	v_dot4c_i32_i8 v177, v96, v11
	v_mov_b32_e32 v11, 0
	v_dot4c_i32_i8 v6, v93, v15
	v_dot4c_i32_i8 v7, v97, v15
	v_dot4c_i32_i8 v8, v99, v15
	v_dot4c_i32_i8 v177, v101, v15
	v_dot4c_i32_i8 v11, v75, v17
	;; [unrolled: 10-line block ×3, first 2 shown]
	ds_read_b128 v[14:17], v165 offset:3088
	v_dot4c_i32_i8 v6, v3, v13
	v_dot4c_i32_i8 v7, v74, v13
	;; [unrolled: 1-line block ×4, first 2 shown]
	s_waitcnt lgkmcnt(0)
	v_dot4c_i32_i8 v10, v80, v14
	v_dot4c_i32_i8 v11, v76, v14
	;; [unrolled: 1-line block ×4, first 2 shown]
	v_mov_b32_e32 v14, 0
	v_dot4c_i32_i8 v10, v83, v18
	v_dot4c_i32_i8 v11, v87, v18
	;; [unrolled: 1-line block ×9, first 2 shown]
	v_mov_b32_e32 v15, 0
	v_dot4c_i32_i8 v10, v93, v19
	v_dot4c_i32_i8 v11, v97, v19
	;; [unrolled: 1-line block ×9, first 2 shown]
	v_mov_b32_e32 v16, 0
	v_dot4c_i32_i8 v10, v2, v20
	v_dot4c_i32_i8 v11, v73, v20
	;; [unrolled: 1-line block ×4, first 2 shown]
	ds_read_b128 v[18:21], v165 offset:4112
	v_dot4c_i32_i8 v16, v79, v180
	v_dot4c_i32_i8 v10, v3, v17
	;; [unrolled: 1-line block ×5, first 2 shown]
	s_waitcnt lgkmcnt(0)
	v_dot4c_i32_i8 v16, v80, v18
	v_dot4c_i32_i8 v14, v76, v18
	v_dot4c_i32_i8 v179, v82, v18
	v_dot4c_i32_i8 v15, v86, v18
	v_mov_b32_e32 v18, 0
	v_dot4c_i32_i8 v16, v83, v181
	v_dot4c_i32_i8 v14, v87, v181
	v_dot4c_i32_i8 v179, v91, v181
	v_dot4c_i32_i8 v15, v95, v181
	v_dot4c_i32_i8 v16, v84, v19
	v_dot4c_i32_i8 v14, v88, v19
	v_dot4c_i32_i8 v179, v92, v19
	v_dot4c_i32_i8 v15, v96, v19
	v_mov_b32_e32 v19, 0
	v_dot4c_i32_i8 v16, v93, v182
	v_dot4c_i32_i8 v14, v97, v182
	v_dot4c_i32_i8 v179, v99, v182
	v_dot4c_i32_i8 v15, v101, v182
	;; [unrolled: 9-line block ×3, first 2 shown]
	ds_read_b128 v[180:183], v165 offset:5120
	v_dot4c_i32_i8 v16, v3, v21
	v_dot4c_i32_i8 v14, v74, v21
	;; [unrolled: 1-line block ×4, first 2 shown]
	s_waitcnt lgkmcnt(0)
	v_dot4c_i32_i8 v18, v79, v180
	v_dot4c_i32_i8 v19, v75, v180
	v_dot4c_i32_i8 v20, v81, v180
	v_dot4c_i32_i8 v196, v85, v180
	v_dot4c_i32_i8 v18, v80, v184
	v_dot4c_i32_i8 v19, v76, v184
	v_dot4c_i32_i8 v20, v82, v184
	v_dot4c_i32_i8 v196, v86, v184
	v_mov_b32_e32 v184, 0
	v_dot4c_i32_i8 v18, v83, v181
	v_dot4c_i32_i8 v19, v87, v181
	v_dot4c_i32_i8 v20, v91, v181
	v_dot4c_i32_i8 v196, v95, v181
	v_dot4c_i32_i8 v18, v84, v185
	v_dot4c_i32_i8 v19, v88, v185
	v_dot4c_i32_i8 v20, v92, v185
	v_dot4c_i32_i8 v196, v96, v185
	v_mov_b32_e32 v185, 0
	;; [unrolled: 9-line block ×3, first 2 shown]
	v_dot4c_i32_i8 v18, v2, v183
	v_dot4c_i32_i8 v19, v73, v183
	;; [unrolled: 1-line block ×4, first 2 shown]
	ds_read_b128 v[180:183], v165 offset:6144
	v_dot4c_i32_i8 v18, v3, v187
	v_dot4c_i32_i8 v19, v74, v187
	;; [unrolled: 1-line block ×4, first 2 shown]
	s_waitcnt lgkmcnt(0)
	v_dot4c_i32_i8 v184, v79, v180
	v_dot4c_i32_i8 v185, v75, v180
	;; [unrolled: 1-line block ×8, first 2 shown]
	v_mov_b32_e32 v188, 0
	v_dot4c_i32_i8 v184, v83, v181
	v_dot4c_i32_i8 v185, v87, v181
	;; [unrolled: 1-line block ×20, first 2 shown]
	ds_read_b128 v[180:183], v165 offset:7168
	v_dot4c_i32_i8 v184, v3, v191
	v_dot4c_i32_i8 v185, v74, v191
	;; [unrolled: 1-line block ×4, first 2 shown]
	v_add_nc_u32_e32 v165, 32, v165
	s_waitcnt lgkmcnt(0)
	v_dot4c_i32_i8 v188, v79, v180
	v_mov_b32_e32 v79, 0
	v_dot4c_i32_i8 v188, v80, v192
	v_dot4c_i32_i8 v79, v75, v180
	v_mov_b32_e32 v75, 0
	v_dot4c_i32_i8 v188, v83, v181
	v_dot4c_i32_i8 v79, v76, v192
	;; [unrolled: 1-line block ×3, first 2 shown]
	v_mov_b32_e32 v76, 0
	v_dot4c_i32_i8 v188, v84, v193
	v_dot4c_i32_i8 v79, v87, v181
	;; [unrolled: 1-line block ×17, first 2 shown]
	ds_read_b32 v5, v167
	ds_read_b32 v9, v168
	;; [unrolled: 1-line block ×4, first 2 shown]
	ds_read2_b32 v[2:3], v163 offset1:32
	v_dot4c_i32_i8 v75, v100, v194
	v_dot4c_i32_i8 v79, v73, v183
	;; [unrolled: 1-line block ×3, first 2 shown]
	v_add_nc_u32_e32 v170, 4, v170
	v_add_nc_u32_e32 v169, 4, v169
	v_dot4c_i32_i8 v75, v77, v183
	v_dot4c_i32_i8 v79, v74, v195
	;; [unrolled: 1-line block ×3, first 2 shown]
	v_add_nc_u32_e32 v168, 4, v168
	v_add_nc_u32_e32 v167, 4, v167
	v_dot4c_i32_i8 v75, v78, v195
	v_dot4c_i32_i8 v76, v89, v183
	v_dot4c_i32_i8 v76, v90, v195
	s_waitcnt lgkmcnt(0)
	v_mul_f32_e32 v21, v5, v2
	v_mul_f32_e32 v73, v5, v3
	;; [unrolled: 1-line block ×8, first 2 shown]
	ds_read2_b32 v[2:3], v163 offset0:64 offset1:96
	v_fma_f32 v23, v73, v4, v23
	v_cvt_f32_i32_e32 v4, v171
	v_fmac_f32_e32 v22, v21, v4
	v_cvt_f32_i32_e32 v4, v10
	v_cvt_f32_i32_e32 v10, v197
	s_waitcnt lgkmcnt(0)
	v_mul_f32_e32 v83, v5, v2
	v_mul_f32_e32 v84, v5, v3
	v_mul_f32_e32 v85, v9, v2
	v_mul_f32_e32 v86, v9, v3
	v_mul_f32_e32 v87, v13, v2
	v_mul_f32_e32 v88, v13, v3
	v_mul_f32_e32 v89, v17, v2
	v_mul_f32_e32 v90, v17, v3
	ds_read2_b32 v[2:3], v163 offset0:128 offset1:160
	v_fma_f32 v58, v84, v4, v58
	v_cvt_f32_i32_e32 v4, v6
	v_cvt_f32_i32_e32 v6, v79
	v_fmac_f32_e32 v57, v83, v4
	v_cvt_f32_i32_e32 v4, v18
	s_waitcnt lgkmcnt(0)
	v_mul_f32_e32 v91, v5, v2
	v_mul_f32_e32 v92, v5, v3
	;; [unrolled: 1-line block ×8, first 2 shown]
	ds_read2_b32 v[2:3], v163 offset0:192 offset1:224
	v_fma_f32 v50, v92, v4, v50
	v_cvt_f32_i32_e32 v4, v16
	v_add_nc_u32_e32 v163, 4, v163
	v_fmac_f32_e32 v49, v91, v4
	v_cvt_f32_i32_e32 v4, v188
	s_waitcnt lgkmcnt(0)
	v_mul_f32_e32 v99, v5, v2
	v_mul_f32_e32 v5, v5, v3
	;; [unrolled: 1-line block ×6, first 2 shown]
	v_fma_f32 v44, v5, v4, v44
	v_cvt_f32_i32_e32 v4, v184
	v_mul_f32_e32 v2, v17, v2
	v_mul_f32_e32 v3, v17, v3
	v_cvt_f32_i32_e32 v5, v185
	v_fma_f32 v46, v9, v6, v46
	v_fmac_f32_e32 v43, v99, v4
	v_cvt_f32_i32_e32 v4, v174
	v_fmac_f32_e32 v51, v2, v10
	v_fmac_f32_e32 v45, v100, v5
	v_fma_f32 v68, v77, v4, v68
	v_cvt_f32_i32_e32 v4, v164
	v_fmac_f32_e32 v67, v74, v4
	v_cvt_f32_i32_e32 v4, v175
	v_fma_f32 v70, v80, v4, v70
	v_cvt_f32_i32_e32 v4, v172
	v_fmac_f32_e32 v69, v78, v4
	v_cvt_f32_i32_e32 v4, v176
	;; [unrolled: 4-line block ×3, first 2 shown]
	v_cvt_f32_i32_e32 v11, v76
	v_fma_f32 v62, v86, v4, v62
	v_cvt_f32_i32_e32 v4, v7
	v_cvt_f32_i32_e32 v7, v186
	v_fma_f32 v52, v3, v11, v52
	v_fmac_f32_e32 v61, v85, v4
	v_cvt_f32_i32_e32 v4, v12
	v_fmac_f32_e32 v47, v101, v7
	v_fma_f32 v64, v88, v4, v64
	v_cvt_f32_i32_e32 v4, v8
	v_cvt_f32_i32_e32 v8, v75
	v_fmac_f32_e32 v63, v87, v4
	v_cvt_f32_i32_e32 v4, v178
	v_fma_f32 v48, v13, v8, v48
	v_fma_f32 v66, v90, v4, v66
	v_cvt_f32_i32_e32 v4, v177
	v_fmac_f32_e32 v65, v89, v4
	v_cvt_f32_i32_e32 v4, v19
	v_fma_f32 v54, v94, v4, v54
	v_cvt_f32_i32_e32 v4, v14
	v_fmac_f32_e32 v53, v93, v4
	v_cvt_f32_i32_e32 v4, v20
	;; [unrolled: 4-line block ×3, first 2 shown]
	v_fma_f32 v60, v98, v4, v60
	v_cvt_f32_i32_e32 v4, v15
	v_fmac_f32_e32 v59, v97, v4
	s_cbranch_scc1 .LBB142_11
; %bb.12:                               ;   in Loop: Header=BB142_6 Depth=1
	s_barrier
	buffer_gl0_inv
	s_branch .LBB142_5
.LBB142_13:
	v_cvt_f16_f32_e32 v12, v22
	v_cvt_f16_f32_e32 v13, v67
	;; [unrolled: 1-line block ×32, first 2 shown]
	v_mov_b32_e32 v34, v103
.LBB142_14:
	s_mov_b32 s0, exec_lo
	v_cmpx_gt_u32_e64 s10, v34
	s_cbranch_execz .LBB142_65
; %bb.15:
	v_add_nc_u32_e32 v0, s6, v0
	v_mul_lo_u32 v34, v34, s14
	v_cmp_gt_u32_e32 vcc_lo, s14, v0
	s_and_saveexec_b32 s1, vcc_lo
	s_cbranch_execz .LBB142_17
; %bb.16:
	v_add_nc_u32_e32 v35, v0, v34
	v_mov_b32_e32 v36, 0
	v_lshlrev_b64 v[35:36], 1, v[35:36]
	s_waitcnt lgkmcnt(0)
	v_add_co_u32 v35, s0, s12, v35
	v_add_co_ci_u32_e64 v36, null, s13, v36, s0
	global_store_short v[35:36], v12, off
.LBB142_17:
	s_or_b32 exec_lo, exec_lo, s1
	v_add_nc_u32_e32 v12, 32, v0
	v_cmp_gt_u32_e64 s0, s14, v12
	s_and_saveexec_b32 s2, s0
	s_cbranch_execz .LBB142_19
; %bb.18:
	v_add_nc_u32_e32 v35, v12, v34
	v_mov_b32_e32 v36, 0
	v_lshlrev_b64 v[35:36], 1, v[35:36]
	s_waitcnt lgkmcnt(0)
	v_add_co_u32 v35, s1, s12, v35
	v_add_co_ci_u32_e64 v36, null, s13, v36, s1
	global_store_short v[35:36], v13, off
.LBB142_19:
	s_or_b32 exec_lo, exec_lo, s2
	v_add_nc_u32_e32 v13, 64, v0
	v_cmp_gt_u32_e64 s1, s14, v13
	s_and_saveexec_b32 s3, s1
	;; [unrolled: 14-line block ×3, first 2 shown]
	s_cbranch_execz .LBB142_23
; %bb.22:
	v_add_nc_u32_e32 v34, v14, v34
	v_mov_b32_e32 v35, 0
	v_lshlrev_b64 v[34:35], 1, v[34:35]
	s_waitcnt lgkmcnt(0)
	v_add_co_u32 v34, s3, s12, v34
	v_add_co_ci_u32_e64 v35, null, s13, v35, s3
	global_store_short v[34:35], v33, off
.LBB142_23:
	s_or_b32 exec_lo, exec_lo, s4
	v_add3_u32 v33, v1, s7, 8
	v_cmp_gt_u32_e64 s3, s10, v33
	s_and_b32 exec_lo, exec_lo, s3
	s_cbranch_execz .LBB142_65
; %bb.24:
	v_mul_lo_u32 v33, v33, s14
	s_and_saveexec_b32 s4, vcc_lo
	s_cbranch_execnz .LBB142_66
; %bb.25:
	s_or_b32 exec_lo, exec_lo, s4
	s_and_saveexec_b32 s4, s0
	s_cbranch_execnz .LBB142_67
.LBB142_26:
	s_or_b32 exec_lo, exec_lo, s4
	s_and_saveexec_b32 s4, s1
	s_cbranch_execnz .LBB142_68
.LBB142_27:
	s_or_b32 exec_lo, exec_lo, s4
	s_and_saveexec_b32 s4, s2
	s_cbranch_execz .LBB142_29
.LBB142_28:
	v_add_nc_u32_e32 v30, v33, v14
	v_mov_b32_e32 v31, 0
	v_lshlrev_b64 v[30:31], 1, v[30:31]
	s_waitcnt lgkmcnt(0)
	v_add_co_u32 v30, s3, s12, v30
	v_add_co_ci_u32_e64 v31, null, s13, v31, s3
	global_store_short v[30:31], v29, off
.LBB142_29:
	s_or_b32 exec_lo, exec_lo, s4
	v_add3_u32 v29, v1, s7, 16
	v_cmp_gt_u32_e64 s3, s10, v29
	s_and_b32 exec_lo, exec_lo, s3
	s_cbranch_execz .LBB142_65
; %bb.30:
	v_mul_lo_u32 v29, v29, s14
	s_and_saveexec_b32 s4, vcc_lo
	s_cbranch_execnz .LBB142_69
; %bb.31:
	s_or_b32 exec_lo, exec_lo, s4
	s_and_saveexec_b32 s4, s0
	s_cbranch_execnz .LBB142_70
.LBB142_32:
	s_or_b32 exec_lo, exec_lo, s4
	s_and_saveexec_b32 s4, s1
	s_cbranch_execnz .LBB142_71
.LBB142_33:
	s_or_b32 exec_lo, exec_lo, s4
	s_and_saveexec_b32 s4, s2
	s_cbranch_execz .LBB142_35
.LBB142_34:
	v_add_nc_u32_e32 v26, v29, v14
	v_mov_b32_e32 v27, 0
	v_lshlrev_b64 v[26:27], 1, v[26:27]
	s_waitcnt lgkmcnt(0)
	v_add_co_u32 v26, s3, s12, v26
	v_add_co_ci_u32_e64 v27, null, s13, v27, s3
	global_store_short v[26:27], v25, off
.LBB142_35:
	s_or_b32 exec_lo, exec_lo, s4
	v_add3_u32 v25, v1, s7, 24
	v_cmp_gt_u32_e64 s3, s10, v25
	s_and_b32 exec_lo, exec_lo, s3
	s_cbranch_execz .LBB142_65
; %bb.36:
	v_mul_lo_u32 v25, v25, s14
	s_and_saveexec_b32 s4, vcc_lo
	s_cbranch_execnz .LBB142_72
; %bb.37:
	s_or_b32 exec_lo, exec_lo, s4
	s_and_saveexec_b32 s4, s0
	s_cbranch_execnz .LBB142_73
.LBB142_38:
	s_or_b32 exec_lo, exec_lo, s4
	s_and_saveexec_b32 s4, s1
	s_cbranch_execnz .LBB142_74
.LBB142_39:
	s_or_b32 exec_lo, exec_lo, s4
	s_and_saveexec_b32 s4, s2
	s_cbranch_execz .LBB142_41
.LBB142_40:
	v_add_nc_u32_e32 v22, v25, v14
	v_mov_b32_e32 v23, 0
	v_lshlrev_b64 v[22:23], 1, v[22:23]
	s_waitcnt lgkmcnt(0)
	v_add_co_u32 v22, s3, s12, v22
	v_add_co_ci_u32_e64 v23, null, s13, v23, s3
	global_store_short v[22:23], v21, off
.LBB142_41:
	s_or_b32 exec_lo, exec_lo, s4
	v_add3_u32 v21, v1, s7, 32
	v_cmp_gt_u32_e64 s3, s10, v21
	s_and_b32 exec_lo, exec_lo, s3
	s_cbranch_execz .LBB142_65
; %bb.42:
	v_mul_lo_u32 v21, v21, s14
	s_and_saveexec_b32 s4, vcc_lo
	s_cbranch_execnz .LBB142_75
; %bb.43:
	s_or_b32 exec_lo, exec_lo, s4
	s_and_saveexec_b32 s4, s0
	s_cbranch_execnz .LBB142_76
.LBB142_44:
	s_or_b32 exec_lo, exec_lo, s4
	s_and_saveexec_b32 s4, s1
	s_cbranch_execnz .LBB142_77
.LBB142_45:
	s_or_b32 exec_lo, exec_lo, s4
	s_and_saveexec_b32 s4, s2
	s_cbranch_execz .LBB142_47
.LBB142_46:
	v_add_nc_u32_e32 v18, v21, v14
	v_mov_b32_e32 v19, 0
	v_lshlrev_b64 v[18:19], 1, v[18:19]
	s_waitcnt lgkmcnt(0)
	v_add_co_u32 v18, s3, s12, v18
	v_add_co_ci_u32_e64 v19, null, s13, v19, s3
	global_store_short v[18:19], v17, off
.LBB142_47:
	s_or_b32 exec_lo, exec_lo, s4
	v_add3_u32 v17, v1, s7, 40
	v_cmp_gt_u32_e64 s3, s10, v17
	s_and_b32 exec_lo, exec_lo, s3
	s_cbranch_execz .LBB142_65
; %bb.48:
	v_mul_lo_u32 v17, v17, s14
	s_and_saveexec_b32 s4, vcc_lo
	s_cbranch_execnz .LBB142_78
; %bb.49:
	s_or_b32 exec_lo, exec_lo, s4
	s_and_saveexec_b32 s4, s0
	s_cbranch_execnz .LBB142_79
.LBB142_50:
	s_or_b32 exec_lo, exec_lo, s4
	s_and_saveexec_b32 s4, s1
	s_cbranch_execnz .LBB142_80
.LBB142_51:
	s_or_b32 exec_lo, exec_lo, s4
	s_and_saveexec_b32 s4, s2
	s_cbranch_execz .LBB142_53
.LBB142_52:
	v_add_nc_u32_e32 v15, v17, v14
	v_mov_b32_e32 v16, 0
	v_lshlrev_b64 v[15:16], 1, v[15:16]
	s_waitcnt lgkmcnt(0)
	v_add_co_u32 v15, s3, s12, v15
	v_add_co_ci_u32_e64 v16, null, s13, v16, s3
	global_store_short v[15:16], v10, off
.LBB142_53:
	s_or_b32 exec_lo, exec_lo, s4
	v_add3_u32 v10, v1, s7, 48
	v_cmp_gt_u32_e64 s3, s10, v10
	s_and_b32 exec_lo, exec_lo, s3
	s_cbranch_execz .LBB142_65
; %bb.54:
	v_mul_lo_u32 v10, v10, s14
	s_and_saveexec_b32 s4, vcc_lo
	s_cbranch_execnz .LBB142_81
; %bb.55:
	s_or_b32 exec_lo, exec_lo, s4
	s_and_saveexec_b32 s4, s0
	s_cbranch_execnz .LBB142_82
.LBB142_56:
	s_or_b32 exec_lo, exec_lo, s4
	s_and_saveexec_b32 s4, s1
	s_cbranch_execnz .LBB142_83
.LBB142_57:
	s_or_b32 exec_lo, exec_lo, s4
	s_and_saveexec_b32 s4, s2
	s_cbranch_execz .LBB142_59
.LBB142_58:
	v_add_nc_u32_e32 v7, v10, v14
	v_mov_b32_e32 v8, 0
	v_lshlrev_b64 v[7:8], 1, v[7:8]
	s_waitcnt lgkmcnt(0)
	v_add_co_u32 v7, s3, s12, v7
	v_add_co_ci_u32_e64 v8, null, s13, v8, s3
	global_store_short v[7:8], v6, off
.LBB142_59:
	s_or_b32 exec_lo, exec_lo, s4
	v_add3_u32 v1, v1, s7, 56
	v_cmp_gt_u32_e64 s3, s10, v1
	s_and_b32 exec_lo, exec_lo, s3
	s_cbranch_execz .LBB142_65
; %bb.60:
	v_mul_lo_u32 v1, v1, s14
	s_and_saveexec_b32 s3, vcc_lo
	s_cbranch_execnz .LBB142_84
; %bb.61:
	s_or_b32 exec_lo, exec_lo, s3
	s_and_saveexec_b32 s3, s0
	s_cbranch_execnz .LBB142_85
.LBB142_62:
	s_or_b32 exec_lo, exec_lo, s3
	s_and_saveexec_b32 s0, s1
	s_cbranch_execnz .LBB142_86
.LBB142_63:
	s_or_b32 exec_lo, exec_lo, s0
	s_and_b32 exec_lo, exec_lo, s2
	s_cbranch_execz .LBB142_65
.LBB142_64:
	v_add_nc_u32_e32 v0, v1, v14
	v_mov_b32_e32 v1, 0
	v_lshlrev_b64 v[0:1], 1, v[0:1]
	s_waitcnt lgkmcnt(0)
	v_add_co_u32 v0, vcc_lo, s12, v0
	v_add_co_ci_u32_e64 v1, null, s13, v1, vcc_lo
	global_store_short v[0:1], v2, off
.LBB142_65:
	s_endpgm
.LBB142_66:
	v_add_nc_u32_e32 v34, v33, v0
	v_mov_b32_e32 v35, 0
	v_lshlrev_b64 v[34:35], 1, v[34:35]
	s_waitcnt lgkmcnt(0)
	v_add_co_u32 v34, s3, s12, v34
	v_add_co_ci_u32_e64 v35, null, s13, v35, s3
	global_store_short v[34:35], v32, off
	s_or_b32 exec_lo, exec_lo, s4
	s_and_saveexec_b32 s4, s0
	s_cbranch_execz .LBB142_26
.LBB142_67:
	v_add_nc_u32_e32 v34, v33, v12
	v_mov_b32_e32 v35, 0
	v_lshlrev_b64 v[34:35], 1, v[34:35]
	s_waitcnt lgkmcnt(0)
	v_add_co_u32 v34, s3, s12, v34
	v_add_co_ci_u32_e64 v35, null, s13, v35, s3
	global_store_short v[34:35], v31, off
	s_or_b32 exec_lo, exec_lo, s4
	s_and_saveexec_b32 s4, s1
	s_cbranch_execz .LBB142_27
.LBB142_68:
	v_add_nc_u32_e32 v31, v33, v13
	v_mov_b32_e32 v32, 0
	v_lshlrev_b64 v[31:32], 1, v[31:32]
	s_waitcnt lgkmcnt(0)
	v_add_co_u32 v31, s3, s12, v31
	v_add_co_ci_u32_e64 v32, null, s13, v32, s3
	global_store_short v[31:32], v30, off
	s_or_b32 exec_lo, exec_lo, s4
	s_and_saveexec_b32 s4, s2
	s_cbranch_execnz .LBB142_28
	s_branch .LBB142_29
.LBB142_69:
	v_add_nc_u32_e32 v30, v29, v0
	v_mov_b32_e32 v31, 0
	v_lshlrev_b64 v[30:31], 1, v[30:31]
	s_waitcnt lgkmcnt(0)
	v_add_co_u32 v30, s3, s12, v30
	v_add_co_ci_u32_e64 v31, null, s13, v31, s3
	global_store_short v[30:31], v28, off
	s_or_b32 exec_lo, exec_lo, s4
	s_and_saveexec_b32 s4, s0
	s_cbranch_execz .LBB142_32
.LBB142_70:
	v_add_nc_u32_e32 v30, v29, v12
	v_mov_b32_e32 v31, 0
	v_lshlrev_b64 v[30:31], 1, v[30:31]
	s_waitcnt lgkmcnt(0)
	v_add_co_u32 v30, s3, s12, v30
	v_add_co_ci_u32_e64 v31, null, s13, v31, s3
	global_store_short v[30:31], v27, off
	s_or_b32 exec_lo, exec_lo, s4
	s_and_saveexec_b32 s4, s1
	s_cbranch_execz .LBB142_33
.LBB142_71:
	v_add_nc_u32_e32 v27, v29, v13
	v_mov_b32_e32 v28, 0
	v_lshlrev_b64 v[27:28], 1, v[27:28]
	s_waitcnt lgkmcnt(0)
	v_add_co_u32 v27, s3, s12, v27
	v_add_co_ci_u32_e64 v28, null, s13, v28, s3
	global_store_short v[27:28], v26, off
	s_or_b32 exec_lo, exec_lo, s4
	s_and_saveexec_b32 s4, s2
	s_cbranch_execnz .LBB142_34
	s_branch .LBB142_35
.LBB142_72:
	v_add_nc_u32_e32 v26, v25, v0
	v_mov_b32_e32 v27, 0
	v_lshlrev_b64 v[26:27], 1, v[26:27]
	s_waitcnt lgkmcnt(0)
	v_add_co_u32 v26, s3, s12, v26
	v_add_co_ci_u32_e64 v27, null, s13, v27, s3
	global_store_short v[26:27], v24, off
	s_or_b32 exec_lo, exec_lo, s4
	s_and_saveexec_b32 s4, s0
	s_cbranch_execz .LBB142_38
.LBB142_73:
	v_add_nc_u32_e32 v26, v25, v12
	v_mov_b32_e32 v27, 0
	v_lshlrev_b64 v[26:27], 1, v[26:27]
	s_waitcnt lgkmcnt(0)
	v_add_co_u32 v26, s3, s12, v26
	v_add_co_ci_u32_e64 v27, null, s13, v27, s3
	global_store_short v[26:27], v23, off
	s_or_b32 exec_lo, exec_lo, s4
	s_and_saveexec_b32 s4, s1
	s_cbranch_execz .LBB142_39
.LBB142_74:
	v_add_nc_u32_e32 v23, v25, v13
	v_mov_b32_e32 v24, 0
	v_lshlrev_b64 v[23:24], 1, v[23:24]
	s_waitcnt lgkmcnt(0)
	v_add_co_u32 v23, s3, s12, v23
	v_add_co_ci_u32_e64 v24, null, s13, v24, s3
	global_store_short v[23:24], v22, off
	s_or_b32 exec_lo, exec_lo, s4
	s_and_saveexec_b32 s4, s2
	s_cbranch_execnz .LBB142_40
	s_branch .LBB142_41
.LBB142_75:
	v_add_nc_u32_e32 v22, v21, v0
	v_mov_b32_e32 v23, 0
	v_lshlrev_b64 v[22:23], 1, v[22:23]
	s_waitcnt lgkmcnt(0)
	v_add_co_u32 v22, s3, s12, v22
	v_add_co_ci_u32_e64 v23, null, s13, v23, s3
	global_store_short v[22:23], v20, off
	s_or_b32 exec_lo, exec_lo, s4
	s_and_saveexec_b32 s4, s0
	s_cbranch_execz .LBB142_44
.LBB142_76:
	v_add_nc_u32_e32 v22, v21, v12
	v_mov_b32_e32 v23, 0
	v_lshlrev_b64 v[22:23], 1, v[22:23]
	s_waitcnt lgkmcnt(0)
	v_add_co_u32 v22, s3, s12, v22
	v_add_co_ci_u32_e64 v23, null, s13, v23, s3
	global_store_short v[22:23], v19, off
	s_or_b32 exec_lo, exec_lo, s4
	s_and_saveexec_b32 s4, s1
	s_cbranch_execz .LBB142_45
.LBB142_77:
	v_add_nc_u32_e32 v19, v21, v13
	v_mov_b32_e32 v20, 0
	v_lshlrev_b64 v[19:20], 1, v[19:20]
	s_waitcnt lgkmcnt(0)
	v_add_co_u32 v19, s3, s12, v19
	v_add_co_ci_u32_e64 v20, null, s13, v20, s3
	global_store_short v[19:20], v18, off
	s_or_b32 exec_lo, exec_lo, s4
	s_and_saveexec_b32 s4, s2
	s_cbranch_execnz .LBB142_46
	s_branch .LBB142_47
.LBB142_78:
	v_add_nc_u32_e32 v18, v17, v0
	v_mov_b32_e32 v19, 0
	v_lshlrev_b64 v[18:19], 1, v[18:19]
	s_waitcnt lgkmcnt(0)
	v_add_co_u32 v18, s3, s12, v18
	v_add_co_ci_u32_e64 v19, null, s13, v19, s3
	global_store_short v[18:19], v16, off
	s_or_b32 exec_lo, exec_lo, s4
	s_and_saveexec_b32 s4, s0
	s_cbranch_execz .LBB142_50
.LBB142_79:
	v_add_nc_u32_e32 v18, v17, v12
	v_mov_b32_e32 v19, 0
	v_lshlrev_b64 v[18:19], 1, v[18:19]
	s_waitcnt lgkmcnt(0)
	v_add_co_u32 v18, s3, s12, v18
	v_add_co_ci_u32_e64 v19, null, s13, v19, s3
	global_store_short v[18:19], v15, off
	s_or_b32 exec_lo, exec_lo, s4
	s_and_saveexec_b32 s4, s1
	s_cbranch_execz .LBB142_51
.LBB142_80:
	v_add_nc_u32_e32 v15, v17, v13
	v_mov_b32_e32 v16, 0
	v_lshlrev_b64 v[15:16], 1, v[15:16]
	s_waitcnt lgkmcnt(0)
	v_add_co_u32 v15, s3, s12, v15
	v_add_co_ci_u32_e64 v16, null, s13, v16, s3
	global_store_short v[15:16], v11, off
	s_or_b32 exec_lo, exec_lo, s4
	s_and_saveexec_b32 s4, s2
	s_cbranch_execnz .LBB142_52
	s_branch .LBB142_53
.LBB142_81:
	v_add_nc_u32_e32 v15, v10, v0
	v_mov_b32_e32 v16, 0
	v_lshlrev_b64 v[15:16], 1, v[15:16]
	s_waitcnt lgkmcnt(0)
	v_add_co_u32 v15, s3, s12, v15
	v_add_co_ci_u32_e64 v16, null, s13, v16, s3
	global_store_short v[15:16], v9, off
	s_or_b32 exec_lo, exec_lo, s4
	s_and_saveexec_b32 s4, s0
	s_cbranch_execz .LBB142_56
.LBB142_82:
	v_add_nc_u32_e32 v15, v10, v12
	v_mov_b32_e32 v16, 0
	v_lshlrev_b64 v[15:16], 1, v[15:16]
	s_waitcnt lgkmcnt(0)
	v_add_co_u32 v15, s3, s12, v15
	v_add_co_ci_u32_e64 v16, null, s13, v16, s3
	global_store_short v[15:16], v8, off
	s_or_b32 exec_lo, exec_lo, s4
	s_and_saveexec_b32 s4, s1
	s_cbranch_execz .LBB142_57
.LBB142_83:
	v_add_nc_u32_e32 v8, v10, v13
	v_mov_b32_e32 v9, 0
	v_lshlrev_b64 v[8:9], 1, v[8:9]
	s_waitcnt lgkmcnt(0)
	v_add_co_u32 v8, s3, s12, v8
	v_add_co_ci_u32_e64 v9, null, s13, v9, s3
	global_store_short v[8:9], v7, off
	s_or_b32 exec_lo, exec_lo, s4
	s_and_saveexec_b32 s4, s2
	s_cbranch_execnz .LBB142_58
	s_branch .LBB142_59
.LBB142_84:
	v_add_nc_u32_e32 v6, v1, v0
	v_mov_b32_e32 v7, 0
	v_lshlrev_b64 v[6:7], 1, v[6:7]
	s_waitcnt lgkmcnt(0)
	v_add_co_u32 v6, vcc_lo, s12, v6
	v_add_co_ci_u32_e64 v7, null, s13, v7, vcc_lo
	global_store_short v[6:7], v5, off
	s_or_b32 exec_lo, exec_lo, s3
	s_and_saveexec_b32 s3, s0
	s_cbranch_execz .LBB142_62
.LBB142_85:
	v_add_nc_u32_e32 v5, v1, v12
	v_mov_b32_e32 v6, 0
	v_lshlrev_b64 v[5:6], 1, v[5:6]
	s_waitcnt lgkmcnt(0)
	v_add_co_u32 v5, vcc_lo, s12, v5
	v_add_co_ci_u32_e64 v6, null, s13, v6, vcc_lo
	global_store_short v[5:6], v4, off
	s_or_b32 exec_lo, exec_lo, s3
	s_and_saveexec_b32 s0, s1
	s_cbranch_execz .LBB142_63
.LBB142_86:
	v_add_nc_u32_e32 v4, v1, v13
	v_mov_b32_e32 v5, 0
	v_lshlrev_b64 v[4:5], 1, v[4:5]
	s_waitcnt lgkmcnt(0)
	v_add_co_u32 v4, vcc_lo, s12, v4
	v_add_co_ci_u32_e64 v5, null, s13, v5, vcc_lo
	global_store_short v[4:5], v3, off
	s_or_b32 exec_lo, exec_lo, s0
	s_and_b32 exec_lo, exec_lo, s2
	s_cbranch_execnz .LBB142_64
	s_branch .LBB142_65
	.section	.rodata,"a",@progbits
	.p2align	6, 0x0
	.amdhsa_kernel _ZL12mul_mat_q5_0IN3c104HalfELb1EEvPKvS3_PT_iiiii
		.amdhsa_group_segment_fixed_size 46720
		.amdhsa_private_segment_fixed_size 0
		.amdhsa_kernarg_size 44
		.amdhsa_user_sgpr_count 6
		.amdhsa_user_sgpr_private_segment_buffer 1
		.amdhsa_user_sgpr_dispatch_ptr 0
		.amdhsa_user_sgpr_queue_ptr 0
		.amdhsa_user_sgpr_kernarg_segment_ptr 1
		.amdhsa_user_sgpr_dispatch_id 0
		.amdhsa_user_sgpr_flat_scratch_init 0
		.amdhsa_user_sgpr_private_segment_size 0
		.amdhsa_wavefront_size32 1
		.amdhsa_uses_dynamic_stack 0
		.amdhsa_system_sgpr_private_segment_wavefront_offset 0
		.amdhsa_system_sgpr_workgroup_id_x 1
		.amdhsa_system_sgpr_workgroup_id_y 1
		.amdhsa_system_sgpr_workgroup_id_z 0
		.amdhsa_system_sgpr_workgroup_info 0
		.amdhsa_system_vgpr_workitem_id 1
		.amdhsa_next_free_vgpr 200
		.amdhsa_next_free_sgpr 15
		.amdhsa_reserve_vcc 1
		.amdhsa_reserve_flat_scratch 0
		.amdhsa_float_round_mode_32 0
		.amdhsa_float_round_mode_16_64 0
		.amdhsa_float_denorm_mode_32 3
		.amdhsa_float_denorm_mode_16_64 3
		.amdhsa_dx10_clamp 1
		.amdhsa_ieee_mode 1
		.amdhsa_fp16_overflow 0
		.amdhsa_workgroup_processor_mode 1
		.amdhsa_memory_ordered 1
		.amdhsa_forward_progress 1
		.amdhsa_shared_vgpr_count 0
		.amdhsa_exception_fp_ieee_invalid_op 0
		.amdhsa_exception_fp_denorm_src 0
		.amdhsa_exception_fp_ieee_div_zero 0
		.amdhsa_exception_fp_ieee_overflow 0
		.amdhsa_exception_fp_ieee_underflow 0
		.amdhsa_exception_fp_ieee_inexact 0
		.amdhsa_exception_int_div_zero 0
	.end_amdhsa_kernel
	.section	.text._ZL12mul_mat_q5_0IN3c104HalfELb1EEvPKvS3_PT_iiiii,"axG",@progbits,_ZL12mul_mat_q5_0IN3c104HalfELb1EEvPKvS3_PT_iiiii,comdat
.Lfunc_end142:
	.size	_ZL12mul_mat_q5_0IN3c104HalfELb1EEvPKvS3_PT_iiiii, .Lfunc_end142-_ZL12mul_mat_q5_0IN3c104HalfELb1EEvPKvS3_PT_iiiii
                                        ; -- End function
	.set _ZL12mul_mat_q5_0IN3c104HalfELb1EEvPKvS3_PT_iiiii.num_vgpr, 200
	.set _ZL12mul_mat_q5_0IN3c104HalfELb1EEvPKvS3_PT_iiiii.num_agpr, 0
	.set _ZL12mul_mat_q5_0IN3c104HalfELb1EEvPKvS3_PT_iiiii.numbered_sgpr, 15
	.set _ZL12mul_mat_q5_0IN3c104HalfELb1EEvPKvS3_PT_iiiii.num_named_barrier, 0
	.set _ZL12mul_mat_q5_0IN3c104HalfELb1EEvPKvS3_PT_iiiii.private_seg_size, 0
	.set _ZL12mul_mat_q5_0IN3c104HalfELb1EEvPKvS3_PT_iiiii.uses_vcc, 1
	.set _ZL12mul_mat_q5_0IN3c104HalfELb1EEvPKvS3_PT_iiiii.uses_flat_scratch, 0
	.set _ZL12mul_mat_q5_0IN3c104HalfELb1EEvPKvS3_PT_iiiii.has_dyn_sized_stack, 0
	.set _ZL12mul_mat_q5_0IN3c104HalfELb1EEvPKvS3_PT_iiiii.has_recursion, 0
	.set _ZL12mul_mat_q5_0IN3c104HalfELb1EEvPKvS3_PT_iiiii.has_indirect_call, 0
	.section	.AMDGPU.csdata,"",@progbits
; Kernel info:
; codeLenInByte = 16376
; TotalNumSgprs: 17
; NumVgprs: 200
; ScratchSize: 0
; MemoryBound: 0
; FloatMode: 240
; IeeeMode: 1
; LDSByteSize: 46720 bytes/workgroup (compile time only)
; SGPRBlocks: 0
; VGPRBlocks: 24
; NumSGPRsForWavesPerEU: 17
; NumVGPRsForWavesPerEU: 200
; Occupancy: 4
; WaveLimiterHint : 0
; COMPUTE_PGM_RSRC2:SCRATCH_EN: 0
; COMPUTE_PGM_RSRC2:USER_SGPR: 6
; COMPUTE_PGM_RSRC2:TRAP_HANDLER: 0
; COMPUTE_PGM_RSRC2:TGID_X_EN: 1
; COMPUTE_PGM_RSRC2:TGID_Y_EN: 1
; COMPUTE_PGM_RSRC2:TGID_Z_EN: 0
; COMPUTE_PGM_RSRC2:TIDIG_COMP_CNT: 1
	.section	.text._ZL12mul_mat_q5_1IN3c104HalfELb0EEvPKvS3_PT_iiiii,"axG",@progbits,_ZL12mul_mat_q5_1IN3c104HalfELb0EEvPKvS3_PT_iiiii,comdat
	.globl	_ZL12mul_mat_q5_1IN3c104HalfELb0EEvPKvS3_PT_iiiii ; -- Begin function _ZL12mul_mat_q5_1IN3c104HalfELb0EEvPKvS3_PT_iiiii
	.p2align	8
	.type	_ZL12mul_mat_q5_1IN3c104HalfELb0EEvPKvS3_PT_iiiii,@function
_ZL12mul_mat_q5_1IN3c104HalfELb0EEvPKvS3_PT_iiiii: ; @_ZL12mul_mat_q5_1IN3c104HalfELb0EEvPKvS3_PT_iiiii
; %bb.0:
	s_clause 0x1
	s_load_dword s14, s[4:5], 0x18
	s_load_dwordx4 s[8:11], s[4:5], 0x20
	s_lshl_b32 s7, s7, 6
	v_add_nc_u32_e32 v51, s7, v1
	s_waitcnt lgkmcnt(0)
	s_cmp_gt_i32 s14, 31
	s_cbranch_scc1 .LBB143_2
; %bb.1:
	v_add_nc_u32_e32 v34, s7, v1
	s_mov_b32 s0, 0
	s_branch .LBB143_3
.LBB143_2:
	s_mov_b32 s0, -1
                                        ; implicit-def: $vgpr34
.LBB143_3:
	s_load_dwordx2 s[12:13], s[4:5], 0x10
	v_mov_b32_e32 v2, 0
	v_mov_b32_e32 v6, 0
	;; [unrolled: 1-line block ×32, first 2 shown]
	s_andn2_b32 vcc_lo, exec_lo, s0
	s_lshl_b32 s6, s6, 7
	s_cbranch_vccnz .LBB143_14
; %bb.4:
	s_load_dwordx4 s[0:3], s[4:5], 0x0
	s_ashr_i32 s4, s14, 31
	s_ashr_i32 s5, s9, 31
	s_lshr_b32 s4, s4, 27
	s_lshr_b32 s5, s5, 27
	s_add_i32 s11, s14, s4
	s_add_i32 s5, s9, s5
	s_ashr_i32 s4, s11, 5
	v_lshlrev_b32_e32 v5, 3, v0
	s_mul_i32 s9, s4, s6
	s_ashr_i32 s14, s5, 5
	s_mul_i32 s5, s9, 24
	v_add_nc_u32_e32 v6, 8, v51
	v_add_nc_u32_e32 v7, 16, v51
	;; [unrolled: 1-line block ×6, first 2 shown]
	s_mul_hi_i32 s9, s9, 24
	v_mul_lo_u32 v56, s4, v1
	s_waitcnt lgkmcnt(0)
	s_add_u32 s5, s0, s5
	s_addc_u32 s9, s1, s9
	s_add_i32 s1, s8, -1
	v_cvt_f64_u32_e32 v[3:4], v51
	v_add_nc_u32_e32 v17, 56, v51
	v_mad_u32_u24 v61, 0x104, v1, v5
	v_cvt_f64_u32_e32 v[5:6], v6
	v_cvt_f64_u32_e32 v[7:8], v7
	v_cvt_f64_u32_e32 v[9:10], v9
	v_cvt_f64_u32_e32 v[11:12], v11
	v_cvt_f64_u32_e32 v[13:14], v13
	v_cvt_f64_u32_e32 v[15:16], v15
	v_cvt_f64_i32_e32 v[19:20], s1
	s_lshl_b32 s0, s4, 3
	v_cvt_f64_u32_e32 v[17:18], v17
	v_add_nc_u32_e32 v57, s0, v56
	v_lshrrev_b32_e32 v52, 2, v0
	v_lshrrev_b32_e32 v55, 3, v0
	v_and_b32_e32 v54, 7, v0
	v_and_b32_e32 v2, 3, v0
	v_add_nc_u32_e32 v58, s0, v57
	s_andn2_b32 s11, s11, 31
	v_lshl_add_u32 v21, v1, 2, v55
	v_lshlrev_b32_e32 v22, 2, v54
	v_lshlrev_b32_e32 v59, 2, v2
	v_add_nc_u32_e32 v60, s0, v58
	v_mov_b32_e32 v53, 0
	v_mul_lo_u32 v83, s4, v21
	v_and_b32_e32 v23, 0x7fc, v21
	v_lshlrev_b32_e32 v24, 5, v21
	v_add_nc_u32_e32 v62, s0, v60
	v_add_nc_u32_e32 v25, 32, v21
	;; [unrolled: 1-line block ×4, first 2 shown]
	v_min_f64 v[3:4], v[3:4], v[19:20]
	v_min_f64 v[5:6], v[5:6], v[19:20]
	;; [unrolled: 1-line block ×7, first 2 shown]
	v_add_nc_u32_e32 v63, s0, v62
	v_min_f64 v[17:18], v[17:18], v[19:20]
	v_lshl_add_u32 v20, v1, 3, v52
	v_and_b32_e32 v19, 0xffc, v21
	v_and_b32_e32 v27, 0xffc, v25
	v_add_nc_u32_e32 v66, s0, v63
	v_and_b32_e32 v28, 0xffc, v26
	v_add_nc_u32_e32 v88, s11, v83
	v_add3_u32 v23, v23, v22, 0xa200
	v_add3_u32 v27, v27, v22, 0xa200
	v_add_nc_u32_e32 v70, s0, v66
	v_lshlrev_b32_e32 v25, 5, v25
	v_add_nc_u32_e32 v90, s11, v88
	v_add3_u32 v28, v28, v22, 0xa200
	v_lshlrev_b32_e32 v26, 5, v26
	v_add_nc_u32_e32 v74, s0, v70
	v_cvt_i32_f64_e32 v3, v[3:4]
	v_cvt_i32_f64_e32 v4, v[5:6]
	;; [unrolled: 1-line block ×7, first 2 shown]
	v_add_nc_u32_e32 v79, s0, v74
	v_cvt_i32_f64_e32 v16, v[17:18]
	v_and_b32_e32 v7, 63, v20
	v_add3_u32 v5, v19, v22, 0xa200
	v_lshlrev_b32_e32 v11, 2, v0
	v_add_nc_u32_e32 v84, s0, v79
	v_and_b32_e32 v15, 31, v0
	v_or_b32_e32 v13, s7, v7
	v_lshl_or_b32 v7, v7, 4, v59
	v_lshlrev_b32_e32 v17, 7, v1
	v_add_nc_u32_e32 v85, s0, v84
	v_and_b32_e32 v20, 0xfc, v0
	v_min_i32_e32 v13, s1, v13
	v_and_b32_e32 v11, 28, v11
	v_lshlrev_b32_e32 v9, 5, v21
	v_add_nc_u32_e32 v86, s0, v85
	v_lshl_or_b32 v15, v15, 2, 0x8200
	v_mad_u64_u32 v[18:19], null, v13, s14, v[2:3]
	v_add_nc_u32_e32 v13, 64, v0
	v_mul_lo_u32 v99, s14, v12
	v_mul_lo_u32 v100, s14, v14
	v_add_nc_u32_e32 v12, 0x60, v0
	v_add_nc_u32_e32 v14, 32, v0
	;; [unrolled: 1-line block ×3, first 2 shown]
	v_mul_lo_u32 v101, s14, v16
	v_lshlrev_b32_e32 v16, 5, v0
	v_and_b32_e32 v12, 0x1fc, v12
	v_and_b32_e32 v13, 0x1fc, v13
	;; [unrolled: 1-line block ×3, first 2 shown]
	v_add_nc_u32_e32 v89, s0, v87
	v_add_nc_u32_e32 v93, 0xb280, v7
	v_mul_lo_u32 v94, s14, v3
	v_mul_lo_u32 v95, s14, v4
	v_add_nc_u32_e32 v2, 0x400, v17
	v_mul_lo_u32 v96, s14, v6
	v_add_nc_u32_e32 v3, 0x800, v17
	;; [unrolled: 2-line block ×4, first 2 shown]
	v_add_nc_u32_e32 v7, 0x1400, v17
	v_add_nc_u32_e32 v8, 0x1800, v17
	;; [unrolled: 1-line block ×3, first 2 shown]
	v_lshrrev_b32_e32 v103, 3, v14
	v_add_nc_u32_e32 v12, v16, v12
	v_add_nc_u32_e32 v13, v16, v13
	;; [unrolled: 1-line block ×5, first 2 shown]
	v_add_co_u32 v19, s0, s2, v11
	v_add_co_ci_u32_e64 v20, null, s3, 0, s0
	s_movk_i32 s0, 0x80
	v_add_nc_u32_e32 v64, 0x820, v61
	v_add_nc_u32_e32 v65, 0x1040, v61
	;; [unrolled: 1-line block ×16, first 2 shown]
	v_mul_u32_u24_e32 v102, 0x104, v0
	v_add_nc_u32_e32 v104, 0xae00, v12
	v_add_nc_u32_e32 v105, 0xaa00, v13
	;; [unrolled: 1-line block ×4, first 2 shown]
	v_lshl_add_u32 v109, v1, 4, 0xb280
	v_add_nc_u32_e32 v110, 0x8200, v17
	v_add_nc_u32_e32 v111, 0xae10, v12
	v_add_nc_u32_e32 v113, 0xaa10, v13
	v_add_nc_u32_e32 v114, 0xa610, v14
	v_add_nc_u32_e32 v117, 0xa210, v16
	v_mad_u32_u24 v118, 0x104, v0, s0
	v_add_nc_u32_e32 v121, v23, v24
	v_add_nc_u32_e32 v122, v27, v25
	v_add_nc_u32_e32 v124, v28, v26
	v_add_nc_u32_e32 v126, v5, v9
	v_add_nc_u32_e32 v128, v15, v17
	v_add_nc_u32_e32 v130, v15, v2
	v_add_nc_u32_e32 v132, v15, v3
	v_add_nc_u32_e32 v134, v15, v4
	v_add_nc_u32_e32 v136, v15, v6
	v_add_nc_u32_e32 v138, v15, v7
	v_add_nc_u32_e32 v140, v15, v8
	v_add_nc_u32_e32 v142, v15, v10
	v_mov_b32_e32 v135, 0
	v_mov_b32_e32 v129, 0
	;; [unrolled: 1-line block ×31, first 2 shown]
	s_add_i32 s11, s4, 3
	s_mov_b32 s14, 0
	s_branch .LBB143_6
.LBB143_5:                              ;   in Loop: Header=BB143_6 Depth=1
	s_add_i32 s14, s14, 8
	s_add_i32 s11, s11, -8
	s_cmp_ge_i32 s14, s4
	s_cbranch_scc1 .LBB143_13
.LBB143_6:                              ; =>This Loop Header: Depth=1
                                        ;     Child Loop BB143_8 Depth 2
                                        ;     Child Loop BB143_11 Depth 2
	s_mul_i32 s0, s14, 24
	s_mul_hi_u32 s1, s14, 24
	s_add_u32 s0, s5, s0
	s_addc_u32 s1, s9, s1
	s_cmp_gt_u32 s11, 3
	v_mad_u64_u32 v[2:3], null, v52, 24, s[0:1]
	v_mad_u64_u32 v[4:5], null, v56, 24, v[2:3]
	;; [unrolled: 1-line block ×5, first 2 shown]
	v_add_co_u32 v12, vcc_lo, v4, v59
	v_add_co_ci_u32_e64 v13, null, 0, v5, vcc_lo
	v_add_co_u32 v14, vcc_lo, v6, v59
	v_add_co_ci_u32_e64 v15, null, 0, v7, vcc_lo
	;; [unrolled: 2-line block ×4, first 2 shown]
	v_mad_u64_u32 v[23:24], null, v62, 24, v[2:3]
	s_clause 0x7
	global_load_dword v31, v[12:13], off offset:8
	global_load_dword v32, v[14:15], off offset:8
	;; [unrolled: 1-line block ×8, first 2 shown]
	v_mad_u64_u32 v[4:5], null, v63, 24, v[2:3]
	v_mad_u64_u32 v[8:9], null, v66, 24, v[2:3]
	;; [unrolled: 1-line block ×3, first 2 shown]
	v_add_co_u32 v6, vcc_lo, v23, v59
	v_add_co_ci_u32_e64 v7, null, 0, v24, vcc_lo
	v_add_co_u32 v12, vcc_lo, v4, v59
	v_add_co_ci_u32_e64 v13, null, 0, v5, vcc_lo
	v_add_co_u32 v14, vcc_lo, v8, v59
	v_mad_u64_u32 v[21:22], null, v74, 24, v[2:3]
	v_add_co_ci_u32_e64 v15, null, 0, v9, vcc_lo
	v_add_co_u32 v16, vcc_lo, v10, v59
	v_add_co_ci_u32_e64 v17, null, 0, v11, vcc_lo
	v_mad_u64_u32 v[29:30], null, v85, 24, v[2:3]
	s_clause 0x7
	global_load_dword v39, v[10:11], off offset:4
	global_load_dword v40, v[8:9], off offset:4
	;; [unrolled: 1-line block ×8, first 2 shown]
	v_mad_u64_u32 v[27:28], null, v84, 24, v[2:3]
	v_mad_u64_u32 v[25:26], null, v79, 24, v[2:3]
	v_add_co_u32 v4, vcc_lo, v21, v59
	v_add_co_ci_u32_e64 v5, null, 0, v22, vcc_lo
	s_clause 0x4
	global_load_dword v17, v[29:30], off offset:4
	global_load_dword v44, v[27:28], off offset:4
	;; [unrolled: 1-line block ×5, first 2 shown]
	v_mad_u64_u32 v[8:9], null, v91, 24, v[2:3]
	v_add_co_u32 v4, vcc_lo, v25, v59
	v_add_co_ci_u32_e64 v5, null, 0, v26, vcc_lo
	v_mad_u64_u32 v[6:7], null, v87, 24, v[2:3]
	v_mad_u64_u32 v[10:11], null, v54, 24, s[0:1]
	global_load_dword v25, v[4:5], off offset:8
	v_add_co_u32 v4, vcc_lo, v27, v59
	v_add_co_ci_u32_e64 v5, null, 0, v28, vcc_lo
	v_mad_u64_u32 v[14:15], null, v90, 24, v[10:11]
	global_load_dword v26, v[4:5], off offset:8
	v_add_co_u32 v4, vcc_lo, v29, v59
	v_add_co_ci_u32_e64 v5, null, 0, v30, vcc_lo
	global_load_dword v27, v[4:5], off offset:8
	v_mad_u64_u32 v[4:5], null, v86, 24, v[2:3]
	v_mad_u64_u32 v[2:3], null, v89, 24, v[2:3]
	v_add_co_u32 v12, vcc_lo, v4, v59
	v_add_co_ci_u32_e64 v13, null, 0, v5, vcc_lo
	s_clause 0x4
	global_load_dword v28, v[8:9], off offset:4
	global_load_dword v29, v[2:3], off offset:4
	;; [unrolled: 1-line block ×5, first 2 shown]
	v_add_co_u32 v6, vcc_lo, v6, v59
	v_add_co_ci_u32_e64 v7, null, 0, v7, vcc_lo
	v_add_co_u32 v2, vcc_lo, v2, v59
	v_mad_u64_u32 v[4:5], null, v83, 24, v[10:11]
	v_add_co_ci_u32_e64 v3, null, 0, v3, vcc_lo
	v_add_co_u32 v8, vcc_lo, v8, v59
	v_mad_u64_u32 v[12:13], null, v88, 24, v[10:11]
	v_add_co_ci_u32_e64 v9, null, 0, v9, vcc_lo
	v_mad_u64_u32 v[10:11], null, v92, 24, v[10:11]
	s_clause 0x6
	global_load_dword v6, v[6:7], off offset:8
	global_load_dword v2, v[2:3], off offset:8
	;; [unrolled: 1-line block ×3, first 2 shown]
	global_load_dword v4, v[4:5], off
	global_load_dword v5, v[12:13], off
	;; [unrolled: 1-line block ×4, first 2 shown]
	s_waitcnt vmcnt(35)
	v_and_b32_e32 v10, 0xf0f0f0f, v31
	v_lshrrev_b32_e32 v11, 4, v31
	s_waitcnt vmcnt(34)
	v_and_b32_e32 v13, 0xf0f0f0f, v32
	v_lshrrev_b32_e32 v14, 4, v32
	s_waitcnt vmcnt(33)
	v_and_b32_e32 v31, 0xf0f0f0f, v33
	s_waitcnt vmcnt(30)
	v_ashrrev_i32_e32 v15, v59, v36
	s_waitcnt vmcnt(29)
	v_ashrrev_i32_e32 v12, v59, v37
	;; [unrolled: 2-line block ×3, first 2 shown]
	v_lshrrev_b32_e32 v32, 4, v33
	v_ashrrev_i32_e32 v33, v59, v35
	v_lshlrev_b32_e32 v171, 4, v15
	v_lshlrev_b32_e32 v164, 4, v12
	;; [unrolled: 1-line block ×4, first 2 shown]
	v_lshrrev_b32_e32 v161, 12, v9
	v_lshrrev_b32_e32 v162, 5, v9
	v_lshlrev_b32_e32 v165, 11, v12
	v_lshrrev_b32_e32 v168, 12, v12
	v_lshrrev_b32_e32 v169, 5, v12
	v_lshlrev_b32_e32 v172, 11, v15
	v_lshrrev_b32_e32 v175, 12, v15
	v_lshrrev_b32_e32 v176, 5, v15
	v_and_b32_e32 v35, 0xf0f0f0f, v34
	v_lshrrev_b32_e32 v34, 4, v34
	v_lshlrev_b32_e32 v178, 4, v33
	v_lshlrev_b32_e32 v179, 11, v33
	v_lshrrev_b32_e32 v182, 12, v33
	v_lshrrev_b32_e32 v183, 5, v33
	s_waitcnt vmcnt(26)
	v_ashrrev_i32_e32 v40, v59, v40
	s_waitcnt vmcnt(25)
	v_ashrrev_i32_e32 v37, v59, v41
	;; [unrolled: 2-line block ×3, first 2 shown]
	s_waitcnt vmcnt(23)
	v_and_b32_e32 v36, 0xf0f0f0f, v24
	v_lshrrev_b32_e32 v24, 4, v24
	s_waitcnt vmcnt(22)
	v_and_b32_e32 v38, 0xf0f0f0f, v42
	v_lshrrev_b32_e32 v41, 4, v42
	v_lshlrev_b32_e32 v185, 4, v23
	v_lshlrev_b32_e32 v186, 11, v23
	v_lshrrev_b32_e32 v189, 12, v23
	v_lshrrev_b32_e32 v190, 5, v23
	s_waitcnt vmcnt(21)
	v_and_b32_e32 v42, 0xf0f0f0f, v43
	v_lshrrev_b32_e32 v43, 4, v43
	v_lshlrev_b32_e32 v159, 18, v9
	v_lshlrev_b32_e32 v160, 25, v9
	v_and_b32_e32 v11, 0xf0f0f0f, v11
	v_lshlrev_b32_e32 v163, 2, v9
	v_lshlrev_b32_e32 v9, 9, v9
	;; [unrolled: 1-line block ×4, first 2 shown]
	v_lshrrev_b32_e32 v196, 12, v37
	v_lshrrev_b32_e32 v197, 5, v37
	v_lshlrev_b32_e32 v199, 4, v40
	v_lshlrev_b32_e32 v200, 11, v40
	v_lshrrev_b32_e32 v203, 12, v40
	v_lshrrev_b32_e32 v204, 5, v40
	v_and_b32_e32 v50, 16, v50
	v_and_b32_e32 v158, 0x1000, v158
	v_and_b32_e32 v161, 16, v161
	v_and_b32_e32 v162, 0x1000, v162
	v_lshlrev_b32_e32 v166, 18, v12
	v_lshlrev_b32_e32 v167, 25, v12
	v_and_b32_e32 v14, 0xf0f0f0f, v14
	v_lshlrev_b32_e32 v170, 2, v12
	v_lshlrev_b32_e32 v12, 9, v12
	v_and_b32_e32 v164, 16, v164
	v_and_b32_e32 v165, 0x1000, v165
	v_and_b32_e32 v168, 16, v168
	v_and_b32_e32 v169, 0x1000, v169
	v_lshlrev_b32_e32 v173, 18, v15
	v_lshlrev_b32_e32 v174, 25, v15
	v_and_b32_e32 v32, 0xf0f0f0f, v32
	v_lshlrev_b32_e32 v177, 2, v15
	v_lshlrev_b32_e32 v15, 9, v15
	;; [unrolled: 9-line block ×4, first 2 shown]
	v_and_b32_e32 v185, 16, v185
	v_and_b32_e32 v186, 0x1000, v186
	;; [unrolled: 1-line block ×4, first 2 shown]
	v_ashrrev_i32_e32 v39, v59, v39
	s_waitcnt vmcnt(16)
	v_ashrrev_i32_e32 v21, v59, v21
	v_ashrrev_i32_e32 v45, v59, v45
	v_lshlrev_b32_e32 v194, 18, v37
	v_lshlrev_b32_e32 v195, 25, v37
	v_and_b32_e32 v41, 0xf0f0f0f, v41
	v_lshlrev_b32_e32 v198, 2, v37
	v_lshlrev_b32_e32 v37, 9, v37
	;; [unrolled: 1-line block ×4, first 2 shown]
	v_and_b32_e32 v43, 0xf0f0f0f, v43
	v_lshlrev_b32_e32 v205, 2, v40
	v_lshlrev_b32_e32 v40, 9, v40
	v_and_b32_e32 v159, 0x100000, v159
	v_and_b32_e32 v160, 0x10000000, v160
	;; [unrolled: 1-line block ×12, first 2 shown]
	v_or3_b32 v10, v50, v10, v158
	v_or3_b32 v11, v161, v11, v162
	v_and_b32_e32 v166, 0x100000, v166
	v_and_b32_e32 v167, 0x10000000, v167
	v_and_b32_e32 v170, 0x100000, v170
	v_and_b32_e32 v12, 0x10000000, v12
	v_or3_b32 v13, v164, v13, v165
	v_or3_b32 v14, v168, v14, v169
	v_and_b32_e32 v173, 0x100000, v173
	v_and_b32_e32 v174, 0x10000000, v174
	v_and_b32_e32 v177, 0x100000, v177
	v_and_b32_e32 v15, 0x10000000, v15
	;; [unrolled: 6-line block ×4, first 2 shown]
	v_or3_b32 v36, v185, v36, v186
	v_or3_b32 v24, v189, v24, v190
	v_and_b32_e32 v48, 0xf0f0f0f, v16
	v_lshrrev_b32_e32 v16, 4, v16
	s_waitcnt vmcnt(15)
	v_and_b32_e32 v49, 0xf0f0f0f, v22
	v_lshrrev_b32_e32 v22, 4, v22
	v_lshlrev_b32_e32 v206, 4, v39
	v_lshlrev_b32_e32 v207, 11, v39
	v_lshrrev_b32_e32 v210, 12, v39
	v_lshrrev_b32_e32 v211, 5, v39
	;; [unrolled: 1-line block ×4, first 2 shown]
	v_lshlrev_b32_e32 v220, 4, v45
	v_lshlrev_b32_e32 v221, 11, v45
	v_and_b32_e32 v194, 0x100000, v194
	v_and_b32_e32 v195, 0x10000000, v195
	;; [unrolled: 1-line block ×8, first 2 shown]
	v_or3_b32 v38, v192, v38, v193
	v_or3_b32 v41, v196, v41, v197
	;; [unrolled: 1-line block ×14, first 2 shown]
	v_lshlrev_b32_e32 v208, 18, v39
	v_lshlrev_b32_e32 v209, 25, v39
	v_and_b32_e32 v16, 0xf0f0f0f, v16
	v_lshlrev_b32_e32 v212, 2, v39
	v_lshlrev_b32_e32 v39, 9, v39
	;; [unrolled: 1-line block ×6, first 2 shown]
	v_and_b32_e32 v22, 0xf0f0f0f, v22
	v_lshlrev_b32_e32 v219, 2, v21
	v_lshlrev_b32_e32 v21, 9, v21
	v_and_b32_e32 v206, 16, v206
	v_and_b32_e32 v207, 0x1000, v207
	;; [unrolled: 1-line block ×6, first 2 shown]
	v_or3_b32 v24, v38, v194, v195
	v_or3_b32 v33, v41, v198, v37
	;; [unrolled: 1-line block ×4, first 2 shown]
	ds_write2_b32 v61, v10, v9 offset1:1
	ds_write2_b32 v64, v11, v12 offset1:1
	;; [unrolled: 1-line block ×7, first 2 shown]
	s_waitcnt vmcnt(14)
	v_and_b32_e32 v9, 0xf0f0f0f, v25
	v_and_b32_e32 v10, 16, v220
	;; [unrolled: 1-line block ×9, first 2 shown]
	v_or3_b32 v48, v206, v48, v207
	v_or3_b32 v16, v210, v16, v211
	;; [unrolled: 1-line block ×4, first 2 shown]
	v_lshrrev_b32_e32 v10, 4, v25
	v_lshrrev_b32_e32 v11, 12, v45
	;; [unrolled: 1-line block ×3, first 2 shown]
	v_and_b32_e32 v213, 16, v213
	v_and_b32_e32 v214, 0x1000, v214
	v_or3_b32 v36, v48, v208, v209
	v_or3_b32 v16, v16, v212, v39
	;; [unrolled: 1-line block ×3, first 2 shown]
	v_and_b32_e32 v10, 0xf0f0f0f, v10
	v_and_b32_e32 v11, 16, v11
	;; [unrolled: 1-line block ×3, first 2 shown]
	v_ashrrev_i32_e32 v21, v59, v44
	v_and_b32_e32 v215, 0x100000, v215
	v_and_b32_e32 v216, 0x10000000, v216
	v_or3_b32 v49, v213, v49, v214
	ds_write2_b32 v72, v36, v16 offset1:1
	v_lshlrev_b32_e32 v14, 18, v45
	v_lshlrev_b32_e32 v16, 25, v45
	v_or3_b32 v10, v11, v10, v15
	v_lshlrev_b32_e32 v11, 4, v21
	v_lshlrev_b32_e32 v15, 11, v21
	v_or3_b32 v12, v49, v215, v216
	v_and_b32_e32 v14, 0x100000, v14
	v_and_b32_e32 v16, 0x10000000, v16
	s_waitcnt vmcnt(13)
	v_and_b32_e32 v24, 0xf0f0f0f, v26
	v_and_b32_e32 v11, 16, v11
	;; [unrolled: 1-line block ×3, first 2 shown]
	v_lshlrev_b32_e32 v22, 2, v45
	v_lshlrev_b32_e32 v23, 9, v45
	ds_write2_b32 v73, v12, v13 offset1:1
	v_or3_b32 v9, v9, v14, v16
	v_or3_b32 v11, v11, v24, v15
	v_lshrrev_b32_e32 v13, 4, v26
	v_lshrrev_b32_e32 v14, 12, v21
	;; [unrolled: 1-line block ×3, first 2 shown]
	v_and_b32_e32 v22, 0x100000, v22
	v_and_b32_e32 v23, 0x10000000, v23
	;; [unrolled: 1-line block ×5, first 2 shown]
	v_ashrrev_i32_e32 v17, v59, v17
	v_or3_b32 v10, v10, v22, v23
	v_lshlrev_b32_e32 v12, 18, v21
	v_lshlrev_b32_e32 v16, 25, v21
	;; [unrolled: 1-line block ×4, first 2 shown]
	v_or3_b32 v13, v14, v13, v15
	v_lshlrev_b32_e32 v14, 4, v17
	v_lshlrev_b32_e32 v15, 11, v17
	v_and_b32_e32 v12, 0x100000, v12
	v_and_b32_e32 v16, 0x10000000, v16
	;; [unrolled: 1-line block ×4, first 2 shown]
	s_waitcnt vmcnt(12)
	v_and_b32_e32 v23, 0xf0f0f0f, v27
	v_and_b32_e32 v14, 16, v14
	;; [unrolled: 1-line block ×3, first 2 shown]
	ds_write2_b32 v75, v9, v10 offset1:1
	v_or3_b32 v9, v11, v12, v16
	v_or3_b32 v10, v13, v22, v21
	v_lshrrev_b32_e32 v13, 4, v27
	v_or3_b32 v12, v14, v23, v15
	v_lshrrev_b32_e32 v14, 12, v17
	v_lshrrev_b32_e32 v15, 5, v17
	s_waitcnt vmcnt(8)
	v_ashrrev_i32_e32 v21, v59, v46
	v_and_b32_e32 v13, 0xf0f0f0f, v13
	v_lshlrev_b32_e32 v11, 18, v17
	v_and_b32_e32 v14, 16, v14
	v_and_b32_e32 v15, 0x1000, v15
	v_lshlrev_b32_e32 v16, 25, v17
	v_lshlrev_b32_e32 v22, 2, v17
	;; [unrolled: 1-line block ×3, first 2 shown]
	v_and_b32_e32 v11, 0x100000, v11
	v_or3_b32 v13, v14, v13, v15
	v_lshlrev_b32_e32 v14, 4, v21
	v_lshlrev_b32_e32 v15, 11, v21
	v_and_b32_e32 v16, 0x10000000, v16
	v_and_b32_e32 v22, 0x100000, v22
	;; [unrolled: 1-line block ×3, first 2 shown]
	s_waitcnt vmcnt(7)
	v_and_b32_e32 v23, 0xf0f0f0f, v47
	v_and_b32_e32 v14, 16, v14
	;; [unrolled: 1-line block ×3, first 2 shown]
	ds_write2_b32 v76, v9, v10 offset1:1
	v_or3_b32 v9, v12, v11, v16
	v_or3_b32 v10, v13, v22, v17
	v_lshrrev_b32_e32 v13, 4, v47
	v_or3_b32 v12, v14, v23, v15
	v_lshrrev_b32_e32 v14, 12, v21
	v_lshrrev_b32_e32 v15, 5, v21
	v_ashrrev_i32_e32 v17, v59, v30
	v_and_b32_e32 v13, 0xf0f0f0f, v13
	v_lshlrev_b32_e32 v11, 18, v21
	v_and_b32_e32 v14, 16, v14
	v_and_b32_e32 v15, 0x1000, v15
	v_lshlrev_b32_e32 v16, 25, v21
	v_lshlrev_b32_e32 v22, 2, v21
	;; [unrolled: 1-line block ×3, first 2 shown]
	v_and_b32_e32 v11, 0x100000, v11
	v_or3_b32 v13, v14, v13, v15
	v_lshlrev_b32_e32 v14, 4, v17
	v_lshlrev_b32_e32 v15, 11, v17
	v_and_b32_e32 v16, 0x10000000, v16
	v_and_b32_e32 v22, 0x100000, v22
	;; [unrolled: 1-line block ×3, first 2 shown]
	s_waitcnt vmcnt(6)
	v_and_b32_e32 v23, 0xf0f0f0f, v6
	v_and_b32_e32 v14, 16, v14
	;; [unrolled: 1-line block ×3, first 2 shown]
	v_lshlrev_b32_e32 v24, 18, v17
	v_lshlrev_b32_e32 v25, 25, v17
	v_or3_b32 v11, v12, v11, v16
	v_or3_b32 v12, v13, v22, v21
	;; [unrolled: 1-line block ×3, first 2 shown]
	v_and_b32_e32 v14, 0x100000, v24
	v_and_b32_e32 v15, 0x10000000, v25
	v_lshrrev_b32_e32 v16, 12, v17
	v_lshrrev_b32_e32 v21, 5, v17
	v_ashrrev_i32_e32 v22, v59, v29
	v_lshrrev_b32_e32 v6, 4, v6
	v_or3_b32 v13, v13, v14, v15
	v_and_b32_e32 v14, 16, v16
	v_and_b32_e32 v15, 0x1000, v21
	v_lshlrev_b32_e32 v16, 4, v22
	v_lshlrev_b32_e32 v21, 11, v22
	s_waitcnt vmcnt(5)
	v_and_b32_e32 v24, 0xf0f0f0f, v2
	v_and_b32_e32 v6, 0xf0f0f0f, v6
	v_lshlrev_b32_e32 v23, 2, v17
	v_and_b32_e32 v16, 16, v16
	v_and_b32_e32 v21, 0x1000, v21
	v_lshrrev_b32_e32 v2, 4, v2
	v_or3_b32 v6, v14, v6, v15
	v_and_b32_e32 v14, 0x100000, v23
	v_lshrrev_b32_e32 v23, 5, v22
	v_or3_b32 v16, v16, v24, v21
	v_ashrrev_i32_e32 v24, v59, v28
	v_lshrrev_b32_e32 v21, 12, v22
	v_and_b32_e32 v2, 0xf0f0f0f, v2
	v_and_b32_e32 v23, 0x1000, v23
	s_waitcnt vmcnt(4)
	v_and_b32_e32 v29, 0xf0f0f0f, v3
	v_lshlrev_b32_e32 v26, 4, v24
	v_lshlrev_b32_e32 v27, 11, v24
	v_and_b32_e32 v21, 16, v21
	v_lshlrev_b32_e32 v17, 9, v17
	v_lshlrev_b32_e32 v25, 18, v22
	v_and_b32_e32 v26, 16, v26
	v_and_b32_e32 v27, 0x1000, v27
	v_lshlrev_b32_e32 v28, 2, v22
	v_or3_b32 v2, v21, v2, v23
	v_lshrrev_b32_e32 v3, 4, v3
	v_and_b32_e32 v15, 0x10000000, v17
	v_or3_b32 v23, v26, v29, v27
	v_lshrrev_b32_e32 v26, 12, v24
	v_lshrrev_b32_e32 v27, 5, v24
	v_and_b32_e32 v17, 0x100000, v25
	v_lshlrev_b32_e32 v25, 25, v22
	v_lshlrev_b32_e32 v22, 9, v22
	v_and_b32_e32 v21, 0x100000, v28
	v_lshlrev_b32_e32 v28, 18, v24
	v_lshlrev_b32_e32 v29, 25, v24
	v_and_b32_e32 v3, 0xf0f0f0f, v3
	v_and_b32_e32 v26, 16, v26
	;; [unrolled: 1-line block ×3, first 2 shown]
	v_lshlrev_b32_e32 v30, 2, v24
	v_lshlrev_b32_e32 v24, 9, v24
	v_and_b32_e32 v25, 0x10000000, v25
	v_and_b32_e32 v22, 0x10000000, v22
	;; [unrolled: 1-line block ×4, first 2 shown]
	v_or3_b32 v3, v26, v3, v27
	v_and_b32_e32 v26, 0x100000, v30
	v_and_b32_e32 v24, 0x10000000, v24
	v_or3_b32 v6, v6, v14, v15
	v_or3_b32 v14, v16, v17, v25
	;; [unrolled: 1-line block ×5, first 2 shown]
	ds_write2_b32 v77, v9, v10 offset1:1
	ds_write2_b32 v78, v11, v12 offset1:1
	;; [unrolled: 1-line block ×5, first 2 shown]
	s_waitcnt vmcnt(3)
	ds_write_b32 v121, v4
	s_waitcnt vmcnt(2)
	ds_write_b32 v122, v5
	;; [unrolled: 2-line block ×4, first 2 shown]
	s_cbranch_scc0 .LBB143_5
; %bb.7:                                ;   in Loop: Header=BB143_6 Depth=1
	v_add_nc_u32_e32 v14, s14, v55
	v_add_nc_u32_e32 v158, s14, v18
	v_mov_b32_e32 v159, v110
	v_mov_b32_e32 v160, v102
	;; [unrolled: 1-line block ×3, first 2 shown]
	v_add_nc_u32_e32 v2, v14, v94
	v_add_nc_u32_e32 v4, v14, v95
	;; [unrolled: 1-line block ×5, first 2 shown]
	v_mad_u64_u32 v[12:13], null, v158, 36, s[2:3]
	v_mad_i64_i32 v[2:3], null, v2, 36, v[19:20]
	v_add_nc_u32_e32 v15, v14, v99
	v_mad_i64_i32 v[4:5], null, v4, 36, v[19:20]
	v_add_nc_u32_e32 v16, v14, v100
	;; [unrolled: 2-line block ×3, first 2 shown]
	v_mad_i64_i32 v[8:9], null, v8, 36, v[19:20]
	v_mad_i64_i32 v[10:11], null, v10, 36, v[19:20]
	;; [unrolled: 1-line block ×5, first 2 shown]
	s_clause 0x8
	global_load_dword v12, v[12:13], off
	global_load_dword v2, v[2:3], off offset:4
	global_load_dword v3, v[4:5], off offset:4
	;; [unrolled: 1-line block ×8, first 2 shown]
	v_mov_b32_e32 v162, v107
	v_mov_b32_e32 v163, v106
	;; [unrolled: 1-line block ×4, first 2 shown]
	s_mov_b32 s0, -4
	s_waitcnt vmcnt(8)
	ds_write_b32 v93, v12
	s_waitcnt vmcnt(7)
	ds_write_b32 v128, v2
	;; [unrolled: 2-line block ×9, first 2 shown]
	s_waitcnt lgkmcnt(0)
	s_barrier
	buffer_gl0_inv
.LBB143_8:                              ;   Parent Loop BB143_6 Depth=1
                                        ; =>  This Inner Loop Header: Depth=2
	v_add_nc_u32_e32 v10, 0x2080, v160
	ds_read_b128 v[6:9], v159
	ds_read2_b32 v[21:22], v160 offset1:1
	ds_read_b128 v[2:5], v159 offset:16
	v_mov_b32_e32 v167, 0
	v_mov_b32_e32 v166, 0
	ds_read2_b32 v[23:24], v10 offset1:1
	v_add_nc_u32_e32 v10, 0x4100, v160
	v_mov_b32_e32 v168, 0
	v_mov_b32_e32 v169, 0
	;; [unrolled: 1-line block ×3, first 2 shown]
	ds_read2_b32 v[31:32], v160 offset0:2 offset1:3
	ds_read2_b32 v[25:26], v10 offset1:1
	v_add_nc_u32_e32 v10, 0x6180, v160
	v_mov_b32_e32 v171, 0
	v_mov_b32_e32 v172, 0
	ds_read2_b32 v[41:42], v160 offset0:4 offset1:5
	v_mov_b32_e32 v173, 0
	ds_read2_b32 v[33:34], v10 offset1:1
	v_mov_b32_e32 v174, 0
	v_mov_b32_e32 v196, 0
	;; [unrolled: 1-line block ×3, first 2 shown]
	s_waitcnt lgkmcnt(6)
	v_dot4c_i32_i8 v167, v21, v6
	s_add_i32 s0, s0, 4
	ds_read_b128 v[13:16], v159 offset:2048
	s_cmp_lt_u32 s0, 12
	s_waitcnt lgkmcnt(5)
	v_dot4c_i32_i8 v166, v23, v6
	v_dot4c_i32_i8 v167, v22, v2
	ds_read_b128 v[175:178], v159 offset:3072
	ds_read_b128 v[180:183], v159 offset:4112
	;; [unrolled: 1-line block ×3, first 2 shown]
	v_dot4c_i32_i8 v166, v24, v2
	s_waitcnt lgkmcnt(6)
	v_dot4c_i32_i8 v168, v25, v6
	v_dot4c_i32_i8 v167, v31, v7
	ds_read_b128 v[188:191], v159 offset:6160
	ds_read_b128 v[192:195], v159 offset:7184
	v_dot4c_i32_i8 v168, v26, v2
	s_waitcnt lgkmcnt(6)
	v_dot4c_i32_i8 v169, v33, v6
	v_dot4c_i32_i8 v167, v32, v3
	;; [unrolled: 1-line block ×3, first 2 shown]
	v_add_nc_u32_e32 v2, 0x2088, v160
	v_dot4c_i32_i8 v167, v41, v8
	s_waitcnt lgkmcnt(5)
	v_dot4c_i32_i8 v173, v33, v13
	s_waitcnt lgkmcnt(4)
	v_dot4c_i32_i8 v174, v33, v175
	ds_read2_b32 v[35:36], v2 offset1:1
	v_add_nc_u32_e32 v2, 0x4108, v160
	v_dot4c_i32_i8 v167, v42, v4
	ds_read2_b32 v[39:40], v2 offset1:1
	v_add_nc_u32_e32 v2, 0x6188, v160
	ds_read2_b32 v[43:44], v2 offset1:1
	v_add_nc_u32_e32 v2, 0x2090, v160
	;; [unrolled: 2-line block ×3, first 2 shown]
	s_waitcnt lgkmcnt(3)
	v_dot4c_i32_i8 v166, v35, v7
	ds_read2_b32 v[47:48], v2 offset1:1
	v_add_nc_u32_e32 v2, 0x6190, v160
	s_waitcnt lgkmcnt(3)
	v_dot4c_i32_i8 v168, v39, v7
	v_dot4c_i32_i8 v166, v36, v3
	ds_read2_b32 v[49:50], v2 offset1:1
	v_dot4c_i32_i8 v168, v40, v3
	s_waitcnt lgkmcnt(3)
	v_dot4c_i32_i8 v169, v43, v7
	v_dot4c_i32_i8 v169, v44, v3
	s_waitcnt lgkmcnt(2)
	v_dot4c_i32_i8 v166, v45, v8
	ds_read2_b32 v[2:3], v160 offset0:6 offset1:7
	v_dot4c_i32_i8 v166, v46, v4
	s_waitcnt lgkmcnt(2)
	v_dot4c_i32_i8 v168, v47, v8
	v_dot4c_i32_i8 v168, v48, v4
	s_waitcnt lgkmcnt(1)
	v_dot4c_i32_i8 v169, v49, v8
	v_dot4c_i32_i8 v169, v50, v4
	v_add_nc_u32_e32 v4, 0x2098, v160
	ds_read2_b32 v[27:28], v4 offset1:1
	v_add_nc_u32_e32 v4, 0x4118, v160
	s_waitcnt lgkmcnt(1)
	v_dot4c_i32_i8 v167, v2, v9
	ds_read2_b32 v[29:30], v4 offset1:1
	v_add_nc_u32_e32 v4, 0x6198, v160
	v_dot4c_i32_i8 v167, v3, v5
	v_add_nc_u32_e32 v160, 32, v160
	ds_read2_b32 v[37:38], v4 offset1:1
	v_mov_b32_e32 v4, 0
	s_waitcnt lgkmcnt(2)
	v_dot4c_i32_i8 v166, v27, v9
	v_dot4c_i32_i8 v166, v28, v5
	s_waitcnt lgkmcnt(1)
	v_dot4c_i32_i8 v168, v29, v9
	v_dot4c_i32_i8 v168, v30, v5
	s_waitcnt lgkmcnt(0)
	v_dot4c_i32_i8 v169, v37, v9
	ds_read_b128 v[9:12], v159 offset:1024
	v_dot4c_i32_i8 v169, v38, v5
	s_waitcnt lgkmcnt(0)
	v_dot4c_i32_i8 v4, v21, v9
	v_dot4c_i32_i8 v170, v23, v9
	;; [unrolled: 1-line block ×4, first 2 shown]
	ds_read_b128 v[6:9], v159 offset:1040
	s_waitcnt lgkmcnt(0)
	v_dot4c_i32_i8 v4, v22, v6
	v_dot4c_i32_i8 v170, v24, v6
	v_dot4c_i32_i8 v171, v26, v6
	v_dot4c_i32_i8 v172, v34, v6
	v_mov_b32_e32 v6, 0
	v_dot4c_i32_i8 v4, v31, v10
	v_dot4c_i32_i8 v170, v35, v10
	v_dot4c_i32_i8 v171, v39, v10
	v_dot4c_i32_i8 v172, v43, v10
	v_dot4c_i32_i8 v6, v21, v13
	v_dot4c_i32_i8 v4, v32, v7
	v_dot4c_i32_i8 v170, v36, v7
	v_dot4c_i32_i8 v171, v40, v7
	v_dot4c_i32_i8 v172, v44, v7
	v_mov_b32_e32 v7, 0
	v_dot4c_i32_i8 v4, v41, v11
	v_dot4c_i32_i8 v170, v45, v11
	v_dot4c_i32_i8 v171, v47, v11
	v_dot4c_i32_i8 v172, v49, v11
	v_dot4c_i32_i8 v7, v23, v13
	;; [unrolled: 10-line block ×3, first 2 shown]
	ds_read_b128 v[10:13], v159 offset:2064
	v_dot4c_i32_i8 v4, v3, v9
	v_dot4c_i32_i8 v170, v28, v9
	;; [unrolled: 1-line block ×4, first 2 shown]
	v_cvt_f32_i32_e32 v4, v4
	s_waitcnt lgkmcnt(0)
	v_dot4c_i32_i8 v6, v22, v10
	v_dot4c_i32_i8 v7, v24, v10
	;; [unrolled: 1-line block ×4, first 2 shown]
	v_mov_b32_e32 v10, 0
	v_dot4c_i32_i8 v6, v31, v14
	v_dot4c_i32_i8 v7, v35, v14
	;; [unrolled: 1-line block ×9, first 2 shown]
	v_mov_b32_e32 v11, 0
	v_dot4c_i32_i8 v6, v41, v15
	v_dot4c_i32_i8 v7, v45, v15
	;; [unrolled: 1-line block ×9, first 2 shown]
	v_mov_b32_e32 v12, 0
	v_dot4c_i32_i8 v6, v2, v16
	v_dot4c_i32_i8 v7, v27, v16
	;; [unrolled: 1-line block ×4, first 2 shown]
	ds_read_b128 v[14:17], v159 offset:3088
	v_dot4c_i32_i8 v12, v25, v175
	v_mov_b32_e32 v175, 0
	v_dot4c_i32_i8 v6, v3, v13
	v_dot4c_i32_i8 v7, v28, v13
	;; [unrolled: 1-line block ×4, first 2 shown]
	v_cvt_f32_i32_e32 v6, v6
	s_waitcnt lgkmcnt(0)
	v_dot4c_i32_i8 v10, v22, v14
	v_dot4c_i32_i8 v11, v24, v14
	v_dot4c_i32_i8 v12, v26, v14
	v_dot4c_i32_i8 v174, v34, v14
	v_mov_b32_e32 v14, 0
	v_dot4c_i32_i8 v10, v31, v176
	v_dot4c_i32_i8 v11, v35, v176
	v_dot4c_i32_i8 v12, v39, v176
	v_dot4c_i32_i8 v174, v43, v176
	v_dot4c_i32_i8 v10, v32, v15
	v_dot4c_i32_i8 v11, v36, v15
	v_dot4c_i32_i8 v12, v40, v15
	v_dot4c_i32_i8 v174, v44, v15
	v_mov_b32_e32 v15, 0
	v_dot4c_i32_i8 v10, v41, v177
	v_dot4c_i32_i8 v11, v45, v177
	v_dot4c_i32_i8 v12, v47, v177
	v_dot4c_i32_i8 v174, v49, v177
	v_dot4c_i32_i8 v10, v42, v16
	v_dot4c_i32_i8 v11, v46, v16
	v_dot4c_i32_i8 v12, v48, v16
	v_dot4c_i32_i8 v174, v50, v16
	v_mov_b32_e32 v16, 0
	v_dot4c_i32_i8 v10, v2, v178
	v_dot4c_i32_i8 v11, v27, v178
	v_dot4c_i32_i8 v12, v29, v178
	v_dot4c_i32_i8 v174, v37, v178
	ds_read_b128 v[176:179], v159 offset:4096
	v_dot4c_i32_i8 v10, v3, v17
	v_dot4c_i32_i8 v11, v28, v17
	;; [unrolled: 1-line block ×4, first 2 shown]
	v_cvt_f32_i32_e32 v10, v10
	s_waitcnt lgkmcnt(0)
	v_dot4c_i32_i8 v15, v21, v176
	v_dot4c_i32_i8 v14, v23, v176
	;; [unrolled: 1-line block ×4, first 2 shown]
	v_mov_b32_e32 v176, 0
	v_dot4c_i32_i8 v15, v22, v180
	v_dot4c_i32_i8 v14, v24, v180
	;; [unrolled: 1-line block ×12, first 2 shown]
	v_mov_b32_e32 v181, 0
	v_dot4c_i32_i8 v15, v41, v178
	v_dot4c_i32_i8 v14, v45, v178
	;; [unrolled: 1-line block ×8, first 2 shown]
	v_mov_b32_e32 v182, 0
	v_dot4c_i32_i8 v15, v2, v179
	v_dot4c_i32_i8 v14, v27, v179
	;; [unrolled: 1-line block ×4, first 2 shown]
	ds_read_b128 v[177:180], v159 offset:5120
	v_dot4c_i32_i8 v15, v3, v183
	v_dot4c_i32_i8 v14, v28, v183
	;; [unrolled: 1-line block ×4, first 2 shown]
	v_cvt_f32_i32_e32 v15, v15
	v_cvt_f32_i32_e32 v14, v14
	s_waitcnt lgkmcnt(0)
	v_dot4c_i32_i8 v181, v21, v177
	v_dot4c_i32_i8 v176, v23, v177
	v_dot4c_i32_i8 v182, v25, v177
	v_dot4c_i32_i8 v196, v33, v177
	v_dot4c_i32_i8 v181, v22, v184
	v_dot4c_i32_i8 v176, v24, v184
	v_dot4c_i32_i8 v182, v26, v184
	v_dot4c_i32_i8 v196, v34, v184
	v_mov_b32_e32 v184, 0
	v_dot4c_i32_i8 v181, v31, v178
	v_dot4c_i32_i8 v176, v35, v178
	v_dot4c_i32_i8 v182, v39, v178
	v_dot4c_i32_i8 v196, v43, v178
	v_dot4c_i32_i8 v181, v32, v185
	v_dot4c_i32_i8 v176, v36, v185
	v_dot4c_i32_i8 v182, v40, v185
	v_dot4c_i32_i8 v196, v44, v185
	v_mov_b32_e32 v185, 0
	;; [unrolled: 9-line block ×3, first 2 shown]
	v_dot4c_i32_i8 v181, v2, v180
	v_dot4c_i32_i8 v176, v27, v180
	;; [unrolled: 1-line block ×4, first 2 shown]
	ds_read_b128 v[177:180], v159 offset:6144
	v_dot4c_i32_i8 v181, v3, v187
	v_dot4c_i32_i8 v176, v28, v187
	;; [unrolled: 1-line block ×4, first 2 shown]
	s_waitcnt lgkmcnt(0)
	v_dot4c_i32_i8 v184, v21, v177
	v_dot4c_i32_i8 v185, v23, v177
	;; [unrolled: 1-line block ×8, first 2 shown]
	v_mov_b32_e32 v188, 0
	v_dot4c_i32_i8 v184, v31, v178
	v_dot4c_i32_i8 v185, v35, v178
	;; [unrolled: 1-line block ×20, first 2 shown]
	ds_read_b128 v[177:180], v159 offset:7168
	v_dot4c_i32_i8 v184, v3, v191
	v_dot4c_i32_i8 v185, v28, v191
	;; [unrolled: 1-line block ×4, first 2 shown]
	v_add_nc_u32_e32 v159, 32, v159
	s_waitcnt lgkmcnt(0)
	v_dot4c_i32_i8 v188, v21, v177
	v_mov_b32_e32 v21, 0
	v_dot4c_i32_i8 v188, v22, v192
	v_mov_b32_e32 v22, 0
	v_dot4c_i32_i8 v21, v23, v177
	v_mov_b32_e32 v23, 0
	v_dot4c_i32_i8 v188, v31, v178
	v_dot4c_i32_i8 v22, v25, v177
	v_dot4c_i32_i8 v21, v24, v192
	v_dot4c_i32_i8 v23, v33, v177
	v_dot4c_i32_i8 v188, v32, v193
	v_dot4c_i32_i8 v22, v26, v192
	v_dot4c_i32_i8 v21, v35, v178
	v_dot4c_i32_i8 v23, v34, v192
	v_dot4c_i32_i8 v188, v41, v179
	v_dot4c_i32_i8 v22, v39, v178
	v_dot4c_i32_i8 v21, v36, v193
	v_dot4c_i32_i8 v23, v43, v178
	v_dot4c_i32_i8 v188, v42, v194
	v_dot4c_i32_i8 v22, v40, v193
	v_dot4c_i32_i8 v21, v45, v179
	v_dot4c_i32_i8 v23, v44, v193
	v_dot4c_i32_i8 v188, v2, v180
	v_dot4c_i32_i8 v22, v47, v179
	v_dot4c_i32_i8 v21, v46, v194
	v_dot4c_i32_i8 v23, v49, v179
	v_dot4c_i32_i8 v188, v3, v195
	ds_read_b32 v5, v162
	ds_read_b32 v9, v163
	;; [unrolled: 1-line block ×4, first 2 shown]
	ds_read2_b32 v[2:3], v161 offset1:32
	v_dot4c_i32_i8 v22, v48, v194
	v_dot4c_i32_i8 v21, v27, v180
	;; [unrolled: 1-line block ×3, first 2 shown]
	v_add_nc_u32_e32 v165, 4, v165
	v_add_nc_u32_e32 v164, 4, v164
	v_dot4c_i32_i8 v22, v29, v180
	v_dot4c_i32_i8 v21, v28, v195
	;; [unrolled: 1-line block ×3, first 2 shown]
	v_add_nc_u32_e32 v163, 4, v163
	v_add_nc_u32_e32 v162, 4, v162
	v_dot4c_i32_i8 v22, v30, v195
	v_dot4c_i32_i8 v23, v38, v195
	s_waitcnt lgkmcnt(0)
	v_pk_mul_f16 v24, v2, v5
	v_pk_mul_f16 v25, v2, v9
	;; [unrolled: 1-line block ×8, first 2 shown]
	ds_read2_b32 v[2:3], v161 offset0:64 offset1:96
	v_fma_mix_f32 v4, v4, v28, v28 op_sel:[0,0,1] op_sel_hi:[0,1,1]
	v_cvt_f32_i32_e32 v28, v184
	v_add_f32_e32 v135, v135, v4
	v_cvt_f32_i32_e32 v4, v170
	v_fma_mix_f32 v4, v4, v29, v29 op_sel:[0,0,1] op_sel_hi:[0,1,1]
	v_cvt_f32_i32_e32 v29, v172
	v_add_f32_e32 v146, v146, v4
	v_fma_mix_f32 v29, v29, v31, v31 op_sel:[0,0,1] op_sel_hi:[0,1,1]
	v_cvt_f32_i32_e32 v31, v196
	s_waitcnt lgkmcnt(0)
	v_pk_mul_f16 v32, v5, v2
	v_pk_mul_f16 v33, v9, v2
	;; [unrolled: 1-line block ×8, first 2 shown]
	ds_read2_b32 v[2:3], v161 offset0:128 offset1:160
	v_fma_mix_f32 v6, v6, v32, v32 op_sel:[0,0,1] op_sel_hi:[0,1,1]
	v_cvt_f32_i32_e32 v32, v188
	v_fma_mix_f32 v10, v10, v36, v36 op_sel:[0,0,1] op_sel_hi:[0,1,1]
	v_add_f32_e32 v156, v156, v29
	v_add_f32_e32 v129, v129, v6
	v_cvt_f32_i32_e32 v6, v7
	v_cvt_f32_i32_e32 v7, v8
	;; [unrolled: 1-line block ×3, first 2 shown]
	v_add_f32_e32 v123, v123, v10
	v_cvt_f32_i32_e32 v10, v11
	v_fma_mix_f32 v6, v6, v33, v33 op_sel:[0,0,1] op_sel_hi:[0,1,1]
	v_cvt_f32_i32_e32 v11, v12
	v_cvt_f32_i32_e32 v12, v174
	;; [unrolled: 1-line block ×3, first 2 shown]
	v_fma_mix_f32 v7, v7, v34, v34 op_sel:[0,0,1] op_sel_hi:[0,1,1]
	v_fma_mix_f32 v8, v8, v35, v35 op_sel:[0,0,1] op_sel_hi:[0,1,1]
	;; [unrolled: 1-line block ×4, first 2 shown]
	s_waitcnt lgkmcnt(0)
	v_pk_mul_f16 v40, v5, v2
	v_pk_mul_f16 v41, v9, v2
	;; [unrolled: 1-line block ×8, first 2 shown]
	ds_read2_b32 v[2:3], v161 offset0:192 offset1:224
	v_fma_mix_f32 v15, v15, v40, v40 op_sel:[0,0,1] op_sel_hi:[0,1,1]
	v_fma_mix_f32 v12, v12, v39, v39 op_sel:[0,0,1] op_sel_hi:[0,1,1]
	;; [unrolled: 1-line block ×4, first 2 shown]
	v_add_f32_e32 v143, v143, v6
	v_add_f32_e32 v119, v119, v15
	v_cvt_f32_i32_e32 v15, v16
	v_cvt_f32_i32_e32 v16, v175
	v_add_f32_e32 v150, v150, v7
	v_add_f32_e32 v155, v155, v8
	;; [unrolled: 1-line block ×3, first 2 shown]
	v_fma_mix_f32 v15, v15, v42, v42 op_sel:[0,0,1] op_sel_hi:[0,1,1]
	v_fma_mix_f32 v16, v16, v43, v43 op_sel:[0,0,1] op_sel_hi:[0,1,1]
	v_add_nc_u32_e32 v161, 4, v161
	v_add_f32_e32 v147, v147, v11
	v_add_f32_e32 v153, v153, v12
	;; [unrolled: 1-line block ×5, first 2 shown]
	s_waitcnt lgkmcnt(0)
	v_pk_mul_f16 v48, v5, v2
	v_pk_mul_f16 v5, v5, v3
	;; [unrolled: 1-line block ×8, first 2 shown]
	v_cvt_f32_i32_e32 v17, v167
	v_fma_mix_f32 v5, v32, v5, v5 op_sel:[0,0,1] op_sel_hi:[0,1,1]
	v_fma_mix_f32 v28, v28, v48, v48 op_sel:[0,0,1] op_sel_hi:[0,1,1]
	v_cvt_f32_i32_e32 v32, v186
	v_fma_mix_f32 v2, v33, v2, v2 op_sel:[0,0,1] op_sel_hi:[0,1,1]
	v_fma_mix_f32 v17, v24, v17, v24 op_sel:[0,0,1] op_sel_hi:[1,0,1]
	v_cvt_f32_i32_e32 v24, v181
	v_add_f32_e32 v108, v108, v5
	v_cvt_f32_i32_e32 v5, v21
	v_add_f32_e32 v112, v112, v28
	v_add_f32_e32 v53, v53, v17
	v_cvt_f32_i32_e32 v17, v166
	v_fma_mix_f32 v24, v24, v44, v44 op_sel:[0,0,1] op_sel_hi:[0,1,1]
	v_fma_mix_f32 v5, v5, v9, v9 op_sel:[0,0,1] op_sel_hi:[0,1,1]
	v_cvt_f32_i32_e32 v9, v22
	v_cvt_f32_i32_e32 v28, v185
	v_fma_mix_f32 v17, v25, v17, v25 op_sel:[0,0,1] op_sel_hi:[1,0,1]
	v_cvt_f32_i32_e32 v25, v168
	v_add_f32_e32 v115, v115, v24
	v_cvt_f32_i32_e32 v24, v176
	v_fma_mix_f32 v9, v9, v13, v13 op_sel:[0,0,1] op_sel_hi:[0,1,1]
	v_cvt_f32_i32_e32 v13, v23
	v_fma_mix_f32 v25, v26, v25, v26 op_sel:[0,0,1] op_sel_hi:[1,0,1]
	;; [unrolled: 2-line block ×3, first 2 shown]
	v_fma_mix_f32 v28, v28, v49, v49 op_sel:[0,0,1] op_sel_hi:[0,1,1]
	v_fma_mix_f32 v32, v32, v50, v50 op_sel:[0,0,1] op_sel_hi:[0,1,1]
	;; [unrolled: 1-line block ×4, first 2 shown]
	v_cvt_f32_i32_e32 v27, v171
	v_add_f32_e32 v149, v149, v17
	v_add_f32_e32 v154, v154, v25
	;; [unrolled: 1-line block ×4, first 2 shown]
	v_fma_mix_f32 v27, v27, v30, v30 op_sel:[0,0,1] op_sel_hi:[0,1,1]
	v_cvt_f32_i32_e32 v30, v182
	v_add_f32_e32 v148, v148, v31
	v_add_f32_e32 v120, v120, v28
	;; [unrolled: 1-line block ×4, first 2 shown]
	v_fma_mix_f32 v30, v30, v46, v46 op_sel:[0,0,1] op_sel_hi:[0,1,1]
	v_add_f32_e32 v145, v145, v2
	v_add_f32_e32 v116, v116, v5
	v_add_f32_e32 v127, v127, v9
	v_add_f32_e32 v141, v141, v3
	v_add_f32_e32 v139, v139, v30
	s_cbranch_scc1 .LBB143_8
; %bb.9:                                ;   in Loop: Header=BB143_6 Depth=1
	s_and_b32 s0, s11, -4
	s_cmp_eq_u32 s0, 4
	s_barrier
	buffer_gl0_inv
	s_cbranch_scc1 .LBB143_5
; %bb.10:                               ;   in Loop: Header=BB143_6 Depth=1
	v_add_nc_u32_e32 v14, s14, v103
	v_add_nc_u32_e32 v12, 4, v158
	v_mov_b32_e32 v158, v109
	v_mov_b32_e32 v159, v110
	;; [unrolled: 1-line block ×3, first 2 shown]
	v_add_nc_u32_e32 v2, v14, v94
	v_add_nc_u32_e32 v4, v14, v95
	;; [unrolled: 1-line block ×5, first 2 shown]
	v_mad_u64_u32 v[12:13], null, v12, 36, s[2:3]
	v_mad_i64_i32 v[2:3], null, v2, 36, v[19:20]
	v_add_nc_u32_e32 v15, v14, v99
	v_mad_i64_i32 v[4:5], null, v4, 36, v[19:20]
	v_add_nc_u32_e32 v16, v14, v100
	;; [unrolled: 2-line block ×3, first 2 shown]
	v_mad_i64_i32 v[8:9], null, v8, 36, v[19:20]
	v_mad_i64_i32 v[10:11], null, v10, 36, v[19:20]
	;; [unrolled: 1-line block ×5, first 2 shown]
	s_clause 0x8
	global_load_dword v12, v[12:13], off
	global_load_dword v2, v[2:3], off offset:4
	global_load_dword v3, v[4:5], off offset:4
	;; [unrolled: 1-line block ×8, first 2 shown]
	v_mov_b32_e32 v161, v117
	v_mov_b32_e32 v162, v114
	;; [unrolled: 1-line block ×4, first 2 shown]
	s_mov_b32 s0, 12
	s_waitcnt vmcnt(8)
	ds_write_b32 v93, v12
	s_waitcnt vmcnt(7)
	ds_write_b32 v128, v2
	;; [unrolled: 2-line block ×9, first 2 shown]
	s_waitcnt lgkmcnt(0)
	s_barrier
	buffer_gl0_inv
.LBB143_11:                             ;   Parent Loop BB143_6 Depth=1
                                        ; =>  This Inner Loop Header: Depth=2
	v_add_nc_u32_e32 v10, 0x2080, v160
	ds_read_b128 v[6:9], v159
	ds_read2_b32 v[21:22], v160 offset1:1
	ds_read_b128 v[2:5], v159 offset:16
	v_mov_b32_e32 v166, 0
	v_mov_b32_e32 v165, 0
	ds_read2_b32 v[23:24], v10 offset1:1
	v_add_nc_u32_e32 v10, 0x4100, v160
	v_mov_b32_e32 v167, 0
	v_mov_b32_e32 v168, 0
	;; [unrolled: 1-line block ×3, first 2 shown]
	ds_read2_b32 v[31:32], v160 offset0:2 offset1:3
	ds_read2_b32 v[25:26], v10 offset1:1
	v_add_nc_u32_e32 v10, 0x6180, v160
	v_mov_b32_e32 v170, 0
	v_mov_b32_e32 v171, 0
	ds_read2_b32 v[41:42], v160 offset0:4 offset1:5
	v_mov_b32_e32 v172, 0
	ds_read2_b32 v[33:34], v10 offset1:1
	v_mov_b32_e32 v173, 0
	v_mov_b32_e32 v195, 0
	;; [unrolled: 1-line block ×3, first 2 shown]
	s_waitcnt lgkmcnt(6)
	v_dot4c_i32_i8 v166, v21, v6
	s_add_i32 s0, s0, 4
	ds_read_b128 v[13:16], v159 offset:2048
	s_cmp_lt_u32 s0, 28
	s_waitcnt lgkmcnt(5)
	v_dot4c_i32_i8 v165, v23, v6
	v_dot4c_i32_i8 v166, v22, v2
	ds_read_b128 v[174:177], v159 offset:3072
	ds_read_b128 v[179:182], v159 offset:4112
	;; [unrolled: 1-line block ×3, first 2 shown]
	v_dot4c_i32_i8 v165, v24, v2
	s_waitcnt lgkmcnt(6)
	v_dot4c_i32_i8 v167, v25, v6
	v_dot4c_i32_i8 v166, v31, v7
	ds_read_b128 v[187:190], v159 offset:6160
	ds_read_b128 v[191:194], v159 offset:7184
	v_dot4c_i32_i8 v167, v26, v2
	s_waitcnt lgkmcnt(6)
	v_dot4c_i32_i8 v168, v33, v6
	v_dot4c_i32_i8 v166, v32, v3
	;; [unrolled: 1-line block ×3, first 2 shown]
	v_add_nc_u32_e32 v2, 0x2088, v160
	v_dot4c_i32_i8 v166, v41, v8
	s_waitcnt lgkmcnt(5)
	v_dot4c_i32_i8 v172, v33, v13
	s_waitcnt lgkmcnt(4)
	v_dot4c_i32_i8 v173, v33, v174
	ds_read2_b32 v[35:36], v2 offset1:1
	v_add_nc_u32_e32 v2, 0x4108, v160
	v_dot4c_i32_i8 v166, v42, v4
	ds_read2_b32 v[39:40], v2 offset1:1
	v_add_nc_u32_e32 v2, 0x6188, v160
	ds_read2_b32 v[43:44], v2 offset1:1
	v_add_nc_u32_e32 v2, 0x2090, v160
	;; [unrolled: 2-line block ×3, first 2 shown]
	s_waitcnt lgkmcnt(3)
	v_dot4c_i32_i8 v165, v35, v7
	ds_read2_b32 v[47:48], v2 offset1:1
	v_add_nc_u32_e32 v2, 0x6190, v160
	s_waitcnt lgkmcnt(3)
	v_dot4c_i32_i8 v167, v39, v7
	v_dot4c_i32_i8 v165, v36, v3
	ds_read2_b32 v[49:50], v2 offset1:1
	v_dot4c_i32_i8 v167, v40, v3
	s_waitcnt lgkmcnt(3)
	v_dot4c_i32_i8 v168, v43, v7
	v_dot4c_i32_i8 v168, v44, v3
	s_waitcnt lgkmcnt(2)
	v_dot4c_i32_i8 v165, v45, v8
	ds_read2_b32 v[2:3], v160 offset0:6 offset1:7
	v_dot4c_i32_i8 v165, v46, v4
	s_waitcnt lgkmcnt(2)
	v_dot4c_i32_i8 v167, v47, v8
	v_dot4c_i32_i8 v167, v48, v4
	s_waitcnt lgkmcnt(1)
	v_dot4c_i32_i8 v168, v49, v8
	v_dot4c_i32_i8 v168, v50, v4
	v_add_nc_u32_e32 v4, 0x2098, v160
	ds_read2_b32 v[27:28], v4 offset1:1
	v_add_nc_u32_e32 v4, 0x4118, v160
	s_waitcnt lgkmcnt(1)
	v_dot4c_i32_i8 v166, v2, v9
	ds_read2_b32 v[29:30], v4 offset1:1
	v_add_nc_u32_e32 v4, 0x6198, v160
	v_dot4c_i32_i8 v166, v3, v5
	v_add_nc_u32_e32 v160, 32, v160
	ds_read2_b32 v[37:38], v4 offset1:1
	v_mov_b32_e32 v4, 0
	s_waitcnt lgkmcnt(2)
	v_dot4c_i32_i8 v165, v27, v9
	v_dot4c_i32_i8 v165, v28, v5
	s_waitcnt lgkmcnt(1)
	v_dot4c_i32_i8 v167, v29, v9
	v_dot4c_i32_i8 v167, v30, v5
	s_waitcnt lgkmcnt(0)
	v_dot4c_i32_i8 v168, v37, v9
	ds_read_b128 v[9:12], v159 offset:1024
	v_dot4c_i32_i8 v168, v38, v5
	s_waitcnt lgkmcnt(0)
	v_dot4c_i32_i8 v4, v21, v9
	v_dot4c_i32_i8 v169, v23, v9
	;; [unrolled: 1-line block ×4, first 2 shown]
	ds_read_b128 v[6:9], v159 offset:1040
	s_waitcnt lgkmcnt(0)
	v_dot4c_i32_i8 v4, v22, v6
	v_dot4c_i32_i8 v169, v24, v6
	v_dot4c_i32_i8 v170, v26, v6
	v_dot4c_i32_i8 v171, v34, v6
	v_mov_b32_e32 v6, 0
	v_dot4c_i32_i8 v4, v31, v10
	v_dot4c_i32_i8 v169, v35, v10
	v_dot4c_i32_i8 v170, v39, v10
	v_dot4c_i32_i8 v171, v43, v10
	v_dot4c_i32_i8 v6, v21, v13
	v_dot4c_i32_i8 v4, v32, v7
	v_dot4c_i32_i8 v169, v36, v7
	v_dot4c_i32_i8 v170, v40, v7
	v_dot4c_i32_i8 v171, v44, v7
	v_mov_b32_e32 v7, 0
	v_dot4c_i32_i8 v4, v41, v11
	v_dot4c_i32_i8 v169, v45, v11
	v_dot4c_i32_i8 v170, v47, v11
	v_dot4c_i32_i8 v171, v49, v11
	v_dot4c_i32_i8 v7, v23, v13
	;; [unrolled: 10-line block ×3, first 2 shown]
	ds_read_b128 v[10:13], v159 offset:2064
	v_dot4c_i32_i8 v4, v3, v9
	v_dot4c_i32_i8 v169, v28, v9
	;; [unrolled: 1-line block ×4, first 2 shown]
	v_cvt_f32_i32_e32 v4, v4
	s_waitcnt lgkmcnt(0)
	v_dot4c_i32_i8 v6, v22, v10
	v_dot4c_i32_i8 v7, v24, v10
	;; [unrolled: 1-line block ×4, first 2 shown]
	v_mov_b32_e32 v10, 0
	v_dot4c_i32_i8 v6, v31, v14
	v_dot4c_i32_i8 v7, v35, v14
	;; [unrolled: 1-line block ×9, first 2 shown]
	v_mov_b32_e32 v11, 0
	v_dot4c_i32_i8 v6, v41, v15
	v_dot4c_i32_i8 v7, v45, v15
	;; [unrolled: 1-line block ×9, first 2 shown]
	v_mov_b32_e32 v12, 0
	v_dot4c_i32_i8 v6, v2, v16
	v_dot4c_i32_i8 v7, v27, v16
	;; [unrolled: 1-line block ×4, first 2 shown]
	ds_read_b128 v[14:17], v159 offset:3088
	v_dot4c_i32_i8 v12, v25, v174
	v_mov_b32_e32 v174, 0
	v_dot4c_i32_i8 v6, v3, v13
	v_dot4c_i32_i8 v7, v28, v13
	;; [unrolled: 1-line block ×4, first 2 shown]
	v_cvt_f32_i32_e32 v6, v6
	s_waitcnt lgkmcnt(0)
	v_dot4c_i32_i8 v10, v22, v14
	v_dot4c_i32_i8 v11, v24, v14
	v_dot4c_i32_i8 v12, v26, v14
	v_dot4c_i32_i8 v173, v34, v14
	v_mov_b32_e32 v14, 0
	v_dot4c_i32_i8 v10, v31, v175
	v_dot4c_i32_i8 v11, v35, v175
	v_dot4c_i32_i8 v12, v39, v175
	v_dot4c_i32_i8 v173, v43, v175
	v_dot4c_i32_i8 v10, v32, v15
	v_dot4c_i32_i8 v11, v36, v15
	v_dot4c_i32_i8 v12, v40, v15
	v_dot4c_i32_i8 v173, v44, v15
	v_mov_b32_e32 v15, 0
	v_dot4c_i32_i8 v10, v41, v176
	v_dot4c_i32_i8 v11, v45, v176
	v_dot4c_i32_i8 v12, v47, v176
	v_dot4c_i32_i8 v173, v49, v176
	v_dot4c_i32_i8 v10, v42, v16
	v_dot4c_i32_i8 v11, v46, v16
	v_dot4c_i32_i8 v12, v48, v16
	v_dot4c_i32_i8 v173, v50, v16
	v_mov_b32_e32 v16, 0
	v_dot4c_i32_i8 v10, v2, v177
	v_dot4c_i32_i8 v11, v27, v177
	v_dot4c_i32_i8 v12, v29, v177
	v_dot4c_i32_i8 v173, v37, v177
	ds_read_b128 v[175:178], v159 offset:4096
	v_dot4c_i32_i8 v10, v3, v17
	v_dot4c_i32_i8 v11, v28, v17
	;; [unrolled: 1-line block ×4, first 2 shown]
	v_cvt_f32_i32_e32 v10, v10
	s_waitcnt lgkmcnt(0)
	v_dot4c_i32_i8 v15, v21, v175
	v_dot4c_i32_i8 v14, v23, v175
	;; [unrolled: 1-line block ×4, first 2 shown]
	v_mov_b32_e32 v175, 0
	v_dot4c_i32_i8 v15, v22, v179
	v_dot4c_i32_i8 v14, v24, v179
	v_dot4c_i32_i8 v16, v26, v179
	v_dot4c_i32_i8 v174, v34, v179
	v_dot4c_i32_i8 v15, v31, v176
	v_dot4c_i32_i8 v14, v35, v176
	v_dot4c_i32_i8 v16, v39, v176
	v_dot4c_i32_i8 v174, v43, v176
	v_dot4c_i32_i8 v15, v32, v180
	v_dot4c_i32_i8 v14, v36, v180
	v_dot4c_i32_i8 v16, v40, v180
	v_dot4c_i32_i8 v174, v44, v180
	v_mov_b32_e32 v180, 0
	v_dot4c_i32_i8 v15, v41, v177
	v_dot4c_i32_i8 v14, v45, v177
	;; [unrolled: 1-line block ×8, first 2 shown]
	v_mov_b32_e32 v181, 0
	v_dot4c_i32_i8 v15, v2, v178
	v_dot4c_i32_i8 v14, v27, v178
	;; [unrolled: 1-line block ×4, first 2 shown]
	ds_read_b128 v[176:179], v159 offset:5120
	v_dot4c_i32_i8 v15, v3, v182
	v_dot4c_i32_i8 v14, v28, v182
	;; [unrolled: 1-line block ×4, first 2 shown]
	v_cvt_f32_i32_e32 v15, v15
	v_cvt_f32_i32_e32 v14, v14
	s_waitcnt lgkmcnt(0)
	v_dot4c_i32_i8 v180, v21, v176
	v_dot4c_i32_i8 v175, v23, v176
	v_dot4c_i32_i8 v181, v25, v176
	v_dot4c_i32_i8 v195, v33, v176
	v_dot4c_i32_i8 v180, v22, v183
	v_dot4c_i32_i8 v175, v24, v183
	v_dot4c_i32_i8 v181, v26, v183
	v_dot4c_i32_i8 v195, v34, v183
	v_mov_b32_e32 v183, 0
	v_dot4c_i32_i8 v180, v31, v177
	v_dot4c_i32_i8 v175, v35, v177
	v_dot4c_i32_i8 v181, v39, v177
	v_dot4c_i32_i8 v195, v43, v177
	v_dot4c_i32_i8 v180, v32, v184
	v_dot4c_i32_i8 v175, v36, v184
	v_dot4c_i32_i8 v181, v40, v184
	v_dot4c_i32_i8 v195, v44, v184
	v_mov_b32_e32 v184, 0
	;; [unrolled: 9-line block ×3, first 2 shown]
	v_dot4c_i32_i8 v180, v2, v179
	v_dot4c_i32_i8 v175, v27, v179
	;; [unrolled: 1-line block ×4, first 2 shown]
	ds_read_b128 v[176:179], v159 offset:6144
	v_dot4c_i32_i8 v180, v3, v186
	v_dot4c_i32_i8 v175, v28, v186
	;; [unrolled: 1-line block ×4, first 2 shown]
	s_waitcnt lgkmcnt(0)
	v_dot4c_i32_i8 v183, v21, v176
	v_dot4c_i32_i8 v184, v23, v176
	;; [unrolled: 1-line block ×8, first 2 shown]
	v_mov_b32_e32 v187, 0
	v_dot4c_i32_i8 v183, v31, v177
	v_dot4c_i32_i8 v184, v35, v177
	;; [unrolled: 1-line block ×20, first 2 shown]
	ds_read_b128 v[176:179], v159 offset:7168
	v_dot4c_i32_i8 v183, v3, v190
	v_dot4c_i32_i8 v184, v28, v190
	;; [unrolled: 1-line block ×4, first 2 shown]
	v_add_nc_u32_e32 v159, 32, v159
	s_waitcnt lgkmcnt(0)
	v_dot4c_i32_i8 v187, v21, v176
	v_mov_b32_e32 v21, 0
	v_dot4c_i32_i8 v187, v22, v191
	v_mov_b32_e32 v22, 0
	;; [unrolled: 2-line block ×3, first 2 shown]
	v_dot4c_i32_i8 v187, v31, v177
	v_dot4c_i32_i8 v22, v25, v176
	;; [unrolled: 1-line block ×21, first 2 shown]
	ds_read_b32 v5, v161
	ds_read_b32 v9, v162
	;; [unrolled: 1-line block ×4, first 2 shown]
	ds_read2_b32 v[2:3], v158 offset1:32
	v_dot4c_i32_i8 v22, v48, v193
	v_dot4c_i32_i8 v21, v27, v179
	;; [unrolled: 1-line block ×3, first 2 shown]
	v_add_nc_u32_e32 v164, 4, v164
	v_add_nc_u32_e32 v163, 4, v163
	v_dot4c_i32_i8 v22, v29, v179
	v_dot4c_i32_i8 v21, v28, v194
	;; [unrolled: 1-line block ×3, first 2 shown]
	v_add_nc_u32_e32 v162, 4, v162
	v_add_nc_u32_e32 v161, 4, v161
	v_dot4c_i32_i8 v22, v30, v194
	v_dot4c_i32_i8 v23, v38, v194
	s_waitcnt lgkmcnt(0)
	v_pk_mul_f16 v24, v2, v5
	v_pk_mul_f16 v25, v2, v9
	v_pk_mul_f16 v26, v2, v13
	v_pk_mul_f16 v27, v2, v17
	v_pk_mul_f16 v28, v5, v3
	v_pk_mul_f16 v29, v9, v3
	v_pk_mul_f16 v30, v13, v3
	v_pk_mul_f16 v31, v17, v3
	ds_read2_b32 v[2:3], v158 offset0:64 offset1:96
	v_fma_mix_f32 v4, v4, v28, v28 op_sel:[0,0,1] op_sel_hi:[0,1,1]
	v_cvt_f32_i32_e32 v28, v183
	v_add_f32_e32 v135, v135, v4
	v_cvt_f32_i32_e32 v4, v169
	v_fma_mix_f32 v4, v4, v29, v29 op_sel:[0,0,1] op_sel_hi:[0,1,1]
	v_cvt_f32_i32_e32 v29, v171
	v_add_f32_e32 v146, v146, v4
	v_fma_mix_f32 v29, v29, v31, v31 op_sel:[0,0,1] op_sel_hi:[0,1,1]
	v_cvt_f32_i32_e32 v31, v195
	s_waitcnt lgkmcnt(0)
	v_pk_mul_f16 v32, v5, v2
	v_pk_mul_f16 v33, v9, v2
	;; [unrolled: 1-line block ×8, first 2 shown]
	ds_read2_b32 v[2:3], v158 offset0:128 offset1:160
	v_fma_mix_f32 v6, v6, v32, v32 op_sel:[0,0,1] op_sel_hi:[0,1,1]
	v_cvt_f32_i32_e32 v32, v187
	v_fma_mix_f32 v10, v10, v36, v36 op_sel:[0,0,1] op_sel_hi:[0,1,1]
	v_add_f32_e32 v156, v156, v29
	v_add_f32_e32 v129, v129, v6
	v_cvt_f32_i32_e32 v6, v7
	v_cvt_f32_i32_e32 v7, v8
	;; [unrolled: 1-line block ×3, first 2 shown]
	v_add_f32_e32 v123, v123, v10
	v_cvt_f32_i32_e32 v10, v11
	v_fma_mix_f32 v6, v6, v33, v33 op_sel:[0,0,1] op_sel_hi:[0,1,1]
	v_cvt_f32_i32_e32 v11, v12
	v_cvt_f32_i32_e32 v12, v173
	;; [unrolled: 1-line block ×3, first 2 shown]
	v_fma_mix_f32 v7, v7, v34, v34 op_sel:[0,0,1] op_sel_hi:[0,1,1]
	v_fma_mix_f32 v8, v8, v35, v35 op_sel:[0,0,1] op_sel_hi:[0,1,1]
	;; [unrolled: 1-line block ×4, first 2 shown]
	s_waitcnt lgkmcnt(0)
	v_pk_mul_f16 v40, v5, v2
	v_pk_mul_f16 v41, v9, v2
	;; [unrolled: 1-line block ×8, first 2 shown]
	ds_read2_b32 v[2:3], v158 offset0:192 offset1:224
	v_fma_mix_f32 v15, v15, v40, v40 op_sel:[0,0,1] op_sel_hi:[0,1,1]
	v_fma_mix_f32 v12, v12, v39, v39 op_sel:[0,0,1] op_sel_hi:[0,1,1]
	;; [unrolled: 1-line block ×4, first 2 shown]
	v_add_f32_e32 v143, v143, v6
	v_add_f32_e32 v119, v119, v15
	v_cvt_f32_i32_e32 v15, v16
	v_cvt_f32_i32_e32 v16, v174
	v_add_f32_e32 v150, v150, v7
	v_add_f32_e32 v155, v155, v8
	;; [unrolled: 1-line block ×3, first 2 shown]
	v_fma_mix_f32 v15, v15, v42, v42 op_sel:[0,0,1] op_sel_hi:[0,1,1]
	v_fma_mix_f32 v16, v16, v43, v43 op_sel:[0,0,1] op_sel_hi:[0,1,1]
	v_add_nc_u32_e32 v158, 4, v158
	v_add_f32_e32 v147, v147, v11
	v_add_f32_e32 v153, v153, v12
	;; [unrolled: 1-line block ×5, first 2 shown]
	s_waitcnt lgkmcnt(0)
	v_pk_mul_f16 v48, v5, v2
	v_pk_mul_f16 v5, v5, v3
	;; [unrolled: 1-line block ×8, first 2 shown]
	v_cvt_f32_i32_e32 v17, v166
	v_fma_mix_f32 v5, v32, v5, v5 op_sel:[0,0,1] op_sel_hi:[0,1,1]
	v_fma_mix_f32 v28, v28, v48, v48 op_sel:[0,0,1] op_sel_hi:[0,1,1]
	v_cvt_f32_i32_e32 v32, v185
	v_fma_mix_f32 v2, v33, v2, v2 op_sel:[0,0,1] op_sel_hi:[0,1,1]
	v_fma_mix_f32 v17, v24, v17, v24 op_sel:[0,0,1] op_sel_hi:[1,0,1]
	v_cvt_f32_i32_e32 v24, v180
	v_add_f32_e32 v108, v108, v5
	v_cvt_f32_i32_e32 v5, v21
	v_add_f32_e32 v112, v112, v28
	v_add_f32_e32 v53, v53, v17
	v_cvt_f32_i32_e32 v17, v165
	v_fma_mix_f32 v24, v24, v44, v44 op_sel:[0,0,1] op_sel_hi:[0,1,1]
	v_fma_mix_f32 v5, v5, v9, v9 op_sel:[0,0,1] op_sel_hi:[0,1,1]
	v_cvt_f32_i32_e32 v9, v22
	v_cvt_f32_i32_e32 v28, v184
	v_fma_mix_f32 v17, v25, v17, v25 op_sel:[0,0,1] op_sel_hi:[1,0,1]
	v_cvt_f32_i32_e32 v25, v167
	v_add_f32_e32 v115, v115, v24
	v_cvt_f32_i32_e32 v24, v175
	v_fma_mix_f32 v9, v9, v13, v13 op_sel:[0,0,1] op_sel_hi:[0,1,1]
	v_cvt_f32_i32_e32 v13, v23
	v_fma_mix_f32 v25, v26, v25, v26 op_sel:[0,0,1] op_sel_hi:[1,0,1]
	v_cvt_f32_i32_e32 v26, v168
	v_fma_mix_f32 v24, v24, v45, v45 op_sel:[0,0,1] op_sel_hi:[0,1,1]
	v_fma_mix_f32 v28, v28, v49, v49 op_sel:[0,0,1] op_sel_hi:[0,1,1]
	v_fma_mix_f32 v32, v32, v50, v50 op_sel:[0,0,1] op_sel_hi:[0,1,1]
	;; [unrolled: 1-line block ×4, first 2 shown]
	v_cvt_f32_i32_e32 v27, v170
	v_add_f32_e32 v149, v149, v17
	v_add_f32_e32 v154, v154, v25
	;; [unrolled: 1-line block ×4, first 2 shown]
	v_fma_mix_f32 v27, v27, v30, v30 op_sel:[0,0,1] op_sel_hi:[0,1,1]
	v_cvt_f32_i32_e32 v30, v181
	v_add_f32_e32 v148, v148, v31
	v_add_f32_e32 v120, v120, v28
	;; [unrolled: 1-line block ×4, first 2 shown]
	v_fma_mix_f32 v30, v30, v46, v46 op_sel:[0,0,1] op_sel_hi:[0,1,1]
	v_add_f32_e32 v145, v145, v2
	v_add_f32_e32 v116, v116, v5
	;; [unrolled: 1-line block ×5, first 2 shown]
	s_cbranch_scc1 .LBB143_11
; %bb.12:                               ;   in Loop: Header=BB143_6 Depth=1
	s_barrier
	buffer_gl0_inv
	s_branch .LBB143_5
.LBB143_13:
	v_cvt_f16_f32_e32 v12, v53
	v_cvt_f16_f32_e32 v13, v149
	;; [unrolled: 1-line block ×32, first 2 shown]
	v_mov_b32_e32 v34, v51
.LBB143_14:
	s_mov_b32 s0, exec_lo
	v_cmpx_gt_u32_e64 s8, v34
	s_cbranch_execz .LBB143_65
; %bb.15:
	v_add_nc_u32_e32 v0, s6, v0
	v_mul_lo_u32 v34, v34, s10
	v_cmp_gt_u32_e32 vcc_lo, s10, v0
	s_and_saveexec_b32 s1, vcc_lo
	s_cbranch_execz .LBB143_17
; %bb.16:
	v_add_nc_u32_e32 v35, v0, v34
	v_mov_b32_e32 v36, 0
	v_lshlrev_b64 v[35:36], 1, v[35:36]
	s_waitcnt lgkmcnt(0)
	v_add_co_u32 v35, s0, s12, v35
	v_add_co_ci_u32_e64 v36, null, s13, v36, s0
	global_store_short v[35:36], v12, off
.LBB143_17:
	s_or_b32 exec_lo, exec_lo, s1
	v_add_nc_u32_e32 v12, 32, v0
	v_cmp_gt_u32_e64 s0, s10, v12
	s_and_saveexec_b32 s2, s0
	s_cbranch_execz .LBB143_19
; %bb.18:
	v_add_nc_u32_e32 v35, v12, v34
	v_mov_b32_e32 v36, 0
	v_lshlrev_b64 v[35:36], 1, v[35:36]
	s_waitcnt lgkmcnt(0)
	v_add_co_u32 v35, s1, s12, v35
	v_add_co_ci_u32_e64 v36, null, s13, v36, s1
	global_store_short v[35:36], v13, off
.LBB143_19:
	s_or_b32 exec_lo, exec_lo, s2
	v_add_nc_u32_e32 v13, 64, v0
	v_cmp_gt_u32_e64 s1, s10, v13
	s_and_saveexec_b32 s3, s1
	;; [unrolled: 14-line block ×3, first 2 shown]
	s_cbranch_execz .LBB143_23
; %bb.22:
	v_add_nc_u32_e32 v34, v14, v34
	v_mov_b32_e32 v35, 0
	v_lshlrev_b64 v[34:35], 1, v[34:35]
	s_waitcnt lgkmcnt(0)
	v_add_co_u32 v34, s3, s12, v34
	v_add_co_ci_u32_e64 v35, null, s13, v35, s3
	global_store_short v[34:35], v33, off
.LBB143_23:
	s_or_b32 exec_lo, exec_lo, s4
	v_add3_u32 v33, v1, s7, 8
	v_cmp_gt_u32_e64 s3, s8, v33
	s_and_b32 exec_lo, exec_lo, s3
	s_cbranch_execz .LBB143_65
; %bb.24:
	v_mul_lo_u32 v33, v33, s10
	s_and_saveexec_b32 s4, vcc_lo
	s_cbranch_execnz .LBB143_66
; %bb.25:
	s_or_b32 exec_lo, exec_lo, s4
	s_and_saveexec_b32 s4, s0
	s_cbranch_execnz .LBB143_67
.LBB143_26:
	s_or_b32 exec_lo, exec_lo, s4
	s_and_saveexec_b32 s4, s1
	s_cbranch_execnz .LBB143_68
.LBB143_27:
	s_or_b32 exec_lo, exec_lo, s4
	s_and_saveexec_b32 s4, s2
	s_cbranch_execz .LBB143_29
.LBB143_28:
	v_add_nc_u32_e32 v30, v33, v14
	v_mov_b32_e32 v31, 0
	v_lshlrev_b64 v[30:31], 1, v[30:31]
	s_waitcnt lgkmcnt(0)
	v_add_co_u32 v30, s3, s12, v30
	v_add_co_ci_u32_e64 v31, null, s13, v31, s3
	global_store_short v[30:31], v29, off
.LBB143_29:
	s_or_b32 exec_lo, exec_lo, s4
	v_add3_u32 v29, v1, s7, 16
	v_cmp_gt_u32_e64 s3, s8, v29
	s_and_b32 exec_lo, exec_lo, s3
	s_cbranch_execz .LBB143_65
; %bb.30:
	v_mul_lo_u32 v29, v29, s10
	s_and_saveexec_b32 s4, vcc_lo
	s_cbranch_execnz .LBB143_69
; %bb.31:
	s_or_b32 exec_lo, exec_lo, s4
	s_and_saveexec_b32 s4, s0
	s_cbranch_execnz .LBB143_70
.LBB143_32:
	s_or_b32 exec_lo, exec_lo, s4
	s_and_saveexec_b32 s4, s1
	s_cbranch_execnz .LBB143_71
.LBB143_33:
	s_or_b32 exec_lo, exec_lo, s4
	s_and_saveexec_b32 s4, s2
	s_cbranch_execz .LBB143_35
.LBB143_34:
	v_add_nc_u32_e32 v26, v29, v14
	v_mov_b32_e32 v27, 0
	v_lshlrev_b64 v[26:27], 1, v[26:27]
	s_waitcnt lgkmcnt(0)
	v_add_co_u32 v26, s3, s12, v26
	v_add_co_ci_u32_e64 v27, null, s13, v27, s3
	global_store_short v[26:27], v25, off
.LBB143_35:
	s_or_b32 exec_lo, exec_lo, s4
	v_add3_u32 v25, v1, s7, 24
	v_cmp_gt_u32_e64 s3, s8, v25
	s_and_b32 exec_lo, exec_lo, s3
	s_cbranch_execz .LBB143_65
; %bb.36:
	v_mul_lo_u32 v25, v25, s10
	s_and_saveexec_b32 s4, vcc_lo
	s_cbranch_execnz .LBB143_72
; %bb.37:
	s_or_b32 exec_lo, exec_lo, s4
	s_and_saveexec_b32 s4, s0
	s_cbranch_execnz .LBB143_73
.LBB143_38:
	s_or_b32 exec_lo, exec_lo, s4
	s_and_saveexec_b32 s4, s1
	s_cbranch_execnz .LBB143_74
.LBB143_39:
	s_or_b32 exec_lo, exec_lo, s4
	s_and_saveexec_b32 s4, s2
	s_cbranch_execz .LBB143_41
.LBB143_40:
	v_add_nc_u32_e32 v22, v25, v14
	v_mov_b32_e32 v23, 0
	v_lshlrev_b64 v[22:23], 1, v[22:23]
	s_waitcnt lgkmcnt(0)
	v_add_co_u32 v22, s3, s12, v22
	v_add_co_ci_u32_e64 v23, null, s13, v23, s3
	global_store_short v[22:23], v21, off
.LBB143_41:
	s_or_b32 exec_lo, exec_lo, s4
	v_add3_u32 v21, v1, s7, 32
	v_cmp_gt_u32_e64 s3, s8, v21
	s_and_b32 exec_lo, exec_lo, s3
	s_cbranch_execz .LBB143_65
; %bb.42:
	v_mul_lo_u32 v21, v21, s10
	s_and_saveexec_b32 s4, vcc_lo
	s_cbranch_execnz .LBB143_75
; %bb.43:
	s_or_b32 exec_lo, exec_lo, s4
	s_and_saveexec_b32 s4, s0
	s_cbranch_execnz .LBB143_76
.LBB143_44:
	s_or_b32 exec_lo, exec_lo, s4
	s_and_saveexec_b32 s4, s1
	s_cbranch_execnz .LBB143_77
.LBB143_45:
	s_or_b32 exec_lo, exec_lo, s4
	s_and_saveexec_b32 s4, s2
	s_cbranch_execz .LBB143_47
.LBB143_46:
	v_add_nc_u32_e32 v18, v21, v14
	v_mov_b32_e32 v19, 0
	v_lshlrev_b64 v[18:19], 1, v[18:19]
	s_waitcnt lgkmcnt(0)
	v_add_co_u32 v18, s3, s12, v18
	v_add_co_ci_u32_e64 v19, null, s13, v19, s3
	global_store_short v[18:19], v17, off
.LBB143_47:
	s_or_b32 exec_lo, exec_lo, s4
	v_add3_u32 v17, v1, s7, 40
	v_cmp_gt_u32_e64 s3, s8, v17
	s_and_b32 exec_lo, exec_lo, s3
	s_cbranch_execz .LBB143_65
; %bb.48:
	v_mul_lo_u32 v17, v17, s10
	s_and_saveexec_b32 s4, vcc_lo
	s_cbranch_execnz .LBB143_78
; %bb.49:
	s_or_b32 exec_lo, exec_lo, s4
	s_and_saveexec_b32 s4, s0
	s_cbranch_execnz .LBB143_79
.LBB143_50:
	s_or_b32 exec_lo, exec_lo, s4
	s_and_saveexec_b32 s4, s1
	s_cbranch_execnz .LBB143_80
.LBB143_51:
	s_or_b32 exec_lo, exec_lo, s4
	s_and_saveexec_b32 s4, s2
	s_cbranch_execz .LBB143_53
.LBB143_52:
	v_add_nc_u32_e32 v15, v17, v14
	v_mov_b32_e32 v16, 0
	v_lshlrev_b64 v[15:16], 1, v[15:16]
	s_waitcnt lgkmcnt(0)
	v_add_co_u32 v15, s3, s12, v15
	v_add_co_ci_u32_e64 v16, null, s13, v16, s3
	global_store_short v[15:16], v10, off
.LBB143_53:
	s_or_b32 exec_lo, exec_lo, s4
	v_add3_u32 v10, v1, s7, 48
	v_cmp_gt_u32_e64 s3, s8, v10
	s_and_b32 exec_lo, exec_lo, s3
	s_cbranch_execz .LBB143_65
; %bb.54:
	v_mul_lo_u32 v10, v10, s10
	s_and_saveexec_b32 s4, vcc_lo
	s_cbranch_execnz .LBB143_81
; %bb.55:
	s_or_b32 exec_lo, exec_lo, s4
	s_and_saveexec_b32 s4, s0
	s_cbranch_execnz .LBB143_82
.LBB143_56:
	s_or_b32 exec_lo, exec_lo, s4
	s_and_saveexec_b32 s4, s1
	s_cbranch_execnz .LBB143_83
.LBB143_57:
	s_or_b32 exec_lo, exec_lo, s4
	s_and_saveexec_b32 s4, s2
	s_cbranch_execz .LBB143_59
.LBB143_58:
	v_add_nc_u32_e32 v7, v10, v14
	v_mov_b32_e32 v8, 0
	v_lshlrev_b64 v[7:8], 1, v[7:8]
	s_waitcnt lgkmcnt(0)
	v_add_co_u32 v7, s3, s12, v7
	v_add_co_ci_u32_e64 v8, null, s13, v8, s3
	global_store_short v[7:8], v6, off
.LBB143_59:
	s_or_b32 exec_lo, exec_lo, s4
	v_add3_u32 v1, v1, s7, 56
	v_cmp_gt_u32_e64 s3, s8, v1
	s_and_b32 exec_lo, exec_lo, s3
	s_cbranch_execz .LBB143_65
; %bb.60:
	v_mul_lo_u32 v1, v1, s10
	s_and_saveexec_b32 s3, vcc_lo
	s_cbranch_execnz .LBB143_84
; %bb.61:
	s_or_b32 exec_lo, exec_lo, s3
	s_and_saveexec_b32 s3, s0
	s_cbranch_execnz .LBB143_85
.LBB143_62:
	s_or_b32 exec_lo, exec_lo, s3
	s_and_saveexec_b32 s0, s1
	s_cbranch_execnz .LBB143_86
.LBB143_63:
	s_or_b32 exec_lo, exec_lo, s0
	s_and_b32 exec_lo, exec_lo, s2
	s_cbranch_execz .LBB143_65
.LBB143_64:
	v_add_nc_u32_e32 v0, v1, v14
	v_mov_b32_e32 v1, 0
	v_lshlrev_b64 v[0:1], 1, v[0:1]
	s_waitcnt lgkmcnt(0)
	v_add_co_u32 v0, vcc_lo, s12, v0
	v_add_co_ci_u32_e64 v1, null, s13, v1, vcc_lo
	global_store_short v[0:1], v2, off
.LBB143_65:
	s_endpgm
.LBB143_66:
	v_add_nc_u32_e32 v34, v33, v0
	v_mov_b32_e32 v35, 0
	v_lshlrev_b64 v[34:35], 1, v[34:35]
	s_waitcnt lgkmcnt(0)
	v_add_co_u32 v34, s3, s12, v34
	v_add_co_ci_u32_e64 v35, null, s13, v35, s3
	global_store_short v[34:35], v32, off
	s_or_b32 exec_lo, exec_lo, s4
	s_and_saveexec_b32 s4, s0
	s_cbranch_execz .LBB143_26
.LBB143_67:
	v_add_nc_u32_e32 v34, v33, v12
	v_mov_b32_e32 v35, 0
	v_lshlrev_b64 v[34:35], 1, v[34:35]
	s_waitcnt lgkmcnt(0)
	v_add_co_u32 v34, s3, s12, v34
	v_add_co_ci_u32_e64 v35, null, s13, v35, s3
	global_store_short v[34:35], v31, off
	s_or_b32 exec_lo, exec_lo, s4
	s_and_saveexec_b32 s4, s1
	s_cbranch_execz .LBB143_27
.LBB143_68:
	v_add_nc_u32_e32 v31, v33, v13
	v_mov_b32_e32 v32, 0
	v_lshlrev_b64 v[31:32], 1, v[31:32]
	s_waitcnt lgkmcnt(0)
	v_add_co_u32 v31, s3, s12, v31
	v_add_co_ci_u32_e64 v32, null, s13, v32, s3
	global_store_short v[31:32], v30, off
	s_or_b32 exec_lo, exec_lo, s4
	s_and_saveexec_b32 s4, s2
	s_cbranch_execnz .LBB143_28
	s_branch .LBB143_29
.LBB143_69:
	v_add_nc_u32_e32 v30, v29, v0
	v_mov_b32_e32 v31, 0
	v_lshlrev_b64 v[30:31], 1, v[30:31]
	s_waitcnt lgkmcnt(0)
	v_add_co_u32 v30, s3, s12, v30
	v_add_co_ci_u32_e64 v31, null, s13, v31, s3
	global_store_short v[30:31], v28, off
	s_or_b32 exec_lo, exec_lo, s4
	s_and_saveexec_b32 s4, s0
	s_cbranch_execz .LBB143_32
.LBB143_70:
	v_add_nc_u32_e32 v30, v29, v12
	v_mov_b32_e32 v31, 0
	v_lshlrev_b64 v[30:31], 1, v[30:31]
	s_waitcnt lgkmcnt(0)
	v_add_co_u32 v30, s3, s12, v30
	v_add_co_ci_u32_e64 v31, null, s13, v31, s3
	global_store_short v[30:31], v27, off
	s_or_b32 exec_lo, exec_lo, s4
	s_and_saveexec_b32 s4, s1
	s_cbranch_execz .LBB143_33
.LBB143_71:
	v_add_nc_u32_e32 v27, v29, v13
	v_mov_b32_e32 v28, 0
	v_lshlrev_b64 v[27:28], 1, v[27:28]
	s_waitcnt lgkmcnt(0)
	v_add_co_u32 v27, s3, s12, v27
	v_add_co_ci_u32_e64 v28, null, s13, v28, s3
	global_store_short v[27:28], v26, off
	s_or_b32 exec_lo, exec_lo, s4
	s_and_saveexec_b32 s4, s2
	s_cbranch_execnz .LBB143_34
	s_branch .LBB143_35
.LBB143_72:
	v_add_nc_u32_e32 v26, v25, v0
	v_mov_b32_e32 v27, 0
	v_lshlrev_b64 v[26:27], 1, v[26:27]
	s_waitcnt lgkmcnt(0)
	v_add_co_u32 v26, s3, s12, v26
	v_add_co_ci_u32_e64 v27, null, s13, v27, s3
	global_store_short v[26:27], v24, off
	s_or_b32 exec_lo, exec_lo, s4
	s_and_saveexec_b32 s4, s0
	s_cbranch_execz .LBB143_38
.LBB143_73:
	v_add_nc_u32_e32 v26, v25, v12
	v_mov_b32_e32 v27, 0
	v_lshlrev_b64 v[26:27], 1, v[26:27]
	s_waitcnt lgkmcnt(0)
	v_add_co_u32 v26, s3, s12, v26
	v_add_co_ci_u32_e64 v27, null, s13, v27, s3
	global_store_short v[26:27], v23, off
	s_or_b32 exec_lo, exec_lo, s4
	s_and_saveexec_b32 s4, s1
	s_cbranch_execz .LBB143_39
.LBB143_74:
	v_add_nc_u32_e32 v23, v25, v13
	v_mov_b32_e32 v24, 0
	v_lshlrev_b64 v[23:24], 1, v[23:24]
	s_waitcnt lgkmcnt(0)
	v_add_co_u32 v23, s3, s12, v23
	v_add_co_ci_u32_e64 v24, null, s13, v24, s3
	global_store_short v[23:24], v22, off
	s_or_b32 exec_lo, exec_lo, s4
	s_and_saveexec_b32 s4, s2
	s_cbranch_execnz .LBB143_40
	s_branch .LBB143_41
.LBB143_75:
	v_add_nc_u32_e32 v22, v21, v0
	v_mov_b32_e32 v23, 0
	v_lshlrev_b64 v[22:23], 1, v[22:23]
	s_waitcnt lgkmcnt(0)
	v_add_co_u32 v22, s3, s12, v22
	v_add_co_ci_u32_e64 v23, null, s13, v23, s3
	global_store_short v[22:23], v20, off
	s_or_b32 exec_lo, exec_lo, s4
	s_and_saveexec_b32 s4, s0
	s_cbranch_execz .LBB143_44
.LBB143_76:
	v_add_nc_u32_e32 v22, v21, v12
	v_mov_b32_e32 v23, 0
	v_lshlrev_b64 v[22:23], 1, v[22:23]
	s_waitcnt lgkmcnt(0)
	v_add_co_u32 v22, s3, s12, v22
	v_add_co_ci_u32_e64 v23, null, s13, v23, s3
	global_store_short v[22:23], v19, off
	s_or_b32 exec_lo, exec_lo, s4
	s_and_saveexec_b32 s4, s1
	s_cbranch_execz .LBB143_45
.LBB143_77:
	v_add_nc_u32_e32 v19, v21, v13
	v_mov_b32_e32 v20, 0
	v_lshlrev_b64 v[19:20], 1, v[19:20]
	s_waitcnt lgkmcnt(0)
	v_add_co_u32 v19, s3, s12, v19
	v_add_co_ci_u32_e64 v20, null, s13, v20, s3
	global_store_short v[19:20], v18, off
	s_or_b32 exec_lo, exec_lo, s4
	s_and_saveexec_b32 s4, s2
	s_cbranch_execnz .LBB143_46
	s_branch .LBB143_47
.LBB143_78:
	v_add_nc_u32_e32 v18, v17, v0
	v_mov_b32_e32 v19, 0
	v_lshlrev_b64 v[18:19], 1, v[18:19]
	s_waitcnt lgkmcnt(0)
	v_add_co_u32 v18, s3, s12, v18
	v_add_co_ci_u32_e64 v19, null, s13, v19, s3
	global_store_short v[18:19], v16, off
	s_or_b32 exec_lo, exec_lo, s4
	s_and_saveexec_b32 s4, s0
	s_cbranch_execz .LBB143_50
.LBB143_79:
	v_add_nc_u32_e32 v18, v17, v12
	v_mov_b32_e32 v19, 0
	v_lshlrev_b64 v[18:19], 1, v[18:19]
	s_waitcnt lgkmcnt(0)
	v_add_co_u32 v18, s3, s12, v18
	v_add_co_ci_u32_e64 v19, null, s13, v19, s3
	global_store_short v[18:19], v15, off
	s_or_b32 exec_lo, exec_lo, s4
	s_and_saveexec_b32 s4, s1
	s_cbranch_execz .LBB143_51
.LBB143_80:
	v_add_nc_u32_e32 v15, v17, v13
	v_mov_b32_e32 v16, 0
	v_lshlrev_b64 v[15:16], 1, v[15:16]
	s_waitcnt lgkmcnt(0)
	v_add_co_u32 v15, s3, s12, v15
	v_add_co_ci_u32_e64 v16, null, s13, v16, s3
	global_store_short v[15:16], v11, off
	s_or_b32 exec_lo, exec_lo, s4
	s_and_saveexec_b32 s4, s2
	s_cbranch_execnz .LBB143_52
	s_branch .LBB143_53
.LBB143_81:
	v_add_nc_u32_e32 v15, v10, v0
	v_mov_b32_e32 v16, 0
	v_lshlrev_b64 v[15:16], 1, v[15:16]
	s_waitcnt lgkmcnt(0)
	v_add_co_u32 v15, s3, s12, v15
	v_add_co_ci_u32_e64 v16, null, s13, v16, s3
	global_store_short v[15:16], v9, off
	s_or_b32 exec_lo, exec_lo, s4
	s_and_saveexec_b32 s4, s0
	s_cbranch_execz .LBB143_56
.LBB143_82:
	v_add_nc_u32_e32 v15, v10, v12
	v_mov_b32_e32 v16, 0
	v_lshlrev_b64 v[15:16], 1, v[15:16]
	s_waitcnt lgkmcnt(0)
	v_add_co_u32 v15, s3, s12, v15
	v_add_co_ci_u32_e64 v16, null, s13, v16, s3
	global_store_short v[15:16], v8, off
	s_or_b32 exec_lo, exec_lo, s4
	s_and_saveexec_b32 s4, s1
	s_cbranch_execz .LBB143_57
.LBB143_83:
	v_add_nc_u32_e32 v8, v10, v13
	v_mov_b32_e32 v9, 0
	v_lshlrev_b64 v[8:9], 1, v[8:9]
	s_waitcnt lgkmcnt(0)
	v_add_co_u32 v8, s3, s12, v8
	v_add_co_ci_u32_e64 v9, null, s13, v9, s3
	global_store_short v[8:9], v7, off
	s_or_b32 exec_lo, exec_lo, s4
	s_and_saveexec_b32 s4, s2
	s_cbranch_execnz .LBB143_58
	s_branch .LBB143_59
.LBB143_84:
	v_add_nc_u32_e32 v6, v1, v0
	v_mov_b32_e32 v7, 0
	v_lshlrev_b64 v[6:7], 1, v[6:7]
	s_waitcnt lgkmcnt(0)
	v_add_co_u32 v6, vcc_lo, s12, v6
	v_add_co_ci_u32_e64 v7, null, s13, v7, vcc_lo
	global_store_short v[6:7], v5, off
	s_or_b32 exec_lo, exec_lo, s3
	s_and_saveexec_b32 s3, s0
	s_cbranch_execz .LBB143_62
.LBB143_85:
	v_add_nc_u32_e32 v5, v1, v12
	v_mov_b32_e32 v6, 0
	v_lshlrev_b64 v[5:6], 1, v[5:6]
	s_waitcnt lgkmcnt(0)
	v_add_co_u32 v5, vcc_lo, s12, v5
	v_add_co_ci_u32_e64 v6, null, s13, v6, vcc_lo
	global_store_short v[5:6], v4, off
	s_or_b32 exec_lo, exec_lo, s3
	s_and_saveexec_b32 s0, s1
	s_cbranch_execz .LBB143_63
.LBB143_86:
	v_add_nc_u32_e32 v4, v1, v13
	v_mov_b32_e32 v5, 0
	v_lshlrev_b64 v[4:5], 1, v[4:5]
	s_waitcnt lgkmcnt(0)
	v_add_co_u32 v4, vcc_lo, s12, v4
	v_add_co_ci_u32_e64 v5, null, s13, v5, vcc_lo
	global_store_short v[4:5], v3, off
	s_or_b32 exec_lo, exec_lo, s0
	s_and_b32 exec_lo, exec_lo, s2
	s_cbranch_execnz .LBB143_64
	s_branch .LBB143_65
	.section	.rodata,"a",@progbits
	.p2align	6, 0x0
	.amdhsa_kernel _ZL12mul_mat_q5_1IN3c104HalfELb0EEvPKvS3_PT_iiiii
		.amdhsa_group_segment_fixed_size 46720
		.amdhsa_private_segment_fixed_size 0
		.amdhsa_kernarg_size 44
		.amdhsa_user_sgpr_count 6
		.amdhsa_user_sgpr_private_segment_buffer 1
		.amdhsa_user_sgpr_dispatch_ptr 0
		.amdhsa_user_sgpr_queue_ptr 0
		.amdhsa_user_sgpr_kernarg_segment_ptr 1
		.amdhsa_user_sgpr_dispatch_id 0
		.amdhsa_user_sgpr_flat_scratch_init 0
		.amdhsa_user_sgpr_private_segment_size 0
		.amdhsa_wavefront_size32 1
		.amdhsa_uses_dynamic_stack 0
		.amdhsa_system_sgpr_private_segment_wavefront_offset 0
		.amdhsa_system_sgpr_workgroup_id_x 1
		.amdhsa_system_sgpr_workgroup_id_y 1
		.amdhsa_system_sgpr_workgroup_id_z 0
		.amdhsa_system_sgpr_workgroup_info 0
		.amdhsa_system_vgpr_workitem_id 1
		.amdhsa_next_free_vgpr 222
		.amdhsa_next_free_sgpr 15
		.amdhsa_reserve_vcc 1
		.amdhsa_reserve_flat_scratch 0
		.amdhsa_float_round_mode_32 0
		.amdhsa_float_round_mode_16_64 0
		.amdhsa_float_denorm_mode_32 3
		.amdhsa_float_denorm_mode_16_64 3
		.amdhsa_dx10_clamp 1
		.amdhsa_ieee_mode 1
		.amdhsa_fp16_overflow 0
		.amdhsa_workgroup_processor_mode 1
		.amdhsa_memory_ordered 1
		.amdhsa_forward_progress 1
		.amdhsa_shared_vgpr_count 0
		.amdhsa_exception_fp_ieee_invalid_op 0
		.amdhsa_exception_fp_denorm_src 0
		.amdhsa_exception_fp_ieee_div_zero 0
		.amdhsa_exception_fp_ieee_overflow 0
		.amdhsa_exception_fp_ieee_underflow 0
		.amdhsa_exception_fp_ieee_inexact 0
		.amdhsa_exception_int_div_zero 0
	.end_amdhsa_kernel
	.section	.text._ZL12mul_mat_q5_1IN3c104HalfELb0EEvPKvS3_PT_iiiii,"axG",@progbits,_ZL12mul_mat_q5_1IN3c104HalfELb0EEvPKvS3_PT_iiiii,comdat
.Lfunc_end143:
	.size	_ZL12mul_mat_q5_1IN3c104HalfELb0EEvPKvS3_PT_iiiii, .Lfunc_end143-_ZL12mul_mat_q5_1IN3c104HalfELb0EEvPKvS3_PT_iiiii
                                        ; -- End function
	.set _ZL12mul_mat_q5_1IN3c104HalfELb0EEvPKvS3_PT_iiiii.num_vgpr, 222
	.set _ZL12mul_mat_q5_1IN3c104HalfELb0EEvPKvS3_PT_iiiii.num_agpr, 0
	.set _ZL12mul_mat_q5_1IN3c104HalfELb0EEvPKvS3_PT_iiiii.numbered_sgpr, 15
	.set _ZL12mul_mat_q5_1IN3c104HalfELb0EEvPKvS3_PT_iiiii.num_named_barrier, 0
	.set _ZL12mul_mat_q5_1IN3c104HalfELb0EEvPKvS3_PT_iiiii.private_seg_size, 0
	.set _ZL12mul_mat_q5_1IN3c104HalfELb0EEvPKvS3_PT_iiiii.uses_vcc, 1
	.set _ZL12mul_mat_q5_1IN3c104HalfELb0EEvPKvS3_PT_iiiii.uses_flat_scratch, 0
	.set _ZL12mul_mat_q5_1IN3c104HalfELb0EEvPKvS3_PT_iiiii.has_dyn_sized_stack, 0
	.set _ZL12mul_mat_q5_1IN3c104HalfELb0EEvPKvS3_PT_iiiii.has_recursion, 0
	.set _ZL12mul_mat_q5_1IN3c104HalfELb0EEvPKvS3_PT_iiiii.has_indirect_call, 0
	.section	.AMDGPU.csdata,"",@progbits
; Kernel info:
; codeLenInByte = 12936
; TotalNumSgprs: 17
; NumVgprs: 222
; ScratchSize: 0
; MemoryBound: 0
; FloatMode: 240
; IeeeMode: 1
; LDSByteSize: 46720 bytes/workgroup (compile time only)
; SGPRBlocks: 0
; VGPRBlocks: 27
; NumSGPRsForWavesPerEU: 17
; NumVGPRsForWavesPerEU: 222
; Occupancy: 4
; WaveLimiterHint : 0
; COMPUTE_PGM_RSRC2:SCRATCH_EN: 0
; COMPUTE_PGM_RSRC2:USER_SGPR: 6
; COMPUTE_PGM_RSRC2:TRAP_HANDLER: 0
; COMPUTE_PGM_RSRC2:TGID_X_EN: 1
; COMPUTE_PGM_RSRC2:TGID_Y_EN: 1
; COMPUTE_PGM_RSRC2:TGID_Z_EN: 0
; COMPUTE_PGM_RSRC2:TIDIG_COMP_CNT: 1
	.section	.text._ZL12mul_mat_q5_1IN3c104HalfELb1EEvPKvS3_PT_iiiii,"axG",@progbits,_ZL12mul_mat_q5_1IN3c104HalfELb1EEvPKvS3_PT_iiiii,comdat
	.globl	_ZL12mul_mat_q5_1IN3c104HalfELb1EEvPKvS3_PT_iiiii ; -- Begin function _ZL12mul_mat_q5_1IN3c104HalfELb1EEvPKvS3_PT_iiiii
	.p2align	8
	.type	_ZL12mul_mat_q5_1IN3c104HalfELb1EEvPKvS3_PT_iiiii,@function
_ZL12mul_mat_q5_1IN3c104HalfELb1EEvPKvS3_PT_iiiii: ; @_ZL12mul_mat_q5_1IN3c104HalfELb1EEvPKvS3_PT_iiiii
; %bb.0:
	s_clause 0x1
	s_load_dwordx4 s[8:11], s[4:5], 0x18
	s_load_dword s14, s[4:5], 0x28
	s_lshl_b32 s7, s7, 6
	v_add_nc_u32_e32 v67, s7, v1
	s_waitcnt lgkmcnt(0)
	s_cmp_gt_i32 s8, 31
	s_cbranch_scc1 .LBB144_2
; %bb.1:
	v_add_nc_u32_e32 v34, s7, v1
	s_mov_b32 s0, 0
	s_branch .LBB144_3
.LBB144_2:
	s_mov_b32 s0, -1
                                        ; implicit-def: $vgpr34
.LBB144_3:
	s_load_dwordx2 s[12:13], s[4:5], 0x10
	v_mov_b32_e32 v2, 0
	v_mov_b32_e32 v6, 0
	;; [unrolled: 1-line block ×32, first 2 shown]
	s_andn2_b32 vcc_lo, exec_lo, s0
	s_lshl_b32 s6, s6, 7
	s_cbranch_vccnz .LBB144_14
; %bb.4:
	s_load_dwordx4 s[0:3], s[4:5], 0x0
	s_ashr_i32 s4, s8, 31
	s_ashr_i32 s5, s11, 31
	s_lshr_b32 s4, s4, 27
	s_lshr_b32 s5, s5, 27
	s_add_i32 s4, s8, s4
	s_add_i32 s5, s11, s5
	s_ashr_i32 s4, s4, 5
	s_ashr_i32 s11, s5, 5
	s_mul_i32 s8, s4, s6
	v_add_nc_u32_e32 v17, 8, v1
	s_mul_i32 s5, s8, 24
	s_mul_hi_i32 s8, s8, 24
	v_lshlrev_b32_e32 v3, 3, v0
	v_add_nc_u32_e32 v38, 16, v1
	v_add_nc_u32_e32 v39, 24, v1
	;; [unrolled: 1-line block ×6, first 2 shown]
	s_waitcnt lgkmcnt(0)
	s_add_u32 s5, s0, s5
	s_addc_u32 s8, s1, s8
	s_not_b32 s0, s6
	v_lshrrev_b32_e32 v82, 3, v0
	s_add_i32 s0, s9, s0
	v_and_b32_e32 v88, 7, v0
	v_min_i32_e32 v4, s0, v1
	v_min_i32_e32 v5, s0, v17
	;; [unrolled: 1-line block ×3, first 2 shown]
	v_lshl_add_u32 v44, v1, 2, v82
	v_lshlrev_b32_e32 v47, 2, v88
	v_mad_u64_u32 v[18:19], null, 0x104, v4, v[3:4]
	v_mul_lo_u32 v71, v4, s4
	v_mad_u64_u32 v[19:20], null, 0x104, v5, v[3:4]
	v_min_i32_e32 v4, s0, v39
	v_mul_lo_u32 v72, v5, s4
	v_min_i32_e32 v5, s0, v40
	v_mul_lo_u32 v73, v6, s4
	v_min_i32_e32 v45, s0, v44
	v_mad_u64_u32 v[20:21], null, 0x104, v6, v[3:4]
	v_mul_lo_u32 v74, v4, s4
	v_mad_u64_u32 v[21:22], null, 0x104, v4, v[3:4]
	v_min_i32_e32 v4, s0, v41
	v_mul_lo_u32 v75, v5, s4
	v_add_nc_u32_e32 v6, 64, v1
	v_ashrrev_i32_e32 v7, 31, v45
	v_add_nc_u32_e32 v9, 16, v67
	v_mad_u64_u32 v[22:23], null, 0x104, v5, v[3:4]
	v_mul_lo_u32 v76, v4, s4
	v_min_i32_e32 v5, s0, v42
	v_mad_u64_u32 v[23:24], null, 0x104, v4, v[3:4]
	v_min_i32_e32 v4, s0, v43
	v_add_nc_u32_e32 v11, 24, v67
	v_mul_lo_u32 v77, v5, s4
	v_add_nc_u32_e32 v13, 32, v67
	v_add_nc_u32_e32 v15, 40, v67
	v_mad_u64_u32 v[24:25], null, 0x104, v5, v[3:4]
	v_mul_lo_u32 v78, v4, s4
	v_min_i32_e32 v5, s0, v6
	v_add_nc_u32_e32 v6, 0x48, v1
	v_mad_u64_u32 v[25:26], null, 0x104, v4, v[3:4]
	v_add_nc_u32_e32 v4, 0x50, v1
	v_mul_lo_u32 v79, v5, s4
	v_min_i32_e32 v6, s0, v6
	v_add_nc_u32_e32 v35, 48, v67
	s_add_i32 s1, s10, -1
	v_mad_u64_u32 v[26:27], null, 0x104, v5, v[3:4]
	v_min_i32_e32 v4, s0, v4
	v_add_nc_u32_e32 v5, 0x58, v1
	v_mul_lo_u32 v80, v6, s4
	v_add_nc_u32_e32 v36, 64, v44
	v_add_nc_u32_e32 v37, 56, v67
	v_mad_u64_u32 v[27:28], null, 0x104, v6, v[3:4]
	v_add_nc_u32_e32 v6, 0x60, v1
	v_mul_lo_u32 v81, v4, s4
	v_min_i32_e32 v5, s0, v5
	v_mad_u64_u32 v[28:29], null, 0x104, v4, v[3:4]
	v_min_i32_e32 v4, s0, v6
	v_add_nc_u32_e32 v6, 0x68, v1
	v_mul_lo_u32 v83, v5, s4
	v_cvt_f64_u32_e32 v[9:10], v9
	v_cvt_f64_u32_e32 v[11:12], v11
	v_mad_u64_u32 v[29:30], null, 0x104, v5, v[3:4]
	v_min_i32_e32 v5, s0, v6
	v_add_nc_u32_e32 v6, 0x70, v1
	v_mul_lo_u32 v84, v4, s4
	v_mad_u64_u32 v[30:31], null, 0x104, v4, v[3:4]
	v_mul_lo_u32 v85, v5, s4
	v_min_i32_e32 v4, s0, v6
	v_add_nc_u32_e32 v6, 0x78, v1
	v_cvt_f64_u32_e32 v[13:14], v13
	v_cvt_f64_u32_e32 v[15:16], v15
	v_min_i32_e32 v50, s0, v36
	v_mad_u64_u32 v[31:32], null, 0x104, v5, v[3:4]
	v_min_i32_e32 v5, s0, v6
	v_lshrrev_b32_e32 v6, 30, v7
	v_mul_lo_u32 v86, v4, s4
	v_mad_u64_u32 v[32:33], null, 0x104, v4, v[3:4]
	v_add_nc_u32_e32 v7, 32, v44
	v_add_nc_u32_e32 v4, v45, v6
	v_mul_lo_u32 v87, v5, s4
	v_cvt_f64_u32_e32 v[36:37], v37
	v_ashrrev_i32_e32 v51, 31, v50
	v_min_i32_e32 v46, s0, v7
	v_mad_u64_u32 v[33:34], null, 0x104, v5, v[3:4]
	v_and_b32_e32 v34, -4, v4
	v_add_nc_u32_e32 v7, 8, v67
	v_cvt_f64_i32_e32 v[3:4], s1
	v_cvt_f64_u32_e32 v[5:6], v67
	v_lshrrev_b32_e32 v51, 30, v51
	v_add3_u32 v49, v34, v47, 0xa200
	v_cvt_f64_u32_e32 v[7:8], v7
	v_cvt_f64_u32_e32 v[34:35], v35
	v_ashrrev_i32_e32 v48, 31, v46
	v_add_nc_u32_e32 v51, v50, v51
	v_add_nc_u32_e32 v44, 0x60, v44
	v_lshrrev_b32_e32 v68, 2, v0
	v_mul_lo_u32 v90, v46, s4
	v_lshrrev_b32_e32 v48, 30, v48
	v_and_b32_e32 v51, -4, v51
	v_min_i32_e32 v44, s0, v44
	v_and_b32_e32 v2, 3, v0
	v_mul_lo_u32 v89, v45, s4
	v_add_nc_u32_e32 v48, v46, v48
	v_lshlrev_b32_e32 v45, 5, v45
	v_ashrrev_i32_e32 v52, 31, v44
	v_lshlrev_b32_e32 v70, 2, v2
	v_mul_lo_u32 v91, v50, s4
	v_and_b32_e32 v48, -4, v48
	v_min_f64 v[9:10], v[9:10], v[3:4]
	v_min_f64 v[5:6], v[5:6], v[3:4]
	;; [unrolled: 1-line block ×8, first 2 shown]
	v_lshlrev_b32_e32 v37, 5, v46
	v_add3_u32 v46, v51, v47, 0xa200
	v_lshl_add_u32 v51, v1, 3, v68
	v_lshrrev_b32_e32 v52, 30, v52
	v_add3_u32 v48, v48, v47, 0xa200
	v_lshlrev_b32_e32 v50, 5, v50
	v_mul_lo_u32 v92, v44, s4
	v_mov_b32_e32 v69, 0
	v_add_nc_u32_e32 v36, v44, v52
	v_mul_u32_u24_e32 v102, 0x104, v0
	v_lshl_add_u32 v109, v1, 4, 0xb280
	v_add_nc_u32_e32 v121, v49, v45
	v_add_nc_u32_e32 v122, v48, v37
	v_and_b32_e32 v36, -4, v36
	v_add_nc_u32_e32 v124, v46, v50
	v_cvt_i32_f64_e32 v5, v[5:6]
	v_mov_b32_e32 v135, 0
	v_mov_b32_e32 v129, 0
	v_cvt_i32_f64_e32 v6, v[7:8]
	v_cvt_i32_f64_e32 v8, v[9:10]
	;; [unrolled: 1-line block ×7, first 2 shown]
	v_and_b32_e32 v7, 63, v51
	v_lshlrev_b32_e32 v15, 2, v0
	v_and_b32_e32 v34, 31, v0
	v_add3_u32 v9, v36, v47, 0xa200
	v_and_b32_e32 v36, 0xfc, v0
	v_or_b32_e32 v13, s7, v7
	v_lshl_or_b32 v7, v7, 4, v70
	v_lshlrev_b32_e32 v11, 5, v44
	v_mov_b32_e32 v123, 0
	v_mov_b32_e32 v119, 0
	v_min_i32_e32 v4, s1, v13
	v_and_b32_e32 v13, 28, v15
	v_lshl_or_b32 v15, v34, 2, 0x8200
	v_add_nc_u32_e32 v93, 0xb280, v7
	v_mul_lo_u32 v94, s11, v5
	v_mul_lo_u32 v95, s11, v6
	;; [unrolled: 1-line block ×3, first 2 shown]
	v_lshlrev_b32_e32 v5, 7, v38
	v_mul_lo_u32 v98, s11, v12
	v_mul_lo_u32 v99, s11, v14
	;; [unrolled: 1-line block ×3, first 2 shown]
	v_add_nc_u32_e32 v12, 0x60, v0
	v_add_nc_u32_e32 v14, 64, v0
	;; [unrolled: 1-line block ×3, first 2 shown]
	v_mad_u64_u32 v[34:35], null, v4, s11, v[2:3]
	v_lshlrev_b32_e32 v4, 7, v17
	v_lshlrev_b32_e32 v17, 5, v0
	v_and_b32_e32 v12, 0x1fc, v12
	v_and_b32_e32 v14, 0x1fc, v14
	;; [unrolled: 1-line block ×3, first 2 shown]
	v_lshlrev_b32_e32 v2, 7, v1
	v_mul_lo_u32 v97, s11, v10
	v_lshlrev_b32_e32 v6, 7, v39
	v_lshlrev_b32_e32 v7, 7, v40
	;; [unrolled: 1-line block ×4, first 2 shown]
	v_mul_lo_u32 v101, s11, v3
	v_lshlrev_b32_e32 v3, 7, v43
	v_lshrrev_b32_e32 v103, 3, v16
	v_add_nc_u32_e32 v12, v17, v12
	v_add_nc_u32_e32 v14, v17, v14
	v_add_nc_u32_e32 v16, v17, v35
	v_add_nc_u32_e32 v17, v17, v36
	v_add_co_u32 v35, s0, s2, v13
	v_add_co_ci_u32_e64 v36, null, s3, 0, s0
	s_movk_i32 s0, 0x80
	v_add_nc_u32_e32 v104, 0xae00, v12
	v_add_nc_u32_e32 v105, 0xaa00, v14
	;; [unrolled: 1-line block ×9, first 2 shown]
	v_mad_u32_u24 v118, 0x104, v0, s0
	v_add_nc_u32_e32 v126, v9, v11
	v_add_nc_u32_e32 v128, v15, v2
	;; [unrolled: 1-line block ×9, first 2 shown]
	v_mov_b32_e32 v115, 0
	v_mov_b32_e32 v112, 0
	;; [unrolled: 1-line block ×27, first 2 shown]
	s_add_i32 s9, s4, 3
	s_mov_b32 s11, 0
	s_branch .LBB144_6
.LBB144_5:                              ;   in Loop: Header=BB144_6 Depth=1
	s_add_i32 s11, s11, 8
	s_add_i32 s9, s9, -8
	s_cmp_ge_i32 s11, s4
	s_cbranch_scc1 .LBB144_13
.LBB144_6:                              ; =>This Loop Header: Depth=1
                                        ;     Child Loop BB144_8 Depth 2
                                        ;     Child Loop BB144_11 Depth 2
	s_mul_i32 s0, s11, 24
	s_mul_hi_u32 s1, s11, 24
	s_add_u32 s0, s5, s0
	s_addc_u32 s1, s8, s1
	s_cmp_gt_u32 s9, 3
	v_mad_u64_u32 v[2:3], null, v68, 24, s[0:1]
	v_mad_i64_i32 v[4:5], null, v71, 24, v[2:3]
	v_mad_i64_i32 v[6:7], null, v72, 24, v[2:3]
	;; [unrolled: 1-line block ×4, first 2 shown]
	v_add_co_u32 v12, vcc_lo, v4, v70
	v_add_co_ci_u32_e64 v13, null, 0, v5, vcc_lo
	v_add_co_u32 v14, vcc_lo, v6, v70
	v_add_co_ci_u32_e64 v15, null, 0, v7, vcc_lo
	;; [unrolled: 2-line block ×4, first 2 shown]
	v_mad_i64_i32 v[39:40], null, v75, 24, v[2:3]
	s_clause 0x7
	global_load_dword v47, v[12:13], off offset:8
	global_load_dword v48, v[14:15], off offset:8
	;; [unrolled: 1-line block ×8, first 2 shown]
	v_mad_i64_i32 v[4:5], null, v76, 24, v[2:3]
	v_mad_i64_i32 v[8:9], null, v77, 24, v[2:3]
	;; [unrolled: 1-line block ×3, first 2 shown]
	v_add_co_u32 v6, vcc_lo, v39, v70
	v_add_co_ci_u32_e64 v7, null, 0, v40, vcc_lo
	v_add_co_u32 v12, vcc_lo, v4, v70
	v_add_co_ci_u32_e64 v13, null, 0, v5, vcc_lo
	v_add_co_u32 v14, vcc_lo, v8, v70
	v_mad_i64_i32 v[37:38], null, v79, 24, v[2:3]
	v_add_co_ci_u32_e64 v15, null, 0, v9, vcc_lo
	v_add_co_u32 v16, vcc_lo, v10, v70
	v_add_co_ci_u32_e64 v17, null, 0, v11, vcc_lo
	v_mad_i64_i32 v[45:46], null, v83, 24, v[2:3]
	s_clause 0x7
	global_load_dword v55, v[10:11], off offset:4
	global_load_dword v56, v[8:9], off offset:4
	;; [unrolled: 1-line block ×8, first 2 shown]
	v_mad_i64_i32 v[43:44], null, v81, 24, v[2:3]
	v_mad_i64_i32 v[41:42], null, v80, 24, v[2:3]
	v_add_co_u32 v4, vcc_lo, v37, v70
	v_add_co_ci_u32_e64 v5, null, 0, v38, vcc_lo
	s_clause 0x4
	global_load_dword v17, v[45:46], off offset:4
	global_load_dword v60, v[43:44], off offset:4
	;; [unrolled: 1-line block ×5, first 2 shown]
	v_mad_i64_i32 v[8:9], null, v87, 24, v[2:3]
	v_add_co_u32 v4, vcc_lo, v41, v70
	v_add_co_ci_u32_e64 v5, null, 0, v42, vcc_lo
	v_mad_i64_i32 v[6:7], null, v85, 24, v[2:3]
	v_mad_u64_u32 v[10:11], null, v88, 24, s[0:1]
	global_load_dword v41, v[4:5], off offset:8
	v_add_co_u32 v4, vcc_lo, v43, v70
	v_add_co_ci_u32_e64 v5, null, 0, v44, vcc_lo
	v_mad_i64_i32 v[14:15], null, v91, 24, v[10:11]
	global_load_dword v42, v[4:5], off offset:8
	v_add_co_u32 v4, vcc_lo, v45, v70
	v_add_co_ci_u32_e64 v5, null, 0, v46, vcc_lo
	global_load_dword v43, v[4:5], off offset:8
	v_mad_i64_i32 v[4:5], null, v84, 24, v[2:3]
	v_mad_i64_i32 v[2:3], null, v86, 24, v[2:3]
	v_add_co_u32 v12, vcc_lo, v4, v70
	v_add_co_ci_u32_e64 v13, null, 0, v5, vcc_lo
	s_clause 0x4
	global_load_dword v44, v[8:9], off offset:4
	global_load_dword v45, v[2:3], off offset:4
	;; [unrolled: 1-line block ×5, first 2 shown]
	v_add_co_u32 v6, vcc_lo, v6, v70
	v_add_co_ci_u32_e64 v7, null, 0, v7, vcc_lo
	v_add_co_u32 v2, vcc_lo, v2, v70
	v_mad_i64_i32 v[4:5], null, v89, 24, v[10:11]
	v_add_co_ci_u32_e64 v3, null, 0, v3, vcc_lo
	v_add_co_u32 v8, vcc_lo, v8, v70
	v_mad_i64_i32 v[12:13], null, v90, 24, v[10:11]
	v_add_co_ci_u32_e64 v9, null, 0, v9, vcc_lo
	v_mad_i64_i32 v[10:11], null, v92, 24, v[10:11]
	s_clause 0x6
	global_load_dword v6, v[6:7], off offset:8
	global_load_dword v2, v[2:3], off offset:8
	global_load_dword v3, v[8:9], off offset:8
	global_load_dword v4, v[4:5], off
	global_load_dword v5, v[12:13], off
	;; [unrolled: 1-line block ×4, first 2 shown]
	s_waitcnt vmcnt(35)
	v_and_b32_e32 v10, 0xf0f0f0f, v47
	v_lshrrev_b32_e32 v11, 4, v47
	s_waitcnt vmcnt(34)
	v_and_b32_e32 v13, 0xf0f0f0f, v48
	v_lshrrev_b32_e32 v14, 4, v48
	s_waitcnt vmcnt(33)
	v_and_b32_e32 v47, 0xf0f0f0f, v49
	s_waitcnt vmcnt(30)
	v_ashrrev_i32_e32 v15, v70, v52
	s_waitcnt vmcnt(29)
	v_ashrrev_i32_e32 v12, v70, v53
	;; [unrolled: 2-line block ×3, first 2 shown]
	v_lshrrev_b32_e32 v48, 4, v49
	v_ashrrev_i32_e32 v49, v70, v51
	v_lshlrev_b32_e32 v171, 4, v15
	v_lshlrev_b32_e32 v164, 4, v12
	;; [unrolled: 1-line block ×4, first 2 shown]
	v_lshrrev_b32_e32 v161, 12, v9
	v_lshrrev_b32_e32 v162, 5, v9
	v_lshlrev_b32_e32 v165, 11, v12
	v_lshrrev_b32_e32 v168, 12, v12
	v_lshrrev_b32_e32 v169, 5, v12
	v_lshlrev_b32_e32 v172, 11, v15
	v_lshrrev_b32_e32 v175, 12, v15
	v_lshrrev_b32_e32 v176, 5, v15
	v_and_b32_e32 v51, 0xf0f0f0f, v50
	v_lshrrev_b32_e32 v50, 4, v50
	v_lshlrev_b32_e32 v178, 4, v49
	v_lshlrev_b32_e32 v179, 11, v49
	v_lshrrev_b32_e32 v182, 12, v49
	v_lshrrev_b32_e32 v183, 5, v49
	s_waitcnt vmcnt(26)
	v_ashrrev_i32_e32 v56, v70, v56
	s_waitcnt vmcnt(25)
	v_ashrrev_i32_e32 v53, v70, v57
	;; [unrolled: 2-line block ×3, first 2 shown]
	s_waitcnt vmcnt(23)
	v_and_b32_e32 v52, 0xf0f0f0f, v40
	v_lshrrev_b32_e32 v40, 4, v40
	s_waitcnt vmcnt(22)
	v_and_b32_e32 v54, 0xf0f0f0f, v58
	v_lshrrev_b32_e32 v57, 4, v58
	v_lshlrev_b32_e32 v185, 4, v39
	v_lshlrev_b32_e32 v186, 11, v39
	v_lshrrev_b32_e32 v189, 12, v39
	v_lshrrev_b32_e32 v190, 5, v39
	s_waitcnt vmcnt(21)
	v_and_b32_e32 v58, 0xf0f0f0f, v59
	v_lshrrev_b32_e32 v59, 4, v59
	v_lshlrev_b32_e32 v159, 18, v9
	v_lshlrev_b32_e32 v160, 25, v9
	v_and_b32_e32 v11, 0xf0f0f0f, v11
	v_lshlrev_b32_e32 v163, 2, v9
	v_lshlrev_b32_e32 v9, 9, v9
	v_lshlrev_b32_e32 v192, 4, v53
	v_lshlrev_b32_e32 v193, 11, v53
	v_lshrrev_b32_e32 v196, 12, v53
	v_lshrrev_b32_e32 v197, 5, v53
	v_lshlrev_b32_e32 v199, 4, v56
	v_lshlrev_b32_e32 v200, 11, v56
	v_lshrrev_b32_e32 v203, 12, v56
	v_lshrrev_b32_e32 v204, 5, v56
	v_and_b32_e32 v66, 16, v66
	v_and_b32_e32 v158, 0x1000, v158
	v_and_b32_e32 v161, 16, v161
	v_and_b32_e32 v162, 0x1000, v162
	v_lshlrev_b32_e32 v166, 18, v12
	v_lshlrev_b32_e32 v167, 25, v12
	v_and_b32_e32 v14, 0xf0f0f0f, v14
	v_lshlrev_b32_e32 v170, 2, v12
	v_lshlrev_b32_e32 v12, 9, v12
	v_and_b32_e32 v164, 16, v164
	v_and_b32_e32 v165, 0x1000, v165
	v_and_b32_e32 v168, 16, v168
	v_and_b32_e32 v169, 0x1000, v169
	v_lshlrev_b32_e32 v173, 18, v15
	v_lshlrev_b32_e32 v174, 25, v15
	v_and_b32_e32 v48, 0xf0f0f0f, v48
	v_lshlrev_b32_e32 v177, 2, v15
	v_lshlrev_b32_e32 v15, 9, v15
	;; [unrolled: 9-line block ×4, first 2 shown]
	v_and_b32_e32 v185, 16, v185
	v_and_b32_e32 v186, 0x1000, v186
	;; [unrolled: 1-line block ×4, first 2 shown]
	v_ashrrev_i32_e32 v55, v70, v55
	s_waitcnt vmcnt(16)
	v_ashrrev_i32_e32 v37, v70, v37
	v_ashrrev_i32_e32 v61, v70, v61
	v_lshlrev_b32_e32 v194, 18, v53
	v_lshlrev_b32_e32 v195, 25, v53
	v_and_b32_e32 v57, 0xf0f0f0f, v57
	v_lshlrev_b32_e32 v198, 2, v53
	v_lshlrev_b32_e32 v53, 9, v53
	;; [unrolled: 1-line block ×4, first 2 shown]
	v_and_b32_e32 v59, 0xf0f0f0f, v59
	v_lshlrev_b32_e32 v205, 2, v56
	v_lshlrev_b32_e32 v56, 9, v56
	v_and_b32_e32 v159, 0x100000, v159
	v_and_b32_e32 v160, 0x10000000, v160
	v_and_b32_e32 v163, 0x100000, v163
	v_and_b32_e32 v9, 0x10000000, v9
	v_and_b32_e32 v192, 16, v192
	v_and_b32_e32 v193, 0x1000, v193
	v_and_b32_e32 v196, 16, v196
	v_and_b32_e32 v197, 0x1000, v197
	v_and_b32_e32 v199, 16, v199
	v_and_b32_e32 v200, 0x1000, v200
	v_and_b32_e32 v203, 16, v203
	v_and_b32_e32 v204, 0x1000, v204
	v_or3_b32 v10, v66, v10, v158
	v_or3_b32 v11, v161, v11, v162
	v_and_b32_e32 v166, 0x100000, v166
	v_and_b32_e32 v167, 0x10000000, v167
	v_and_b32_e32 v170, 0x100000, v170
	v_and_b32_e32 v12, 0x10000000, v12
	v_or3_b32 v13, v164, v13, v165
	v_or3_b32 v14, v168, v14, v169
	v_and_b32_e32 v173, 0x100000, v173
	v_and_b32_e32 v174, 0x10000000, v174
	v_and_b32_e32 v177, 0x100000, v177
	v_and_b32_e32 v15, 0x10000000, v15
	;; [unrolled: 6-line block ×4, first 2 shown]
	v_or3_b32 v52, v185, v52, v186
	v_or3_b32 v40, v189, v40, v190
	v_and_b32_e32 v64, 0xf0f0f0f, v16
	v_lshrrev_b32_e32 v16, 4, v16
	s_waitcnt vmcnt(15)
	v_and_b32_e32 v65, 0xf0f0f0f, v38
	v_lshrrev_b32_e32 v38, 4, v38
	v_lshlrev_b32_e32 v206, 4, v55
	v_lshlrev_b32_e32 v207, 11, v55
	v_lshrrev_b32_e32 v210, 12, v55
	v_lshrrev_b32_e32 v211, 5, v55
	;; [unrolled: 1-line block ×4, first 2 shown]
	v_lshlrev_b32_e32 v220, 4, v61
	v_lshlrev_b32_e32 v221, 11, v61
	v_and_b32_e32 v194, 0x100000, v194
	v_and_b32_e32 v195, 0x10000000, v195
	v_and_b32_e32 v198, 0x100000, v198
	v_and_b32_e32 v53, 0x10000000, v53
	v_and_b32_e32 v201, 0x100000, v201
	v_and_b32_e32 v202, 0x10000000, v202
	v_and_b32_e32 v205, 0x100000, v205
	v_and_b32_e32 v56, 0x10000000, v56
	v_or3_b32 v54, v192, v54, v193
	v_or3_b32 v57, v196, v57, v197
	;; [unrolled: 1-line block ×14, first 2 shown]
	v_lshlrev_b32_e32 v208, 18, v55
	v_lshlrev_b32_e32 v209, 25, v55
	v_and_b32_e32 v16, 0xf0f0f0f, v16
	v_lshlrev_b32_e32 v212, 2, v55
	v_lshlrev_b32_e32 v55, 9, v55
	;; [unrolled: 1-line block ×6, first 2 shown]
	v_and_b32_e32 v38, 0xf0f0f0f, v38
	v_lshlrev_b32_e32 v219, 2, v37
	v_lshlrev_b32_e32 v37, 9, v37
	v_and_b32_e32 v206, 16, v206
	v_and_b32_e32 v207, 0x1000, v207
	;; [unrolled: 1-line block ×6, first 2 shown]
	v_or3_b32 v40, v54, v194, v195
	v_or3_b32 v49, v57, v198, v53
	;; [unrolled: 1-line block ×4, first 2 shown]
	ds_write2_b32 v18, v10, v9 offset1:1
	ds_write2_b32 v19, v11, v12 offset1:1
	;; [unrolled: 1-line block ×7, first 2 shown]
	s_waitcnt vmcnt(14)
	v_and_b32_e32 v9, 0xf0f0f0f, v41
	v_and_b32_e32 v10, 16, v220
	;; [unrolled: 1-line block ×9, first 2 shown]
	v_or3_b32 v64, v206, v64, v207
	v_or3_b32 v16, v210, v16, v211
	;; [unrolled: 1-line block ×4, first 2 shown]
	v_lshrrev_b32_e32 v10, 4, v41
	v_lshrrev_b32_e32 v11, 12, v61
	;; [unrolled: 1-line block ×3, first 2 shown]
	v_and_b32_e32 v213, 16, v213
	v_and_b32_e32 v214, 0x1000, v214
	v_or3_b32 v52, v64, v208, v209
	v_or3_b32 v16, v16, v212, v55
	;; [unrolled: 1-line block ×3, first 2 shown]
	v_and_b32_e32 v10, 0xf0f0f0f, v10
	v_and_b32_e32 v11, 16, v11
	;; [unrolled: 1-line block ×3, first 2 shown]
	v_ashrrev_i32_e32 v37, v70, v60
	v_and_b32_e32 v215, 0x100000, v215
	v_and_b32_e32 v216, 0x10000000, v216
	v_or3_b32 v65, v213, v65, v214
	ds_write2_b32 v25, v52, v16 offset1:1
	v_lshlrev_b32_e32 v14, 18, v61
	v_lshlrev_b32_e32 v16, 25, v61
	v_or3_b32 v10, v11, v10, v15
	v_lshlrev_b32_e32 v11, 4, v37
	v_lshlrev_b32_e32 v15, 11, v37
	v_or3_b32 v12, v65, v215, v216
	v_and_b32_e32 v14, 0x100000, v14
	v_and_b32_e32 v16, 0x10000000, v16
	s_waitcnt vmcnt(13)
	v_and_b32_e32 v40, 0xf0f0f0f, v42
	v_and_b32_e32 v11, 16, v11
	v_and_b32_e32 v15, 0x1000, v15
	v_lshlrev_b32_e32 v38, 2, v61
	v_lshlrev_b32_e32 v39, 9, v61
	ds_write2_b32 v26, v12, v13 offset1:1
	v_or3_b32 v9, v9, v14, v16
	v_or3_b32 v11, v11, v40, v15
	v_lshrrev_b32_e32 v13, 4, v42
	v_lshrrev_b32_e32 v14, 12, v37
	;; [unrolled: 1-line block ×3, first 2 shown]
	v_and_b32_e32 v38, 0x100000, v38
	v_and_b32_e32 v39, 0x10000000, v39
	;; [unrolled: 1-line block ×5, first 2 shown]
	v_ashrrev_i32_e32 v17, v70, v17
	v_or3_b32 v10, v10, v38, v39
	v_lshlrev_b32_e32 v12, 18, v37
	v_lshlrev_b32_e32 v16, 25, v37
	;; [unrolled: 1-line block ×4, first 2 shown]
	v_or3_b32 v13, v14, v13, v15
	v_lshlrev_b32_e32 v14, 4, v17
	v_lshlrev_b32_e32 v15, 11, v17
	v_and_b32_e32 v12, 0x100000, v12
	v_and_b32_e32 v16, 0x10000000, v16
	;; [unrolled: 1-line block ×4, first 2 shown]
	s_waitcnt vmcnt(12)
	v_and_b32_e32 v39, 0xf0f0f0f, v43
	v_and_b32_e32 v14, 16, v14
	;; [unrolled: 1-line block ×3, first 2 shown]
	ds_write2_b32 v27, v9, v10 offset1:1
	v_or3_b32 v9, v11, v12, v16
	v_or3_b32 v10, v13, v38, v37
	v_lshrrev_b32_e32 v13, 4, v43
	v_or3_b32 v12, v14, v39, v15
	v_lshrrev_b32_e32 v14, 12, v17
	v_lshrrev_b32_e32 v15, 5, v17
	s_waitcnt vmcnt(8)
	v_ashrrev_i32_e32 v37, v70, v62
	v_and_b32_e32 v13, 0xf0f0f0f, v13
	v_lshlrev_b32_e32 v11, 18, v17
	v_and_b32_e32 v14, 16, v14
	v_and_b32_e32 v15, 0x1000, v15
	v_lshlrev_b32_e32 v16, 25, v17
	v_lshlrev_b32_e32 v38, 2, v17
	;; [unrolled: 1-line block ×3, first 2 shown]
	v_and_b32_e32 v11, 0x100000, v11
	v_or3_b32 v13, v14, v13, v15
	v_lshlrev_b32_e32 v14, 4, v37
	v_lshlrev_b32_e32 v15, 11, v37
	v_and_b32_e32 v16, 0x10000000, v16
	v_and_b32_e32 v38, 0x100000, v38
	;; [unrolled: 1-line block ×3, first 2 shown]
	s_waitcnt vmcnt(7)
	v_and_b32_e32 v39, 0xf0f0f0f, v63
	v_and_b32_e32 v14, 16, v14
	;; [unrolled: 1-line block ×3, first 2 shown]
	ds_write2_b32 v28, v9, v10 offset1:1
	v_or3_b32 v9, v12, v11, v16
	v_or3_b32 v10, v13, v38, v17
	v_lshrrev_b32_e32 v13, 4, v63
	v_or3_b32 v12, v14, v39, v15
	v_lshrrev_b32_e32 v14, 12, v37
	v_lshrrev_b32_e32 v15, 5, v37
	v_ashrrev_i32_e32 v17, v70, v46
	v_and_b32_e32 v13, 0xf0f0f0f, v13
	v_lshlrev_b32_e32 v11, 18, v37
	v_and_b32_e32 v14, 16, v14
	v_and_b32_e32 v15, 0x1000, v15
	v_lshlrev_b32_e32 v16, 25, v37
	v_lshlrev_b32_e32 v38, 2, v37
	;; [unrolled: 1-line block ×3, first 2 shown]
	v_and_b32_e32 v11, 0x100000, v11
	v_or3_b32 v13, v14, v13, v15
	v_lshlrev_b32_e32 v14, 4, v17
	v_lshlrev_b32_e32 v15, 11, v17
	v_and_b32_e32 v16, 0x10000000, v16
	v_and_b32_e32 v38, 0x100000, v38
	;; [unrolled: 1-line block ×3, first 2 shown]
	s_waitcnt vmcnt(6)
	v_and_b32_e32 v39, 0xf0f0f0f, v6
	v_and_b32_e32 v14, 16, v14
	;; [unrolled: 1-line block ×3, first 2 shown]
	v_lshlrev_b32_e32 v40, 18, v17
	v_lshlrev_b32_e32 v41, 25, v17
	v_or3_b32 v11, v12, v11, v16
	v_or3_b32 v12, v13, v38, v37
	;; [unrolled: 1-line block ×3, first 2 shown]
	v_and_b32_e32 v14, 0x100000, v40
	v_and_b32_e32 v15, 0x10000000, v41
	v_lshrrev_b32_e32 v16, 12, v17
	v_lshrrev_b32_e32 v37, 5, v17
	v_ashrrev_i32_e32 v38, v70, v45
	v_lshrrev_b32_e32 v6, 4, v6
	v_or3_b32 v13, v13, v14, v15
	v_and_b32_e32 v14, 16, v16
	v_and_b32_e32 v15, 0x1000, v37
	v_lshlrev_b32_e32 v16, 4, v38
	v_lshlrev_b32_e32 v37, 11, v38
	s_waitcnt vmcnt(5)
	v_and_b32_e32 v40, 0xf0f0f0f, v2
	v_and_b32_e32 v6, 0xf0f0f0f, v6
	v_lshlrev_b32_e32 v39, 2, v17
	v_and_b32_e32 v16, 16, v16
	v_and_b32_e32 v37, 0x1000, v37
	v_lshrrev_b32_e32 v2, 4, v2
	v_or3_b32 v6, v14, v6, v15
	v_and_b32_e32 v14, 0x100000, v39
	v_lshrrev_b32_e32 v39, 5, v38
	v_or3_b32 v16, v16, v40, v37
	v_ashrrev_i32_e32 v40, v70, v44
	v_lshrrev_b32_e32 v37, 12, v38
	v_and_b32_e32 v2, 0xf0f0f0f, v2
	v_and_b32_e32 v39, 0x1000, v39
	s_waitcnt vmcnt(4)
	v_and_b32_e32 v45, 0xf0f0f0f, v3
	v_lshlrev_b32_e32 v42, 4, v40
	v_lshlrev_b32_e32 v43, 11, v40
	v_and_b32_e32 v37, 16, v37
	v_lshlrev_b32_e32 v17, 9, v17
	v_lshlrev_b32_e32 v41, 18, v38
	v_and_b32_e32 v42, 16, v42
	v_and_b32_e32 v43, 0x1000, v43
	v_lshlrev_b32_e32 v44, 2, v38
	v_or3_b32 v2, v37, v2, v39
	v_lshrrev_b32_e32 v3, 4, v3
	v_and_b32_e32 v15, 0x10000000, v17
	v_or3_b32 v39, v42, v45, v43
	v_lshrrev_b32_e32 v42, 12, v40
	v_lshrrev_b32_e32 v43, 5, v40
	v_and_b32_e32 v17, 0x100000, v41
	v_lshlrev_b32_e32 v41, 25, v38
	v_lshlrev_b32_e32 v38, 9, v38
	v_and_b32_e32 v37, 0x100000, v44
	v_lshlrev_b32_e32 v44, 18, v40
	v_lshlrev_b32_e32 v45, 25, v40
	v_and_b32_e32 v3, 0xf0f0f0f, v3
	v_and_b32_e32 v42, 16, v42
	;; [unrolled: 1-line block ×3, first 2 shown]
	v_lshlrev_b32_e32 v46, 2, v40
	v_lshlrev_b32_e32 v40, 9, v40
	v_and_b32_e32 v41, 0x10000000, v41
	v_and_b32_e32 v38, 0x10000000, v38
	;; [unrolled: 1-line block ×4, first 2 shown]
	v_or3_b32 v3, v42, v3, v43
	v_and_b32_e32 v42, 0x100000, v46
	v_and_b32_e32 v40, 0x10000000, v40
	v_or3_b32 v6, v6, v14, v15
	v_or3_b32 v14, v16, v17, v41
	v_or3_b32 v2, v2, v37, v38
	v_or3_b32 v15, v39, v44, v45
	v_or3_b32 v3, v3, v42, v40
	ds_write2_b32 v29, v9, v10 offset1:1
	ds_write2_b32 v30, v11, v12 offset1:1
	ds_write2_b32 v31, v13, v6 offset1:1
	ds_write2_b32 v32, v14, v2 offset1:1
	ds_write2_b32 v33, v15, v3 offset1:1
	s_waitcnt vmcnt(3)
	ds_write_b32 v121, v4
	s_waitcnt vmcnt(2)
	ds_write_b32 v122, v5
	;; [unrolled: 2-line block ×4, first 2 shown]
	s_cbranch_scc0 .LBB144_5
; %bb.7:                                ;   in Loop: Header=BB144_6 Depth=1
	v_add_nc_u32_e32 v14, s11, v82
	v_add_nc_u32_e32 v158, s11, v34
	v_mov_b32_e32 v159, v110
	v_mov_b32_e32 v160, v102
	;; [unrolled: 1-line block ×3, first 2 shown]
	v_add_nc_u32_e32 v2, v14, v94
	v_add_nc_u32_e32 v4, v14, v95
	;; [unrolled: 1-line block ×5, first 2 shown]
	v_mad_u64_u32 v[12:13], null, v158, 36, s[2:3]
	v_mad_i64_i32 v[2:3], null, v2, 36, v[35:36]
	v_add_nc_u32_e32 v15, v14, v99
	v_mad_i64_i32 v[4:5], null, v4, 36, v[35:36]
	v_add_nc_u32_e32 v16, v14, v100
	;; [unrolled: 2-line block ×3, first 2 shown]
	v_mad_i64_i32 v[8:9], null, v8, 36, v[35:36]
	v_mad_i64_i32 v[10:11], null, v10, 36, v[35:36]
	;; [unrolled: 1-line block ×5, first 2 shown]
	s_clause 0x8
	global_load_dword v12, v[12:13], off
	global_load_dword v2, v[2:3], off offset:4
	global_load_dword v3, v[4:5], off offset:4
	;; [unrolled: 1-line block ×8, first 2 shown]
	v_mov_b32_e32 v162, v107
	v_mov_b32_e32 v163, v106
	;; [unrolled: 1-line block ×4, first 2 shown]
	s_mov_b32 s0, -4
	s_waitcnt vmcnt(8)
	ds_write_b32 v93, v12
	s_waitcnt vmcnt(7)
	ds_write_b32 v128, v2
	;; [unrolled: 2-line block ×9, first 2 shown]
	s_waitcnt lgkmcnt(0)
	s_barrier
	buffer_gl0_inv
.LBB144_8:                              ;   Parent Loop BB144_6 Depth=1
                                        ; =>  This Inner Loop Header: Depth=2
	v_add_nc_u32_e32 v10, 0x2080, v160
	ds_read_b128 v[6:9], v159
	ds_read2_b32 v[37:38], v160 offset1:1
	ds_read_b128 v[2:5], v159 offset:16
	v_mov_b32_e32 v167, 0
	v_mov_b32_e32 v166, 0
	ds_read2_b32 v[39:40], v10 offset1:1
	v_add_nc_u32_e32 v10, 0x4100, v160
	v_mov_b32_e32 v168, 0
	v_mov_b32_e32 v169, 0
	;; [unrolled: 1-line block ×3, first 2 shown]
	ds_read2_b32 v[47:48], v160 offset0:2 offset1:3
	ds_read2_b32 v[41:42], v10 offset1:1
	v_add_nc_u32_e32 v10, 0x6180, v160
	v_mov_b32_e32 v171, 0
	v_mov_b32_e32 v172, 0
	ds_read2_b32 v[57:58], v160 offset0:4 offset1:5
	v_mov_b32_e32 v173, 0
	ds_read2_b32 v[49:50], v10 offset1:1
	v_mov_b32_e32 v174, 0
	v_mov_b32_e32 v196, 0
	;; [unrolled: 1-line block ×3, first 2 shown]
	s_waitcnt lgkmcnt(6)
	v_dot4c_i32_i8 v167, v37, v6
	s_add_i32 s0, s0, 4
	ds_read_b128 v[13:16], v159 offset:2048
	s_cmp_lt_u32 s0, 12
	s_waitcnt lgkmcnt(5)
	v_dot4c_i32_i8 v166, v39, v6
	v_dot4c_i32_i8 v167, v38, v2
	ds_read_b128 v[175:178], v159 offset:3072
	ds_read_b128 v[180:183], v159 offset:4112
	;; [unrolled: 1-line block ×3, first 2 shown]
	v_dot4c_i32_i8 v166, v40, v2
	s_waitcnt lgkmcnt(6)
	v_dot4c_i32_i8 v168, v41, v6
	v_dot4c_i32_i8 v167, v47, v7
	ds_read_b128 v[188:191], v159 offset:6160
	ds_read_b128 v[192:195], v159 offset:7184
	v_dot4c_i32_i8 v168, v42, v2
	s_waitcnt lgkmcnt(6)
	v_dot4c_i32_i8 v169, v49, v6
	v_dot4c_i32_i8 v167, v48, v3
	;; [unrolled: 1-line block ×3, first 2 shown]
	v_add_nc_u32_e32 v2, 0x2088, v160
	v_dot4c_i32_i8 v167, v57, v8
	s_waitcnt lgkmcnt(5)
	v_dot4c_i32_i8 v173, v49, v13
	s_waitcnt lgkmcnt(4)
	v_dot4c_i32_i8 v174, v49, v175
	ds_read2_b32 v[51:52], v2 offset1:1
	v_add_nc_u32_e32 v2, 0x4108, v160
	v_dot4c_i32_i8 v167, v58, v4
	ds_read2_b32 v[55:56], v2 offset1:1
	v_add_nc_u32_e32 v2, 0x6188, v160
	ds_read2_b32 v[59:60], v2 offset1:1
	v_add_nc_u32_e32 v2, 0x2090, v160
	;; [unrolled: 2-line block ×3, first 2 shown]
	s_waitcnt lgkmcnt(3)
	v_dot4c_i32_i8 v166, v51, v7
	ds_read2_b32 v[63:64], v2 offset1:1
	v_add_nc_u32_e32 v2, 0x6190, v160
	s_waitcnt lgkmcnt(3)
	v_dot4c_i32_i8 v168, v55, v7
	v_dot4c_i32_i8 v166, v52, v3
	ds_read2_b32 v[65:66], v2 offset1:1
	v_dot4c_i32_i8 v168, v56, v3
	s_waitcnt lgkmcnt(3)
	v_dot4c_i32_i8 v169, v59, v7
	v_dot4c_i32_i8 v169, v60, v3
	s_waitcnt lgkmcnt(2)
	v_dot4c_i32_i8 v166, v61, v8
	ds_read2_b32 v[2:3], v160 offset0:6 offset1:7
	v_dot4c_i32_i8 v166, v62, v4
	s_waitcnt lgkmcnt(2)
	v_dot4c_i32_i8 v168, v63, v8
	v_dot4c_i32_i8 v168, v64, v4
	s_waitcnt lgkmcnt(1)
	v_dot4c_i32_i8 v169, v65, v8
	v_dot4c_i32_i8 v169, v66, v4
	v_add_nc_u32_e32 v4, 0x2098, v160
	ds_read2_b32 v[43:44], v4 offset1:1
	v_add_nc_u32_e32 v4, 0x4118, v160
	s_waitcnt lgkmcnt(1)
	v_dot4c_i32_i8 v167, v2, v9
	ds_read2_b32 v[45:46], v4 offset1:1
	v_add_nc_u32_e32 v4, 0x6198, v160
	v_dot4c_i32_i8 v167, v3, v5
	v_add_nc_u32_e32 v160, 32, v160
	ds_read2_b32 v[53:54], v4 offset1:1
	v_mov_b32_e32 v4, 0
	s_waitcnt lgkmcnt(2)
	v_dot4c_i32_i8 v166, v43, v9
	v_dot4c_i32_i8 v166, v44, v5
	s_waitcnt lgkmcnt(1)
	v_dot4c_i32_i8 v168, v45, v9
	v_dot4c_i32_i8 v168, v46, v5
	s_waitcnt lgkmcnt(0)
	v_dot4c_i32_i8 v169, v53, v9
	ds_read_b128 v[9:12], v159 offset:1024
	v_dot4c_i32_i8 v169, v54, v5
	s_waitcnt lgkmcnt(0)
	v_dot4c_i32_i8 v4, v37, v9
	v_dot4c_i32_i8 v170, v39, v9
	;; [unrolled: 1-line block ×4, first 2 shown]
	ds_read_b128 v[6:9], v159 offset:1040
	s_waitcnt lgkmcnt(0)
	v_dot4c_i32_i8 v4, v38, v6
	v_dot4c_i32_i8 v170, v40, v6
	v_dot4c_i32_i8 v171, v42, v6
	v_dot4c_i32_i8 v172, v50, v6
	v_mov_b32_e32 v6, 0
	v_dot4c_i32_i8 v4, v47, v10
	v_dot4c_i32_i8 v170, v51, v10
	v_dot4c_i32_i8 v171, v55, v10
	v_dot4c_i32_i8 v172, v59, v10
	v_dot4c_i32_i8 v6, v37, v13
	v_dot4c_i32_i8 v4, v48, v7
	v_dot4c_i32_i8 v170, v52, v7
	v_dot4c_i32_i8 v171, v56, v7
	v_dot4c_i32_i8 v172, v60, v7
	v_mov_b32_e32 v7, 0
	v_dot4c_i32_i8 v4, v57, v11
	v_dot4c_i32_i8 v170, v61, v11
	v_dot4c_i32_i8 v171, v63, v11
	v_dot4c_i32_i8 v172, v65, v11
	v_dot4c_i32_i8 v7, v39, v13
	;; [unrolled: 10-line block ×3, first 2 shown]
	ds_read_b128 v[10:13], v159 offset:2064
	v_dot4c_i32_i8 v4, v3, v9
	v_dot4c_i32_i8 v170, v44, v9
	;; [unrolled: 1-line block ×4, first 2 shown]
	v_cvt_f32_i32_e32 v4, v4
	s_waitcnt lgkmcnt(0)
	v_dot4c_i32_i8 v6, v38, v10
	v_dot4c_i32_i8 v7, v40, v10
	;; [unrolled: 1-line block ×4, first 2 shown]
	v_mov_b32_e32 v10, 0
	v_dot4c_i32_i8 v6, v47, v14
	v_dot4c_i32_i8 v7, v51, v14
	;; [unrolled: 1-line block ×9, first 2 shown]
	v_mov_b32_e32 v11, 0
	v_dot4c_i32_i8 v6, v57, v15
	v_dot4c_i32_i8 v7, v61, v15
	;; [unrolled: 1-line block ×9, first 2 shown]
	v_mov_b32_e32 v12, 0
	v_dot4c_i32_i8 v6, v2, v16
	v_dot4c_i32_i8 v7, v43, v16
	;; [unrolled: 1-line block ×4, first 2 shown]
	ds_read_b128 v[14:17], v159 offset:3088
	v_dot4c_i32_i8 v12, v41, v175
	v_mov_b32_e32 v175, 0
	v_dot4c_i32_i8 v6, v3, v13
	v_dot4c_i32_i8 v7, v44, v13
	;; [unrolled: 1-line block ×4, first 2 shown]
	v_cvt_f32_i32_e32 v6, v6
	s_waitcnt lgkmcnt(0)
	v_dot4c_i32_i8 v10, v38, v14
	v_dot4c_i32_i8 v11, v40, v14
	v_dot4c_i32_i8 v12, v42, v14
	v_dot4c_i32_i8 v174, v50, v14
	v_mov_b32_e32 v14, 0
	v_dot4c_i32_i8 v10, v47, v176
	v_dot4c_i32_i8 v11, v51, v176
	v_dot4c_i32_i8 v12, v55, v176
	v_dot4c_i32_i8 v174, v59, v176
	v_dot4c_i32_i8 v10, v48, v15
	v_dot4c_i32_i8 v11, v52, v15
	v_dot4c_i32_i8 v12, v56, v15
	v_dot4c_i32_i8 v174, v60, v15
	v_mov_b32_e32 v15, 0
	v_dot4c_i32_i8 v10, v57, v177
	v_dot4c_i32_i8 v11, v61, v177
	v_dot4c_i32_i8 v12, v63, v177
	v_dot4c_i32_i8 v174, v65, v177
	;; [unrolled: 9-line block ×3, first 2 shown]
	ds_read_b128 v[176:179], v159 offset:4096
	v_dot4c_i32_i8 v10, v3, v17
	v_dot4c_i32_i8 v11, v44, v17
	;; [unrolled: 1-line block ×4, first 2 shown]
	v_cvt_f32_i32_e32 v10, v10
	s_waitcnt lgkmcnt(0)
	v_dot4c_i32_i8 v15, v37, v176
	v_dot4c_i32_i8 v14, v39, v176
	;; [unrolled: 1-line block ×4, first 2 shown]
	v_mov_b32_e32 v176, 0
	v_dot4c_i32_i8 v15, v38, v180
	v_dot4c_i32_i8 v14, v40, v180
	;; [unrolled: 1-line block ×12, first 2 shown]
	v_mov_b32_e32 v181, 0
	v_dot4c_i32_i8 v15, v57, v178
	v_dot4c_i32_i8 v14, v61, v178
	;; [unrolled: 1-line block ×8, first 2 shown]
	v_mov_b32_e32 v182, 0
	v_dot4c_i32_i8 v15, v2, v179
	v_dot4c_i32_i8 v14, v43, v179
	;; [unrolled: 1-line block ×4, first 2 shown]
	ds_read_b128 v[177:180], v159 offset:5120
	v_dot4c_i32_i8 v15, v3, v183
	v_dot4c_i32_i8 v14, v44, v183
	;; [unrolled: 1-line block ×4, first 2 shown]
	v_cvt_f32_i32_e32 v15, v15
	v_cvt_f32_i32_e32 v14, v14
	s_waitcnt lgkmcnt(0)
	v_dot4c_i32_i8 v181, v37, v177
	v_dot4c_i32_i8 v176, v39, v177
	v_dot4c_i32_i8 v182, v41, v177
	v_dot4c_i32_i8 v196, v49, v177
	v_dot4c_i32_i8 v181, v38, v184
	v_dot4c_i32_i8 v176, v40, v184
	v_dot4c_i32_i8 v182, v42, v184
	v_dot4c_i32_i8 v196, v50, v184
	v_mov_b32_e32 v184, 0
	v_dot4c_i32_i8 v181, v47, v178
	v_dot4c_i32_i8 v176, v51, v178
	v_dot4c_i32_i8 v182, v55, v178
	v_dot4c_i32_i8 v196, v59, v178
	v_dot4c_i32_i8 v181, v48, v185
	v_dot4c_i32_i8 v176, v52, v185
	v_dot4c_i32_i8 v182, v56, v185
	v_dot4c_i32_i8 v196, v60, v185
	v_mov_b32_e32 v185, 0
	;; [unrolled: 9-line block ×3, first 2 shown]
	v_dot4c_i32_i8 v181, v2, v180
	v_dot4c_i32_i8 v176, v43, v180
	;; [unrolled: 1-line block ×4, first 2 shown]
	ds_read_b128 v[177:180], v159 offset:6144
	v_dot4c_i32_i8 v181, v3, v187
	v_dot4c_i32_i8 v176, v44, v187
	;; [unrolled: 1-line block ×4, first 2 shown]
	s_waitcnt lgkmcnt(0)
	v_dot4c_i32_i8 v184, v37, v177
	v_dot4c_i32_i8 v185, v39, v177
	;; [unrolled: 1-line block ×8, first 2 shown]
	v_mov_b32_e32 v188, 0
	v_dot4c_i32_i8 v184, v47, v178
	v_dot4c_i32_i8 v185, v51, v178
	;; [unrolled: 1-line block ×20, first 2 shown]
	ds_read_b128 v[177:180], v159 offset:7168
	v_dot4c_i32_i8 v184, v3, v191
	v_dot4c_i32_i8 v185, v44, v191
	;; [unrolled: 1-line block ×4, first 2 shown]
	v_add_nc_u32_e32 v159, 32, v159
	s_waitcnt lgkmcnt(0)
	v_dot4c_i32_i8 v188, v37, v177
	v_mov_b32_e32 v37, 0
	v_dot4c_i32_i8 v188, v38, v192
	v_mov_b32_e32 v38, 0
	;; [unrolled: 2-line block ×3, first 2 shown]
	v_dot4c_i32_i8 v188, v47, v178
	v_dot4c_i32_i8 v38, v41, v177
	v_dot4c_i32_i8 v37, v40, v192
	v_dot4c_i32_i8 v39, v49, v177
	v_dot4c_i32_i8 v188, v48, v193
	v_dot4c_i32_i8 v38, v42, v192
	v_dot4c_i32_i8 v37, v51, v178
	v_dot4c_i32_i8 v39, v50, v192
	v_dot4c_i32_i8 v188, v57, v179
	v_dot4c_i32_i8 v38, v55, v178
	v_dot4c_i32_i8 v37, v52, v193
	v_dot4c_i32_i8 v39, v59, v178
	v_dot4c_i32_i8 v188, v58, v194
	v_dot4c_i32_i8 v38, v56, v193
	v_dot4c_i32_i8 v37, v61, v179
	v_dot4c_i32_i8 v39, v60, v193
	v_dot4c_i32_i8 v188, v2, v180
	v_dot4c_i32_i8 v38, v63, v179
	v_dot4c_i32_i8 v37, v62, v194
	v_dot4c_i32_i8 v39, v65, v179
	v_dot4c_i32_i8 v188, v3, v195
	ds_read_b32 v5, v162
	ds_read_b32 v9, v163
	;; [unrolled: 1-line block ×4, first 2 shown]
	ds_read2_b32 v[2:3], v161 offset1:32
	v_dot4c_i32_i8 v38, v64, v194
	v_dot4c_i32_i8 v37, v43, v180
	;; [unrolled: 1-line block ×3, first 2 shown]
	v_add_nc_u32_e32 v165, 4, v165
	v_add_nc_u32_e32 v164, 4, v164
	v_dot4c_i32_i8 v38, v45, v180
	v_dot4c_i32_i8 v37, v44, v195
	;; [unrolled: 1-line block ×3, first 2 shown]
	v_add_nc_u32_e32 v163, 4, v163
	v_add_nc_u32_e32 v162, 4, v162
	v_dot4c_i32_i8 v38, v46, v195
	v_dot4c_i32_i8 v39, v54, v195
	s_waitcnt lgkmcnt(0)
	v_pk_mul_f16 v40, v2, v5
	v_pk_mul_f16 v41, v2, v9
	v_pk_mul_f16 v42, v2, v13
	v_pk_mul_f16 v43, v2, v17
	v_pk_mul_f16 v44, v5, v3
	v_pk_mul_f16 v45, v9, v3
	v_pk_mul_f16 v46, v13, v3
	v_pk_mul_f16 v47, v17, v3
	ds_read2_b32 v[2:3], v161 offset0:64 offset1:96
	v_fma_mix_f32 v4, v4, v44, v44 op_sel:[0,0,1] op_sel_hi:[0,1,1]
	v_cvt_f32_i32_e32 v44, v184
	v_add_f32_e32 v135, v135, v4
	v_cvt_f32_i32_e32 v4, v170
	v_fma_mix_f32 v4, v4, v45, v45 op_sel:[0,0,1] op_sel_hi:[0,1,1]
	v_cvt_f32_i32_e32 v45, v172
	v_add_f32_e32 v146, v146, v4
	v_fma_mix_f32 v45, v45, v47, v47 op_sel:[0,0,1] op_sel_hi:[0,1,1]
	v_cvt_f32_i32_e32 v47, v196
	s_waitcnt lgkmcnt(0)
	v_pk_mul_f16 v48, v5, v2
	v_pk_mul_f16 v49, v9, v2
	;; [unrolled: 1-line block ×8, first 2 shown]
	ds_read2_b32 v[2:3], v161 offset0:128 offset1:160
	v_fma_mix_f32 v6, v6, v48, v48 op_sel:[0,0,1] op_sel_hi:[0,1,1]
	v_cvt_f32_i32_e32 v48, v188
	v_fma_mix_f32 v10, v10, v52, v52 op_sel:[0,0,1] op_sel_hi:[0,1,1]
	v_add_f32_e32 v156, v156, v45
	v_add_f32_e32 v129, v129, v6
	v_cvt_f32_i32_e32 v6, v7
	v_cvt_f32_i32_e32 v7, v8
	;; [unrolled: 1-line block ×3, first 2 shown]
	v_add_f32_e32 v123, v123, v10
	v_cvt_f32_i32_e32 v10, v11
	v_fma_mix_f32 v6, v6, v49, v49 op_sel:[0,0,1] op_sel_hi:[0,1,1]
	v_cvt_f32_i32_e32 v11, v12
	v_cvt_f32_i32_e32 v12, v174
	;; [unrolled: 1-line block ×3, first 2 shown]
	v_fma_mix_f32 v7, v7, v50, v50 op_sel:[0,0,1] op_sel_hi:[0,1,1]
	v_fma_mix_f32 v8, v8, v51, v51 op_sel:[0,0,1] op_sel_hi:[0,1,1]
	;; [unrolled: 1-line block ×4, first 2 shown]
	s_waitcnt lgkmcnt(0)
	v_pk_mul_f16 v56, v5, v2
	v_pk_mul_f16 v57, v9, v2
	;; [unrolled: 1-line block ×8, first 2 shown]
	ds_read2_b32 v[2:3], v161 offset0:192 offset1:224
	v_fma_mix_f32 v15, v15, v56, v56 op_sel:[0,0,1] op_sel_hi:[0,1,1]
	v_fma_mix_f32 v12, v12, v55, v55 op_sel:[0,0,1] op_sel_hi:[0,1,1]
	;; [unrolled: 1-line block ×4, first 2 shown]
	v_add_f32_e32 v143, v143, v6
	v_add_f32_e32 v119, v119, v15
	v_cvt_f32_i32_e32 v15, v16
	v_cvt_f32_i32_e32 v16, v175
	v_add_f32_e32 v150, v150, v7
	v_add_f32_e32 v155, v155, v8
	;; [unrolled: 1-line block ×3, first 2 shown]
	v_fma_mix_f32 v15, v15, v58, v58 op_sel:[0,0,1] op_sel_hi:[0,1,1]
	v_fma_mix_f32 v16, v16, v59, v59 op_sel:[0,0,1] op_sel_hi:[0,1,1]
	v_add_nc_u32_e32 v161, 4, v161
	v_add_f32_e32 v147, v147, v11
	v_add_f32_e32 v153, v153, v12
	;; [unrolled: 1-line block ×5, first 2 shown]
	s_waitcnt lgkmcnt(0)
	v_pk_mul_f16 v64, v5, v2
	v_pk_mul_f16 v5, v5, v3
	;; [unrolled: 1-line block ×8, first 2 shown]
	v_cvt_f32_i32_e32 v17, v167
	v_fma_mix_f32 v5, v48, v5, v5 op_sel:[0,0,1] op_sel_hi:[0,1,1]
	v_fma_mix_f32 v44, v44, v64, v64 op_sel:[0,0,1] op_sel_hi:[0,1,1]
	v_cvt_f32_i32_e32 v48, v186
	v_fma_mix_f32 v2, v49, v2, v2 op_sel:[0,0,1] op_sel_hi:[0,1,1]
	v_fma_mix_f32 v17, v40, v17, v40 op_sel:[0,0,1] op_sel_hi:[1,0,1]
	v_cvt_f32_i32_e32 v40, v181
	v_add_f32_e32 v108, v108, v5
	v_cvt_f32_i32_e32 v5, v37
	v_add_f32_e32 v112, v112, v44
	v_add_f32_e32 v69, v69, v17
	v_cvt_f32_i32_e32 v17, v166
	v_fma_mix_f32 v40, v40, v60, v60 op_sel:[0,0,1] op_sel_hi:[0,1,1]
	v_fma_mix_f32 v5, v5, v9, v9 op_sel:[0,0,1] op_sel_hi:[0,1,1]
	v_cvt_f32_i32_e32 v9, v38
	v_cvt_f32_i32_e32 v44, v185
	v_fma_mix_f32 v17, v41, v17, v41 op_sel:[0,0,1] op_sel_hi:[1,0,1]
	v_cvt_f32_i32_e32 v41, v168
	v_add_f32_e32 v115, v115, v40
	v_cvt_f32_i32_e32 v40, v176
	v_fma_mix_f32 v9, v9, v13, v13 op_sel:[0,0,1] op_sel_hi:[0,1,1]
	v_cvt_f32_i32_e32 v13, v39
	v_fma_mix_f32 v41, v42, v41, v42 op_sel:[0,0,1] op_sel_hi:[1,0,1]
	;; [unrolled: 2-line block ×3, first 2 shown]
	v_fma_mix_f32 v44, v44, v65, v65 op_sel:[0,0,1] op_sel_hi:[0,1,1]
	v_fma_mix_f32 v48, v48, v66, v66 op_sel:[0,0,1] op_sel_hi:[0,1,1]
	;; [unrolled: 1-line block ×4, first 2 shown]
	v_cvt_f32_i32_e32 v43, v171
	v_add_f32_e32 v149, v149, v17
	v_add_f32_e32 v154, v154, v41
	;; [unrolled: 1-line block ×4, first 2 shown]
	v_fma_mix_f32 v43, v43, v46, v46 op_sel:[0,0,1] op_sel_hi:[0,1,1]
	v_cvt_f32_i32_e32 v46, v182
	v_add_f32_e32 v148, v148, v47
	v_add_f32_e32 v120, v120, v44
	v_add_f32_e32 v133, v133, v48
	v_add_f32_e32 v152, v152, v43
	v_fma_mix_f32 v46, v46, v62, v62 op_sel:[0,0,1] op_sel_hi:[0,1,1]
	v_add_f32_e32 v145, v145, v2
	v_add_f32_e32 v116, v116, v5
	;; [unrolled: 1-line block ×5, first 2 shown]
	s_cbranch_scc1 .LBB144_8
; %bb.9:                                ;   in Loop: Header=BB144_6 Depth=1
	s_and_b32 s0, s9, -4
	s_cmp_eq_u32 s0, 4
	s_barrier
	buffer_gl0_inv
	s_cbranch_scc1 .LBB144_5
; %bb.10:                               ;   in Loop: Header=BB144_6 Depth=1
	v_add_nc_u32_e32 v14, s11, v103
	v_add_nc_u32_e32 v12, 4, v158
	v_mov_b32_e32 v158, v109
	v_mov_b32_e32 v159, v110
	;; [unrolled: 1-line block ×3, first 2 shown]
	v_add_nc_u32_e32 v2, v14, v94
	v_add_nc_u32_e32 v4, v14, v95
	;; [unrolled: 1-line block ×5, first 2 shown]
	v_mad_u64_u32 v[12:13], null, v12, 36, s[2:3]
	v_mad_i64_i32 v[2:3], null, v2, 36, v[35:36]
	v_add_nc_u32_e32 v15, v14, v99
	v_mad_i64_i32 v[4:5], null, v4, 36, v[35:36]
	v_add_nc_u32_e32 v16, v14, v100
	;; [unrolled: 2-line block ×3, first 2 shown]
	v_mad_i64_i32 v[8:9], null, v8, 36, v[35:36]
	v_mad_i64_i32 v[10:11], null, v10, 36, v[35:36]
	v_mad_i64_i32 v[14:15], null, v15, 36, v[35:36]
	v_mad_i64_i32 v[16:17], null, v16, 36, v[35:36]
	v_mad_i64_i32 v[37:38], null, v37, 36, v[35:36]
	s_clause 0x8
	global_load_dword v12, v[12:13], off
	global_load_dword v2, v[2:3], off offset:4
	global_load_dword v3, v[4:5], off offset:4
	;; [unrolled: 1-line block ×8, first 2 shown]
	v_mov_b32_e32 v161, v117
	v_mov_b32_e32 v162, v114
	;; [unrolled: 1-line block ×4, first 2 shown]
	s_mov_b32 s0, 12
	s_waitcnt vmcnt(8)
	ds_write_b32 v93, v12
	s_waitcnt vmcnt(7)
	ds_write_b32 v128, v2
	s_waitcnt vmcnt(6)
	ds_write_b32 v130, v3
	s_waitcnt vmcnt(5)
	ds_write_b32 v132, v4
	s_waitcnt vmcnt(4)
	ds_write_b32 v134, v5
	s_waitcnt vmcnt(3)
	ds_write_b32 v136, v6
	s_waitcnt vmcnt(2)
	ds_write_b32 v138, v7
	s_waitcnt vmcnt(1)
	ds_write_b32 v140, v8
	s_waitcnt vmcnt(0)
	ds_write_b32 v142, v9
	s_waitcnt lgkmcnt(0)
	s_barrier
	buffer_gl0_inv
.LBB144_11:                             ;   Parent Loop BB144_6 Depth=1
                                        ; =>  This Inner Loop Header: Depth=2
	v_add_nc_u32_e32 v10, 0x2080, v160
	ds_read_b128 v[6:9], v159
	ds_read2_b32 v[37:38], v160 offset1:1
	ds_read_b128 v[2:5], v159 offset:16
	v_mov_b32_e32 v166, 0
	v_mov_b32_e32 v165, 0
	ds_read2_b32 v[39:40], v10 offset1:1
	v_add_nc_u32_e32 v10, 0x4100, v160
	v_mov_b32_e32 v167, 0
	v_mov_b32_e32 v168, 0
	;; [unrolled: 1-line block ×3, first 2 shown]
	ds_read2_b32 v[47:48], v160 offset0:2 offset1:3
	ds_read2_b32 v[41:42], v10 offset1:1
	v_add_nc_u32_e32 v10, 0x6180, v160
	v_mov_b32_e32 v170, 0
	v_mov_b32_e32 v171, 0
	ds_read2_b32 v[57:58], v160 offset0:4 offset1:5
	v_mov_b32_e32 v172, 0
	ds_read2_b32 v[49:50], v10 offset1:1
	v_mov_b32_e32 v173, 0
	v_mov_b32_e32 v195, 0
	v_mov_b32_e32 v196, 0
	s_waitcnt lgkmcnt(6)
	v_dot4c_i32_i8 v166, v37, v6
	s_add_i32 s0, s0, 4
	ds_read_b128 v[13:16], v159 offset:2048
	s_cmp_lt_u32 s0, 28
	s_waitcnt lgkmcnt(5)
	v_dot4c_i32_i8 v165, v39, v6
	v_dot4c_i32_i8 v166, v38, v2
	ds_read_b128 v[174:177], v159 offset:3072
	ds_read_b128 v[179:182], v159 offset:4112
	;; [unrolled: 1-line block ×3, first 2 shown]
	v_dot4c_i32_i8 v165, v40, v2
	s_waitcnt lgkmcnt(6)
	v_dot4c_i32_i8 v167, v41, v6
	v_dot4c_i32_i8 v166, v47, v7
	ds_read_b128 v[187:190], v159 offset:6160
	ds_read_b128 v[191:194], v159 offset:7184
	v_dot4c_i32_i8 v167, v42, v2
	s_waitcnt lgkmcnt(6)
	v_dot4c_i32_i8 v168, v49, v6
	v_dot4c_i32_i8 v166, v48, v3
	v_dot4c_i32_i8 v168, v50, v2
	v_add_nc_u32_e32 v2, 0x2088, v160
	v_dot4c_i32_i8 v166, v57, v8
	s_waitcnt lgkmcnt(5)
	v_dot4c_i32_i8 v172, v49, v13
	s_waitcnt lgkmcnt(4)
	v_dot4c_i32_i8 v173, v49, v174
	ds_read2_b32 v[51:52], v2 offset1:1
	v_add_nc_u32_e32 v2, 0x4108, v160
	v_dot4c_i32_i8 v166, v58, v4
	ds_read2_b32 v[55:56], v2 offset1:1
	v_add_nc_u32_e32 v2, 0x6188, v160
	ds_read2_b32 v[59:60], v2 offset1:1
	v_add_nc_u32_e32 v2, 0x2090, v160
	;; [unrolled: 2-line block ×3, first 2 shown]
	s_waitcnt lgkmcnt(3)
	v_dot4c_i32_i8 v165, v51, v7
	ds_read2_b32 v[63:64], v2 offset1:1
	v_add_nc_u32_e32 v2, 0x6190, v160
	s_waitcnt lgkmcnt(3)
	v_dot4c_i32_i8 v167, v55, v7
	v_dot4c_i32_i8 v165, v52, v3
	ds_read2_b32 v[65:66], v2 offset1:1
	v_dot4c_i32_i8 v167, v56, v3
	s_waitcnt lgkmcnt(3)
	v_dot4c_i32_i8 v168, v59, v7
	v_dot4c_i32_i8 v168, v60, v3
	s_waitcnt lgkmcnt(2)
	v_dot4c_i32_i8 v165, v61, v8
	ds_read2_b32 v[2:3], v160 offset0:6 offset1:7
	v_dot4c_i32_i8 v165, v62, v4
	s_waitcnt lgkmcnt(2)
	v_dot4c_i32_i8 v167, v63, v8
	v_dot4c_i32_i8 v167, v64, v4
	s_waitcnt lgkmcnt(1)
	v_dot4c_i32_i8 v168, v65, v8
	v_dot4c_i32_i8 v168, v66, v4
	v_add_nc_u32_e32 v4, 0x2098, v160
	ds_read2_b32 v[43:44], v4 offset1:1
	v_add_nc_u32_e32 v4, 0x4118, v160
	s_waitcnt lgkmcnt(1)
	v_dot4c_i32_i8 v166, v2, v9
	ds_read2_b32 v[45:46], v4 offset1:1
	v_add_nc_u32_e32 v4, 0x6198, v160
	v_dot4c_i32_i8 v166, v3, v5
	v_add_nc_u32_e32 v160, 32, v160
	ds_read2_b32 v[53:54], v4 offset1:1
	v_mov_b32_e32 v4, 0
	s_waitcnt lgkmcnt(2)
	v_dot4c_i32_i8 v165, v43, v9
	v_dot4c_i32_i8 v165, v44, v5
	s_waitcnt lgkmcnt(1)
	v_dot4c_i32_i8 v167, v45, v9
	v_dot4c_i32_i8 v167, v46, v5
	s_waitcnt lgkmcnt(0)
	v_dot4c_i32_i8 v168, v53, v9
	ds_read_b128 v[9:12], v159 offset:1024
	v_dot4c_i32_i8 v168, v54, v5
	s_waitcnt lgkmcnt(0)
	v_dot4c_i32_i8 v4, v37, v9
	v_dot4c_i32_i8 v169, v39, v9
	;; [unrolled: 1-line block ×4, first 2 shown]
	ds_read_b128 v[6:9], v159 offset:1040
	s_waitcnt lgkmcnt(0)
	v_dot4c_i32_i8 v4, v38, v6
	v_dot4c_i32_i8 v169, v40, v6
	v_dot4c_i32_i8 v170, v42, v6
	v_dot4c_i32_i8 v171, v50, v6
	v_mov_b32_e32 v6, 0
	v_dot4c_i32_i8 v4, v47, v10
	v_dot4c_i32_i8 v169, v51, v10
	v_dot4c_i32_i8 v170, v55, v10
	v_dot4c_i32_i8 v171, v59, v10
	v_dot4c_i32_i8 v6, v37, v13
	v_dot4c_i32_i8 v4, v48, v7
	v_dot4c_i32_i8 v169, v52, v7
	v_dot4c_i32_i8 v170, v56, v7
	v_dot4c_i32_i8 v171, v60, v7
	v_mov_b32_e32 v7, 0
	v_dot4c_i32_i8 v4, v57, v11
	v_dot4c_i32_i8 v169, v61, v11
	v_dot4c_i32_i8 v170, v63, v11
	v_dot4c_i32_i8 v171, v65, v11
	v_dot4c_i32_i8 v7, v39, v13
	;; [unrolled: 10-line block ×3, first 2 shown]
	ds_read_b128 v[10:13], v159 offset:2064
	v_dot4c_i32_i8 v4, v3, v9
	v_dot4c_i32_i8 v169, v44, v9
	;; [unrolled: 1-line block ×4, first 2 shown]
	v_cvt_f32_i32_e32 v4, v4
	s_waitcnt lgkmcnt(0)
	v_dot4c_i32_i8 v6, v38, v10
	v_dot4c_i32_i8 v7, v40, v10
	;; [unrolled: 1-line block ×4, first 2 shown]
	v_mov_b32_e32 v10, 0
	v_dot4c_i32_i8 v6, v47, v14
	v_dot4c_i32_i8 v7, v51, v14
	;; [unrolled: 1-line block ×9, first 2 shown]
	v_mov_b32_e32 v11, 0
	v_dot4c_i32_i8 v6, v57, v15
	v_dot4c_i32_i8 v7, v61, v15
	;; [unrolled: 1-line block ×9, first 2 shown]
	v_mov_b32_e32 v12, 0
	v_dot4c_i32_i8 v6, v2, v16
	v_dot4c_i32_i8 v7, v43, v16
	;; [unrolled: 1-line block ×4, first 2 shown]
	ds_read_b128 v[14:17], v159 offset:3088
	v_dot4c_i32_i8 v12, v41, v174
	v_mov_b32_e32 v174, 0
	v_dot4c_i32_i8 v6, v3, v13
	v_dot4c_i32_i8 v7, v44, v13
	;; [unrolled: 1-line block ×4, first 2 shown]
	v_cvt_f32_i32_e32 v6, v6
	s_waitcnt lgkmcnt(0)
	v_dot4c_i32_i8 v10, v38, v14
	v_dot4c_i32_i8 v11, v40, v14
	v_dot4c_i32_i8 v12, v42, v14
	v_dot4c_i32_i8 v173, v50, v14
	v_mov_b32_e32 v14, 0
	v_dot4c_i32_i8 v10, v47, v175
	v_dot4c_i32_i8 v11, v51, v175
	v_dot4c_i32_i8 v12, v55, v175
	v_dot4c_i32_i8 v173, v59, v175
	v_dot4c_i32_i8 v10, v48, v15
	v_dot4c_i32_i8 v11, v52, v15
	v_dot4c_i32_i8 v12, v56, v15
	v_dot4c_i32_i8 v173, v60, v15
	v_mov_b32_e32 v15, 0
	v_dot4c_i32_i8 v10, v57, v176
	v_dot4c_i32_i8 v11, v61, v176
	v_dot4c_i32_i8 v12, v63, v176
	v_dot4c_i32_i8 v173, v65, v176
	;; [unrolled: 9-line block ×3, first 2 shown]
	ds_read_b128 v[175:178], v159 offset:4096
	v_dot4c_i32_i8 v10, v3, v17
	v_dot4c_i32_i8 v11, v44, v17
	;; [unrolled: 1-line block ×4, first 2 shown]
	v_cvt_f32_i32_e32 v10, v10
	s_waitcnt lgkmcnt(0)
	v_dot4c_i32_i8 v15, v37, v175
	v_dot4c_i32_i8 v14, v39, v175
	;; [unrolled: 1-line block ×4, first 2 shown]
	v_mov_b32_e32 v175, 0
	v_dot4c_i32_i8 v15, v38, v179
	v_dot4c_i32_i8 v14, v40, v179
	;; [unrolled: 1-line block ×12, first 2 shown]
	v_mov_b32_e32 v180, 0
	v_dot4c_i32_i8 v15, v57, v177
	v_dot4c_i32_i8 v14, v61, v177
	v_dot4c_i32_i8 v16, v63, v177
	v_dot4c_i32_i8 v174, v65, v177
	v_dot4c_i32_i8 v15, v58, v181
	v_dot4c_i32_i8 v14, v62, v181
	v_dot4c_i32_i8 v16, v64, v181
	v_dot4c_i32_i8 v174, v66, v181
	v_mov_b32_e32 v181, 0
	v_dot4c_i32_i8 v15, v2, v178
	v_dot4c_i32_i8 v14, v43, v178
	;; [unrolled: 1-line block ×4, first 2 shown]
	ds_read_b128 v[176:179], v159 offset:5120
	v_dot4c_i32_i8 v15, v3, v182
	v_dot4c_i32_i8 v14, v44, v182
	;; [unrolled: 1-line block ×4, first 2 shown]
	v_cvt_f32_i32_e32 v15, v15
	v_cvt_f32_i32_e32 v14, v14
	s_waitcnt lgkmcnt(0)
	v_dot4c_i32_i8 v180, v37, v176
	v_dot4c_i32_i8 v175, v39, v176
	v_dot4c_i32_i8 v181, v41, v176
	v_dot4c_i32_i8 v195, v49, v176
	v_dot4c_i32_i8 v180, v38, v183
	v_dot4c_i32_i8 v175, v40, v183
	v_dot4c_i32_i8 v181, v42, v183
	v_dot4c_i32_i8 v195, v50, v183
	v_mov_b32_e32 v183, 0
	v_dot4c_i32_i8 v180, v47, v177
	v_dot4c_i32_i8 v175, v51, v177
	v_dot4c_i32_i8 v181, v55, v177
	v_dot4c_i32_i8 v195, v59, v177
	v_dot4c_i32_i8 v180, v48, v184
	v_dot4c_i32_i8 v175, v52, v184
	v_dot4c_i32_i8 v181, v56, v184
	v_dot4c_i32_i8 v195, v60, v184
	v_mov_b32_e32 v184, 0
	;; [unrolled: 9-line block ×3, first 2 shown]
	v_dot4c_i32_i8 v180, v2, v179
	v_dot4c_i32_i8 v175, v43, v179
	v_dot4c_i32_i8 v181, v45, v179
	v_dot4c_i32_i8 v195, v53, v179
	ds_read_b128 v[176:179], v159 offset:6144
	v_dot4c_i32_i8 v180, v3, v186
	v_dot4c_i32_i8 v175, v44, v186
	v_dot4c_i32_i8 v181, v46, v186
	v_dot4c_i32_i8 v195, v54, v186
	s_waitcnt lgkmcnt(0)
	v_dot4c_i32_i8 v183, v37, v176
	v_dot4c_i32_i8 v184, v39, v176
	;; [unrolled: 1-line block ×8, first 2 shown]
	v_mov_b32_e32 v187, 0
	v_dot4c_i32_i8 v183, v47, v177
	v_dot4c_i32_i8 v184, v51, v177
	;; [unrolled: 1-line block ×20, first 2 shown]
	ds_read_b128 v[176:179], v159 offset:7168
	v_dot4c_i32_i8 v183, v3, v190
	v_dot4c_i32_i8 v184, v44, v190
	v_dot4c_i32_i8 v185, v46, v190
	v_dot4c_i32_i8 v196, v54, v190
	v_add_nc_u32_e32 v159, 32, v159
	s_waitcnt lgkmcnt(0)
	v_dot4c_i32_i8 v187, v37, v176
	v_mov_b32_e32 v37, 0
	v_dot4c_i32_i8 v187, v38, v191
	v_mov_b32_e32 v38, 0
	;; [unrolled: 2-line block ×3, first 2 shown]
	v_dot4c_i32_i8 v187, v47, v177
	v_dot4c_i32_i8 v38, v41, v176
	;; [unrolled: 1-line block ×21, first 2 shown]
	ds_read_b32 v5, v161
	ds_read_b32 v9, v162
	;; [unrolled: 1-line block ×4, first 2 shown]
	ds_read2_b32 v[2:3], v158 offset1:32
	v_dot4c_i32_i8 v38, v64, v193
	v_dot4c_i32_i8 v37, v43, v179
	;; [unrolled: 1-line block ×3, first 2 shown]
	v_add_nc_u32_e32 v164, 4, v164
	v_add_nc_u32_e32 v163, 4, v163
	v_dot4c_i32_i8 v38, v45, v179
	v_dot4c_i32_i8 v37, v44, v194
	;; [unrolled: 1-line block ×3, first 2 shown]
	v_add_nc_u32_e32 v162, 4, v162
	v_add_nc_u32_e32 v161, 4, v161
	v_dot4c_i32_i8 v38, v46, v194
	v_dot4c_i32_i8 v39, v54, v194
	s_waitcnt lgkmcnt(0)
	v_pk_mul_f16 v40, v2, v5
	v_pk_mul_f16 v41, v2, v9
	;; [unrolled: 1-line block ×8, first 2 shown]
	ds_read2_b32 v[2:3], v158 offset0:64 offset1:96
	v_fma_mix_f32 v4, v4, v44, v44 op_sel:[0,0,1] op_sel_hi:[0,1,1]
	v_cvt_f32_i32_e32 v44, v183
	v_add_f32_e32 v135, v135, v4
	v_cvt_f32_i32_e32 v4, v169
	v_fma_mix_f32 v4, v4, v45, v45 op_sel:[0,0,1] op_sel_hi:[0,1,1]
	v_cvt_f32_i32_e32 v45, v171
	v_add_f32_e32 v146, v146, v4
	v_fma_mix_f32 v45, v45, v47, v47 op_sel:[0,0,1] op_sel_hi:[0,1,1]
	v_cvt_f32_i32_e32 v47, v195
	s_waitcnt lgkmcnt(0)
	v_pk_mul_f16 v48, v5, v2
	v_pk_mul_f16 v49, v9, v2
	;; [unrolled: 1-line block ×8, first 2 shown]
	ds_read2_b32 v[2:3], v158 offset0:128 offset1:160
	v_fma_mix_f32 v6, v6, v48, v48 op_sel:[0,0,1] op_sel_hi:[0,1,1]
	v_cvt_f32_i32_e32 v48, v187
	v_fma_mix_f32 v10, v10, v52, v52 op_sel:[0,0,1] op_sel_hi:[0,1,1]
	v_add_f32_e32 v156, v156, v45
	v_add_f32_e32 v129, v129, v6
	v_cvt_f32_i32_e32 v6, v7
	v_cvt_f32_i32_e32 v7, v8
	;; [unrolled: 1-line block ×3, first 2 shown]
	v_add_f32_e32 v123, v123, v10
	v_cvt_f32_i32_e32 v10, v11
	v_fma_mix_f32 v6, v6, v49, v49 op_sel:[0,0,1] op_sel_hi:[0,1,1]
	v_cvt_f32_i32_e32 v11, v12
	v_cvt_f32_i32_e32 v12, v173
	;; [unrolled: 1-line block ×3, first 2 shown]
	v_fma_mix_f32 v7, v7, v50, v50 op_sel:[0,0,1] op_sel_hi:[0,1,1]
	v_fma_mix_f32 v8, v8, v51, v51 op_sel:[0,0,1] op_sel_hi:[0,1,1]
	;; [unrolled: 1-line block ×4, first 2 shown]
	s_waitcnt lgkmcnt(0)
	v_pk_mul_f16 v56, v5, v2
	v_pk_mul_f16 v57, v9, v2
	;; [unrolled: 1-line block ×8, first 2 shown]
	ds_read2_b32 v[2:3], v158 offset0:192 offset1:224
	v_fma_mix_f32 v15, v15, v56, v56 op_sel:[0,0,1] op_sel_hi:[0,1,1]
	v_fma_mix_f32 v12, v12, v55, v55 op_sel:[0,0,1] op_sel_hi:[0,1,1]
	;; [unrolled: 1-line block ×4, first 2 shown]
	v_add_f32_e32 v143, v143, v6
	v_add_f32_e32 v119, v119, v15
	v_cvt_f32_i32_e32 v15, v16
	v_cvt_f32_i32_e32 v16, v174
	v_add_f32_e32 v150, v150, v7
	v_add_f32_e32 v155, v155, v8
	v_add_f32_e32 v137, v137, v10
	v_fma_mix_f32 v15, v15, v58, v58 op_sel:[0,0,1] op_sel_hi:[0,1,1]
	v_fma_mix_f32 v16, v16, v59, v59 op_sel:[0,0,1] op_sel_hi:[0,1,1]
	v_add_nc_u32_e32 v158, 4, v158
	v_add_f32_e32 v147, v147, v11
	v_add_f32_e32 v153, v153, v12
	;; [unrolled: 1-line block ×5, first 2 shown]
	s_waitcnt lgkmcnt(0)
	v_pk_mul_f16 v64, v5, v2
	v_pk_mul_f16 v5, v5, v3
	;; [unrolled: 1-line block ×8, first 2 shown]
	v_cvt_f32_i32_e32 v17, v166
	v_fma_mix_f32 v5, v48, v5, v5 op_sel:[0,0,1] op_sel_hi:[0,1,1]
	v_fma_mix_f32 v44, v44, v64, v64 op_sel:[0,0,1] op_sel_hi:[0,1,1]
	v_cvt_f32_i32_e32 v48, v185
	v_fma_mix_f32 v2, v49, v2, v2 op_sel:[0,0,1] op_sel_hi:[0,1,1]
	v_fma_mix_f32 v17, v40, v17, v40 op_sel:[0,0,1] op_sel_hi:[1,0,1]
	v_cvt_f32_i32_e32 v40, v180
	v_add_f32_e32 v108, v108, v5
	v_cvt_f32_i32_e32 v5, v37
	v_add_f32_e32 v112, v112, v44
	v_add_f32_e32 v69, v69, v17
	v_cvt_f32_i32_e32 v17, v165
	v_fma_mix_f32 v40, v40, v60, v60 op_sel:[0,0,1] op_sel_hi:[0,1,1]
	v_fma_mix_f32 v5, v5, v9, v9 op_sel:[0,0,1] op_sel_hi:[0,1,1]
	v_cvt_f32_i32_e32 v9, v38
	v_cvt_f32_i32_e32 v44, v184
	v_fma_mix_f32 v17, v41, v17, v41 op_sel:[0,0,1] op_sel_hi:[1,0,1]
	v_cvt_f32_i32_e32 v41, v167
	v_add_f32_e32 v115, v115, v40
	v_cvt_f32_i32_e32 v40, v175
	v_fma_mix_f32 v9, v9, v13, v13 op_sel:[0,0,1] op_sel_hi:[0,1,1]
	v_cvt_f32_i32_e32 v13, v39
	v_fma_mix_f32 v41, v42, v41, v42 op_sel:[0,0,1] op_sel_hi:[1,0,1]
	;; [unrolled: 2-line block ×3, first 2 shown]
	v_fma_mix_f32 v44, v44, v65, v65 op_sel:[0,0,1] op_sel_hi:[0,1,1]
	v_fma_mix_f32 v48, v48, v66, v66 op_sel:[0,0,1] op_sel_hi:[0,1,1]
	v_fma_mix_f32 v3, v13, v3, v3 op_sel:[0,0,1] op_sel_hi:[0,1,1]
	v_fma_mix_f32 v42, v43, v42, v43 op_sel:[0,0,1] op_sel_hi:[1,0,1]
	v_cvt_f32_i32_e32 v43, v170
	v_add_f32_e32 v149, v149, v17
	v_add_f32_e32 v154, v154, v41
	;; [unrolled: 1-line block ×4, first 2 shown]
	v_fma_mix_f32 v43, v43, v46, v46 op_sel:[0,0,1] op_sel_hi:[0,1,1]
	v_cvt_f32_i32_e32 v46, v181
	v_add_f32_e32 v148, v148, v47
	v_add_f32_e32 v120, v120, v44
	;; [unrolled: 1-line block ×4, first 2 shown]
	v_fma_mix_f32 v46, v46, v62, v62 op_sel:[0,0,1] op_sel_hi:[0,1,1]
	v_add_f32_e32 v145, v145, v2
	v_add_f32_e32 v116, v116, v5
	;; [unrolled: 1-line block ×5, first 2 shown]
	s_cbranch_scc1 .LBB144_11
; %bb.12:                               ;   in Loop: Header=BB144_6 Depth=1
	s_barrier
	buffer_gl0_inv
	s_branch .LBB144_5
.LBB144_13:
	v_cvt_f16_f32_e32 v12, v69
	v_cvt_f16_f32_e32 v13, v149
	;; [unrolled: 1-line block ×32, first 2 shown]
	v_mov_b32_e32 v34, v67
.LBB144_14:
	s_mov_b32 s0, exec_lo
	v_cmpx_gt_u32_e64 s10, v34
	s_cbranch_execz .LBB144_65
; %bb.15:
	v_add_nc_u32_e32 v0, s6, v0
	v_mul_lo_u32 v34, v34, s14
	v_cmp_gt_u32_e32 vcc_lo, s14, v0
	s_and_saveexec_b32 s1, vcc_lo
	s_cbranch_execz .LBB144_17
; %bb.16:
	v_add_nc_u32_e32 v35, v0, v34
	v_mov_b32_e32 v36, 0
	v_lshlrev_b64 v[35:36], 1, v[35:36]
	s_waitcnt lgkmcnt(0)
	v_add_co_u32 v35, s0, s12, v35
	v_add_co_ci_u32_e64 v36, null, s13, v36, s0
	global_store_short v[35:36], v12, off
.LBB144_17:
	s_or_b32 exec_lo, exec_lo, s1
	v_add_nc_u32_e32 v12, 32, v0
	v_cmp_gt_u32_e64 s0, s14, v12
	s_and_saveexec_b32 s2, s0
	s_cbranch_execz .LBB144_19
; %bb.18:
	v_add_nc_u32_e32 v35, v12, v34
	v_mov_b32_e32 v36, 0
	v_lshlrev_b64 v[35:36], 1, v[35:36]
	s_waitcnt lgkmcnt(0)
	v_add_co_u32 v35, s1, s12, v35
	v_add_co_ci_u32_e64 v36, null, s13, v36, s1
	global_store_short v[35:36], v13, off
.LBB144_19:
	s_or_b32 exec_lo, exec_lo, s2
	v_add_nc_u32_e32 v13, 64, v0
	v_cmp_gt_u32_e64 s1, s14, v13
	s_and_saveexec_b32 s3, s1
	;; [unrolled: 14-line block ×3, first 2 shown]
	s_cbranch_execz .LBB144_23
; %bb.22:
	v_add_nc_u32_e32 v34, v14, v34
	v_mov_b32_e32 v35, 0
	v_lshlrev_b64 v[34:35], 1, v[34:35]
	s_waitcnt lgkmcnt(0)
	v_add_co_u32 v34, s3, s12, v34
	v_add_co_ci_u32_e64 v35, null, s13, v35, s3
	global_store_short v[34:35], v33, off
.LBB144_23:
	s_or_b32 exec_lo, exec_lo, s4
	v_add3_u32 v33, v1, s7, 8
	v_cmp_gt_u32_e64 s3, s10, v33
	s_and_b32 exec_lo, exec_lo, s3
	s_cbranch_execz .LBB144_65
; %bb.24:
	v_mul_lo_u32 v33, v33, s14
	s_and_saveexec_b32 s4, vcc_lo
	s_cbranch_execnz .LBB144_66
; %bb.25:
	s_or_b32 exec_lo, exec_lo, s4
	s_and_saveexec_b32 s4, s0
	s_cbranch_execnz .LBB144_67
.LBB144_26:
	s_or_b32 exec_lo, exec_lo, s4
	s_and_saveexec_b32 s4, s1
	s_cbranch_execnz .LBB144_68
.LBB144_27:
	s_or_b32 exec_lo, exec_lo, s4
	s_and_saveexec_b32 s4, s2
	s_cbranch_execz .LBB144_29
.LBB144_28:
	v_add_nc_u32_e32 v30, v33, v14
	v_mov_b32_e32 v31, 0
	v_lshlrev_b64 v[30:31], 1, v[30:31]
	s_waitcnt lgkmcnt(0)
	v_add_co_u32 v30, s3, s12, v30
	v_add_co_ci_u32_e64 v31, null, s13, v31, s3
	global_store_short v[30:31], v29, off
.LBB144_29:
	s_or_b32 exec_lo, exec_lo, s4
	v_add3_u32 v29, v1, s7, 16
	v_cmp_gt_u32_e64 s3, s10, v29
	s_and_b32 exec_lo, exec_lo, s3
	s_cbranch_execz .LBB144_65
; %bb.30:
	v_mul_lo_u32 v29, v29, s14
	s_and_saveexec_b32 s4, vcc_lo
	s_cbranch_execnz .LBB144_69
; %bb.31:
	s_or_b32 exec_lo, exec_lo, s4
	s_and_saveexec_b32 s4, s0
	s_cbranch_execnz .LBB144_70
.LBB144_32:
	s_or_b32 exec_lo, exec_lo, s4
	s_and_saveexec_b32 s4, s1
	s_cbranch_execnz .LBB144_71
.LBB144_33:
	s_or_b32 exec_lo, exec_lo, s4
	s_and_saveexec_b32 s4, s2
	s_cbranch_execz .LBB144_35
.LBB144_34:
	v_add_nc_u32_e32 v26, v29, v14
	v_mov_b32_e32 v27, 0
	v_lshlrev_b64 v[26:27], 1, v[26:27]
	s_waitcnt lgkmcnt(0)
	v_add_co_u32 v26, s3, s12, v26
	v_add_co_ci_u32_e64 v27, null, s13, v27, s3
	global_store_short v[26:27], v25, off
.LBB144_35:
	s_or_b32 exec_lo, exec_lo, s4
	v_add3_u32 v25, v1, s7, 24
	v_cmp_gt_u32_e64 s3, s10, v25
	s_and_b32 exec_lo, exec_lo, s3
	s_cbranch_execz .LBB144_65
; %bb.36:
	v_mul_lo_u32 v25, v25, s14
	s_and_saveexec_b32 s4, vcc_lo
	s_cbranch_execnz .LBB144_72
; %bb.37:
	s_or_b32 exec_lo, exec_lo, s4
	s_and_saveexec_b32 s4, s0
	s_cbranch_execnz .LBB144_73
.LBB144_38:
	s_or_b32 exec_lo, exec_lo, s4
	s_and_saveexec_b32 s4, s1
	s_cbranch_execnz .LBB144_74
.LBB144_39:
	s_or_b32 exec_lo, exec_lo, s4
	s_and_saveexec_b32 s4, s2
	s_cbranch_execz .LBB144_41
.LBB144_40:
	v_add_nc_u32_e32 v22, v25, v14
	v_mov_b32_e32 v23, 0
	v_lshlrev_b64 v[22:23], 1, v[22:23]
	s_waitcnt lgkmcnt(0)
	v_add_co_u32 v22, s3, s12, v22
	v_add_co_ci_u32_e64 v23, null, s13, v23, s3
	global_store_short v[22:23], v21, off
.LBB144_41:
	s_or_b32 exec_lo, exec_lo, s4
	v_add3_u32 v21, v1, s7, 32
	v_cmp_gt_u32_e64 s3, s10, v21
	s_and_b32 exec_lo, exec_lo, s3
	s_cbranch_execz .LBB144_65
; %bb.42:
	v_mul_lo_u32 v21, v21, s14
	s_and_saveexec_b32 s4, vcc_lo
	s_cbranch_execnz .LBB144_75
; %bb.43:
	s_or_b32 exec_lo, exec_lo, s4
	s_and_saveexec_b32 s4, s0
	s_cbranch_execnz .LBB144_76
.LBB144_44:
	s_or_b32 exec_lo, exec_lo, s4
	s_and_saveexec_b32 s4, s1
	s_cbranch_execnz .LBB144_77
.LBB144_45:
	s_or_b32 exec_lo, exec_lo, s4
	s_and_saveexec_b32 s4, s2
	s_cbranch_execz .LBB144_47
.LBB144_46:
	v_add_nc_u32_e32 v18, v21, v14
	v_mov_b32_e32 v19, 0
	v_lshlrev_b64 v[18:19], 1, v[18:19]
	s_waitcnt lgkmcnt(0)
	v_add_co_u32 v18, s3, s12, v18
	v_add_co_ci_u32_e64 v19, null, s13, v19, s3
	global_store_short v[18:19], v17, off
.LBB144_47:
	s_or_b32 exec_lo, exec_lo, s4
	v_add3_u32 v17, v1, s7, 40
	v_cmp_gt_u32_e64 s3, s10, v17
	s_and_b32 exec_lo, exec_lo, s3
	s_cbranch_execz .LBB144_65
; %bb.48:
	v_mul_lo_u32 v17, v17, s14
	s_and_saveexec_b32 s4, vcc_lo
	s_cbranch_execnz .LBB144_78
; %bb.49:
	s_or_b32 exec_lo, exec_lo, s4
	s_and_saveexec_b32 s4, s0
	s_cbranch_execnz .LBB144_79
.LBB144_50:
	s_or_b32 exec_lo, exec_lo, s4
	s_and_saveexec_b32 s4, s1
	s_cbranch_execnz .LBB144_80
.LBB144_51:
	s_or_b32 exec_lo, exec_lo, s4
	s_and_saveexec_b32 s4, s2
	s_cbranch_execz .LBB144_53
.LBB144_52:
	v_add_nc_u32_e32 v15, v17, v14
	v_mov_b32_e32 v16, 0
	v_lshlrev_b64 v[15:16], 1, v[15:16]
	s_waitcnt lgkmcnt(0)
	v_add_co_u32 v15, s3, s12, v15
	v_add_co_ci_u32_e64 v16, null, s13, v16, s3
	global_store_short v[15:16], v10, off
.LBB144_53:
	s_or_b32 exec_lo, exec_lo, s4
	v_add3_u32 v10, v1, s7, 48
	v_cmp_gt_u32_e64 s3, s10, v10
	s_and_b32 exec_lo, exec_lo, s3
	s_cbranch_execz .LBB144_65
; %bb.54:
	v_mul_lo_u32 v10, v10, s14
	s_and_saveexec_b32 s4, vcc_lo
	s_cbranch_execnz .LBB144_81
; %bb.55:
	s_or_b32 exec_lo, exec_lo, s4
	s_and_saveexec_b32 s4, s0
	s_cbranch_execnz .LBB144_82
.LBB144_56:
	s_or_b32 exec_lo, exec_lo, s4
	s_and_saveexec_b32 s4, s1
	s_cbranch_execnz .LBB144_83
.LBB144_57:
	s_or_b32 exec_lo, exec_lo, s4
	s_and_saveexec_b32 s4, s2
	s_cbranch_execz .LBB144_59
.LBB144_58:
	v_add_nc_u32_e32 v7, v10, v14
	v_mov_b32_e32 v8, 0
	v_lshlrev_b64 v[7:8], 1, v[7:8]
	s_waitcnt lgkmcnt(0)
	v_add_co_u32 v7, s3, s12, v7
	v_add_co_ci_u32_e64 v8, null, s13, v8, s3
	global_store_short v[7:8], v6, off
.LBB144_59:
	s_or_b32 exec_lo, exec_lo, s4
	v_add3_u32 v1, v1, s7, 56
	v_cmp_gt_u32_e64 s3, s10, v1
	s_and_b32 exec_lo, exec_lo, s3
	s_cbranch_execz .LBB144_65
; %bb.60:
	v_mul_lo_u32 v1, v1, s14
	s_and_saveexec_b32 s3, vcc_lo
	s_cbranch_execnz .LBB144_84
; %bb.61:
	s_or_b32 exec_lo, exec_lo, s3
	s_and_saveexec_b32 s3, s0
	s_cbranch_execnz .LBB144_85
.LBB144_62:
	s_or_b32 exec_lo, exec_lo, s3
	s_and_saveexec_b32 s0, s1
	s_cbranch_execnz .LBB144_86
.LBB144_63:
	s_or_b32 exec_lo, exec_lo, s0
	s_and_b32 exec_lo, exec_lo, s2
	s_cbranch_execz .LBB144_65
.LBB144_64:
	v_add_nc_u32_e32 v0, v1, v14
	v_mov_b32_e32 v1, 0
	v_lshlrev_b64 v[0:1], 1, v[0:1]
	s_waitcnt lgkmcnt(0)
	v_add_co_u32 v0, vcc_lo, s12, v0
	v_add_co_ci_u32_e64 v1, null, s13, v1, vcc_lo
	global_store_short v[0:1], v2, off
.LBB144_65:
	s_endpgm
.LBB144_66:
	v_add_nc_u32_e32 v34, v33, v0
	v_mov_b32_e32 v35, 0
	v_lshlrev_b64 v[34:35], 1, v[34:35]
	s_waitcnt lgkmcnt(0)
	v_add_co_u32 v34, s3, s12, v34
	v_add_co_ci_u32_e64 v35, null, s13, v35, s3
	global_store_short v[34:35], v32, off
	s_or_b32 exec_lo, exec_lo, s4
	s_and_saveexec_b32 s4, s0
	s_cbranch_execz .LBB144_26
.LBB144_67:
	v_add_nc_u32_e32 v34, v33, v12
	v_mov_b32_e32 v35, 0
	v_lshlrev_b64 v[34:35], 1, v[34:35]
	s_waitcnt lgkmcnt(0)
	v_add_co_u32 v34, s3, s12, v34
	v_add_co_ci_u32_e64 v35, null, s13, v35, s3
	global_store_short v[34:35], v31, off
	s_or_b32 exec_lo, exec_lo, s4
	s_and_saveexec_b32 s4, s1
	s_cbranch_execz .LBB144_27
.LBB144_68:
	v_add_nc_u32_e32 v31, v33, v13
	v_mov_b32_e32 v32, 0
	v_lshlrev_b64 v[31:32], 1, v[31:32]
	s_waitcnt lgkmcnt(0)
	v_add_co_u32 v31, s3, s12, v31
	v_add_co_ci_u32_e64 v32, null, s13, v32, s3
	global_store_short v[31:32], v30, off
	s_or_b32 exec_lo, exec_lo, s4
	s_and_saveexec_b32 s4, s2
	s_cbranch_execnz .LBB144_28
	s_branch .LBB144_29
.LBB144_69:
	v_add_nc_u32_e32 v30, v29, v0
	v_mov_b32_e32 v31, 0
	v_lshlrev_b64 v[30:31], 1, v[30:31]
	s_waitcnt lgkmcnt(0)
	v_add_co_u32 v30, s3, s12, v30
	v_add_co_ci_u32_e64 v31, null, s13, v31, s3
	global_store_short v[30:31], v28, off
	s_or_b32 exec_lo, exec_lo, s4
	s_and_saveexec_b32 s4, s0
	s_cbranch_execz .LBB144_32
.LBB144_70:
	v_add_nc_u32_e32 v30, v29, v12
	v_mov_b32_e32 v31, 0
	v_lshlrev_b64 v[30:31], 1, v[30:31]
	s_waitcnt lgkmcnt(0)
	v_add_co_u32 v30, s3, s12, v30
	v_add_co_ci_u32_e64 v31, null, s13, v31, s3
	global_store_short v[30:31], v27, off
	s_or_b32 exec_lo, exec_lo, s4
	s_and_saveexec_b32 s4, s1
	s_cbranch_execz .LBB144_33
.LBB144_71:
	v_add_nc_u32_e32 v27, v29, v13
	v_mov_b32_e32 v28, 0
	v_lshlrev_b64 v[27:28], 1, v[27:28]
	s_waitcnt lgkmcnt(0)
	v_add_co_u32 v27, s3, s12, v27
	v_add_co_ci_u32_e64 v28, null, s13, v28, s3
	global_store_short v[27:28], v26, off
	s_or_b32 exec_lo, exec_lo, s4
	s_and_saveexec_b32 s4, s2
	s_cbranch_execnz .LBB144_34
	s_branch .LBB144_35
.LBB144_72:
	v_add_nc_u32_e32 v26, v25, v0
	v_mov_b32_e32 v27, 0
	v_lshlrev_b64 v[26:27], 1, v[26:27]
	s_waitcnt lgkmcnt(0)
	v_add_co_u32 v26, s3, s12, v26
	v_add_co_ci_u32_e64 v27, null, s13, v27, s3
	global_store_short v[26:27], v24, off
	s_or_b32 exec_lo, exec_lo, s4
	s_and_saveexec_b32 s4, s0
	s_cbranch_execz .LBB144_38
.LBB144_73:
	v_add_nc_u32_e32 v26, v25, v12
	v_mov_b32_e32 v27, 0
	v_lshlrev_b64 v[26:27], 1, v[26:27]
	s_waitcnt lgkmcnt(0)
	v_add_co_u32 v26, s3, s12, v26
	v_add_co_ci_u32_e64 v27, null, s13, v27, s3
	global_store_short v[26:27], v23, off
	s_or_b32 exec_lo, exec_lo, s4
	s_and_saveexec_b32 s4, s1
	s_cbranch_execz .LBB144_39
.LBB144_74:
	v_add_nc_u32_e32 v23, v25, v13
	v_mov_b32_e32 v24, 0
	v_lshlrev_b64 v[23:24], 1, v[23:24]
	s_waitcnt lgkmcnt(0)
	v_add_co_u32 v23, s3, s12, v23
	v_add_co_ci_u32_e64 v24, null, s13, v24, s3
	global_store_short v[23:24], v22, off
	s_or_b32 exec_lo, exec_lo, s4
	s_and_saveexec_b32 s4, s2
	s_cbranch_execnz .LBB144_40
	s_branch .LBB144_41
.LBB144_75:
	v_add_nc_u32_e32 v22, v21, v0
	v_mov_b32_e32 v23, 0
	v_lshlrev_b64 v[22:23], 1, v[22:23]
	s_waitcnt lgkmcnt(0)
	v_add_co_u32 v22, s3, s12, v22
	v_add_co_ci_u32_e64 v23, null, s13, v23, s3
	global_store_short v[22:23], v20, off
	s_or_b32 exec_lo, exec_lo, s4
	s_and_saveexec_b32 s4, s0
	s_cbranch_execz .LBB144_44
.LBB144_76:
	v_add_nc_u32_e32 v22, v21, v12
	v_mov_b32_e32 v23, 0
	v_lshlrev_b64 v[22:23], 1, v[22:23]
	s_waitcnt lgkmcnt(0)
	v_add_co_u32 v22, s3, s12, v22
	v_add_co_ci_u32_e64 v23, null, s13, v23, s3
	global_store_short v[22:23], v19, off
	s_or_b32 exec_lo, exec_lo, s4
	s_and_saveexec_b32 s4, s1
	s_cbranch_execz .LBB144_45
.LBB144_77:
	v_add_nc_u32_e32 v19, v21, v13
	v_mov_b32_e32 v20, 0
	v_lshlrev_b64 v[19:20], 1, v[19:20]
	s_waitcnt lgkmcnt(0)
	v_add_co_u32 v19, s3, s12, v19
	v_add_co_ci_u32_e64 v20, null, s13, v20, s3
	global_store_short v[19:20], v18, off
	s_or_b32 exec_lo, exec_lo, s4
	s_and_saveexec_b32 s4, s2
	s_cbranch_execnz .LBB144_46
	s_branch .LBB144_47
.LBB144_78:
	v_add_nc_u32_e32 v18, v17, v0
	v_mov_b32_e32 v19, 0
	v_lshlrev_b64 v[18:19], 1, v[18:19]
	s_waitcnt lgkmcnt(0)
	v_add_co_u32 v18, s3, s12, v18
	v_add_co_ci_u32_e64 v19, null, s13, v19, s3
	global_store_short v[18:19], v16, off
	s_or_b32 exec_lo, exec_lo, s4
	s_and_saveexec_b32 s4, s0
	s_cbranch_execz .LBB144_50
.LBB144_79:
	v_add_nc_u32_e32 v18, v17, v12
	v_mov_b32_e32 v19, 0
	v_lshlrev_b64 v[18:19], 1, v[18:19]
	s_waitcnt lgkmcnt(0)
	v_add_co_u32 v18, s3, s12, v18
	v_add_co_ci_u32_e64 v19, null, s13, v19, s3
	global_store_short v[18:19], v15, off
	s_or_b32 exec_lo, exec_lo, s4
	s_and_saveexec_b32 s4, s1
	s_cbranch_execz .LBB144_51
.LBB144_80:
	v_add_nc_u32_e32 v15, v17, v13
	v_mov_b32_e32 v16, 0
	v_lshlrev_b64 v[15:16], 1, v[15:16]
	s_waitcnt lgkmcnt(0)
	v_add_co_u32 v15, s3, s12, v15
	v_add_co_ci_u32_e64 v16, null, s13, v16, s3
	global_store_short v[15:16], v11, off
	s_or_b32 exec_lo, exec_lo, s4
	s_and_saveexec_b32 s4, s2
	s_cbranch_execnz .LBB144_52
	s_branch .LBB144_53
.LBB144_81:
	v_add_nc_u32_e32 v15, v10, v0
	v_mov_b32_e32 v16, 0
	v_lshlrev_b64 v[15:16], 1, v[15:16]
	s_waitcnt lgkmcnt(0)
	v_add_co_u32 v15, s3, s12, v15
	v_add_co_ci_u32_e64 v16, null, s13, v16, s3
	global_store_short v[15:16], v9, off
	s_or_b32 exec_lo, exec_lo, s4
	s_and_saveexec_b32 s4, s0
	s_cbranch_execz .LBB144_56
.LBB144_82:
	v_add_nc_u32_e32 v15, v10, v12
	v_mov_b32_e32 v16, 0
	v_lshlrev_b64 v[15:16], 1, v[15:16]
	s_waitcnt lgkmcnt(0)
	v_add_co_u32 v15, s3, s12, v15
	v_add_co_ci_u32_e64 v16, null, s13, v16, s3
	global_store_short v[15:16], v8, off
	s_or_b32 exec_lo, exec_lo, s4
	s_and_saveexec_b32 s4, s1
	s_cbranch_execz .LBB144_57
.LBB144_83:
	v_add_nc_u32_e32 v8, v10, v13
	v_mov_b32_e32 v9, 0
	v_lshlrev_b64 v[8:9], 1, v[8:9]
	s_waitcnt lgkmcnt(0)
	v_add_co_u32 v8, s3, s12, v8
	v_add_co_ci_u32_e64 v9, null, s13, v9, s3
	global_store_short v[8:9], v7, off
	s_or_b32 exec_lo, exec_lo, s4
	s_and_saveexec_b32 s4, s2
	s_cbranch_execnz .LBB144_58
	s_branch .LBB144_59
.LBB144_84:
	v_add_nc_u32_e32 v6, v1, v0
	v_mov_b32_e32 v7, 0
	v_lshlrev_b64 v[6:7], 1, v[6:7]
	s_waitcnt lgkmcnt(0)
	v_add_co_u32 v6, vcc_lo, s12, v6
	v_add_co_ci_u32_e64 v7, null, s13, v7, vcc_lo
	global_store_short v[6:7], v5, off
	s_or_b32 exec_lo, exec_lo, s3
	s_and_saveexec_b32 s3, s0
	s_cbranch_execz .LBB144_62
.LBB144_85:
	v_add_nc_u32_e32 v5, v1, v12
	v_mov_b32_e32 v6, 0
	v_lshlrev_b64 v[5:6], 1, v[5:6]
	s_waitcnt lgkmcnt(0)
	v_add_co_u32 v5, vcc_lo, s12, v5
	v_add_co_ci_u32_e64 v6, null, s13, v6, vcc_lo
	global_store_short v[5:6], v4, off
	s_or_b32 exec_lo, exec_lo, s3
	s_and_saveexec_b32 s0, s1
	s_cbranch_execz .LBB144_63
.LBB144_86:
	v_add_nc_u32_e32 v4, v1, v13
	v_mov_b32_e32 v5, 0
	v_lshlrev_b64 v[4:5], 1, v[4:5]
	s_waitcnt lgkmcnt(0)
	v_add_co_u32 v4, vcc_lo, s12, v4
	v_add_co_ci_u32_e64 v5, null, s13, v5, vcc_lo
	global_store_short v[4:5], v3, off
	s_or_b32 exec_lo, exec_lo, s0
	s_and_b32 exec_lo, exec_lo, s2
	s_cbranch_execnz .LBB144_64
	s_branch .LBB144_65
	.section	.rodata,"a",@progbits
	.p2align	6, 0x0
	.amdhsa_kernel _ZL12mul_mat_q5_1IN3c104HalfELb1EEvPKvS3_PT_iiiii
		.amdhsa_group_segment_fixed_size 46720
		.amdhsa_private_segment_fixed_size 0
		.amdhsa_kernarg_size 44
		.amdhsa_user_sgpr_count 6
		.amdhsa_user_sgpr_private_segment_buffer 1
		.amdhsa_user_sgpr_dispatch_ptr 0
		.amdhsa_user_sgpr_queue_ptr 0
		.amdhsa_user_sgpr_kernarg_segment_ptr 1
		.amdhsa_user_sgpr_dispatch_id 0
		.amdhsa_user_sgpr_flat_scratch_init 0
		.amdhsa_user_sgpr_private_segment_size 0
		.amdhsa_wavefront_size32 1
		.amdhsa_uses_dynamic_stack 0
		.amdhsa_system_sgpr_private_segment_wavefront_offset 0
		.amdhsa_system_sgpr_workgroup_id_x 1
		.amdhsa_system_sgpr_workgroup_id_y 1
		.amdhsa_system_sgpr_workgroup_id_z 0
		.amdhsa_system_sgpr_workgroup_info 0
		.amdhsa_system_vgpr_workitem_id 1
		.amdhsa_next_free_vgpr 222
		.amdhsa_next_free_sgpr 15
		.amdhsa_reserve_vcc 1
		.amdhsa_reserve_flat_scratch 0
		.amdhsa_float_round_mode_32 0
		.amdhsa_float_round_mode_16_64 0
		.amdhsa_float_denorm_mode_32 3
		.amdhsa_float_denorm_mode_16_64 3
		.amdhsa_dx10_clamp 1
		.amdhsa_ieee_mode 1
		.amdhsa_fp16_overflow 0
		.amdhsa_workgroup_processor_mode 1
		.amdhsa_memory_ordered 1
		.amdhsa_forward_progress 1
		.amdhsa_shared_vgpr_count 0
		.amdhsa_exception_fp_ieee_invalid_op 0
		.amdhsa_exception_fp_denorm_src 0
		.amdhsa_exception_fp_ieee_div_zero 0
		.amdhsa_exception_fp_ieee_overflow 0
		.amdhsa_exception_fp_ieee_underflow 0
		.amdhsa_exception_fp_ieee_inexact 0
		.amdhsa_exception_int_div_zero 0
	.end_amdhsa_kernel
	.section	.text._ZL12mul_mat_q5_1IN3c104HalfELb1EEvPKvS3_PT_iiiii,"axG",@progbits,_ZL12mul_mat_q5_1IN3c104HalfELb1EEvPKvS3_PT_iiiii,comdat
.Lfunc_end144:
	.size	_ZL12mul_mat_q5_1IN3c104HalfELb1EEvPKvS3_PT_iiiii, .Lfunc_end144-_ZL12mul_mat_q5_1IN3c104HalfELb1EEvPKvS3_PT_iiiii
                                        ; -- End function
	.set _ZL12mul_mat_q5_1IN3c104HalfELb1EEvPKvS3_PT_iiiii.num_vgpr, 222
	.set _ZL12mul_mat_q5_1IN3c104HalfELb1EEvPKvS3_PT_iiiii.num_agpr, 0
	.set _ZL12mul_mat_q5_1IN3c104HalfELb1EEvPKvS3_PT_iiiii.numbered_sgpr, 15
	.set _ZL12mul_mat_q5_1IN3c104HalfELb1EEvPKvS3_PT_iiiii.num_named_barrier, 0
	.set _ZL12mul_mat_q5_1IN3c104HalfELb1EEvPKvS3_PT_iiiii.private_seg_size, 0
	.set _ZL12mul_mat_q5_1IN3c104HalfELb1EEvPKvS3_PT_iiiii.uses_vcc, 1
	.set _ZL12mul_mat_q5_1IN3c104HalfELb1EEvPKvS3_PT_iiiii.uses_flat_scratch, 0
	.set _ZL12mul_mat_q5_1IN3c104HalfELb1EEvPKvS3_PT_iiiii.has_dyn_sized_stack, 0
	.set _ZL12mul_mat_q5_1IN3c104HalfELb1EEvPKvS3_PT_iiiii.has_recursion, 0
	.set _ZL12mul_mat_q5_1IN3c104HalfELb1EEvPKvS3_PT_iiiii.has_indirect_call, 0
	.section	.AMDGPU.csdata,"",@progbits
; Kernel info:
; codeLenInByte = 13240
; TotalNumSgprs: 17
; NumVgprs: 222
; ScratchSize: 0
; MemoryBound: 0
; FloatMode: 240
; IeeeMode: 1
; LDSByteSize: 46720 bytes/workgroup (compile time only)
; SGPRBlocks: 0
; VGPRBlocks: 27
; NumSGPRsForWavesPerEU: 17
; NumVGPRsForWavesPerEU: 222
; Occupancy: 4
; WaveLimiterHint : 0
; COMPUTE_PGM_RSRC2:SCRATCH_EN: 0
; COMPUTE_PGM_RSRC2:USER_SGPR: 6
; COMPUTE_PGM_RSRC2:TRAP_HANDLER: 0
; COMPUTE_PGM_RSRC2:TGID_X_EN: 1
; COMPUTE_PGM_RSRC2:TGID_Y_EN: 1
; COMPUTE_PGM_RSRC2:TGID_Z_EN: 0
; COMPUTE_PGM_RSRC2:TIDIG_COMP_CNT: 1
	.section	.text._ZL12mul_mat_q8_0IN3c104HalfELb0EEvPKvS3_PT_iiiii,"axG",@progbits,_ZL12mul_mat_q8_0IN3c104HalfELb0EEvPKvS3_PT_iiiii,comdat
	.globl	_ZL12mul_mat_q8_0IN3c104HalfELb0EEvPKvS3_PT_iiiii ; -- Begin function _ZL12mul_mat_q8_0IN3c104HalfELb0EEvPKvS3_PT_iiiii
	.p2align	8
	.type	_ZL12mul_mat_q8_0IN3c104HalfELb0EEvPKvS3_PT_iiiii,@function
_ZL12mul_mat_q8_0IN3c104HalfELb0EEvPKvS3_PT_iiiii: ; @_ZL12mul_mat_q8_0IN3c104HalfELb0EEvPKvS3_PT_iiiii
; %bb.0:
	s_clause 0x1
	s_load_dword s14, s[4:5], 0x18
	s_load_dwordx4 s[8:11], s[4:5], 0x20
	s_lshl_b32 s7, s7, 6
	v_add_nc_u32_e32 v40, s7, v1
	s_waitcnt lgkmcnt(0)
	s_cmp_gt_i32 s14, 31
	s_cbranch_scc1 .LBB145_2
; %bb.1:
	v_add_nc_u32_e32 v34, s7, v1
	s_mov_b32 s0, 0
	s_branch .LBB145_3
.LBB145_2:
	s_mov_b32 s0, -1
                                        ; implicit-def: $vgpr34
.LBB145_3:
	s_load_dwordx2 s[12:13], s[4:5], 0x10
	v_mov_b32_e32 v2, 0
	v_mov_b32_e32 v6, 0
	;; [unrolled: 1-line block ×32, first 2 shown]
	s_andn2_b32 vcc_lo, exec_lo, s0
	s_lshl_b32 s6, s6, 7
	s_cbranch_vccnz .LBB145_9
; %bb.4:
	s_load_dwordx4 s[0:3], s[4:5], 0x0
	s_ashr_i32 s4, s14, 31
	s_ashr_i32 s5, s9, 31
	s_lshr_b32 s4, s4, 27
	s_lshr_b32 s5, s5, 27
	s_add_i32 s14, s14, s4
	s_add_i32 s5, s9, s5
	s_ashr_i32 s4, s14, 5
	s_ashr_i32 s11, s5, 5
	s_mul_i32 s9, s4, s6
	v_add_nc_u32_e32 v5, 8, v40
	s_mul_i32 s5, s9, 34
	s_mul_hi_i32 s9, s9, 34
	v_mul_lo_u32 v43, s4, v1
	v_lshlrev_b32_e32 v19, 2, v0
	v_cvt_f64_u32_e32 v[5:6], v5
	v_add_nc_u32_e32 v9, 16, v40
	v_add_nc_u32_e32 v11, 24, v40
	;; [unrolled: 1-line block ×4, first 2 shown]
	s_waitcnt lgkmcnt(0)
	s_add_u32 s5, s0, s5
	s_addc_u32 s9, s1, s9
	s_add_i32 s1, s8, -1
	v_add_nc_u32_e32 v17, 48, v40
	v_cvt_f64_i32_e32 v[7:8], s1
	v_add_nc_u32_e32 v20, 56, v40
	s_lshl_b32 s0, s4, 3
	v_cvt_f64_u32_e32 v[3:4], v40
	v_add_nc_u32_e32 v44, s0, v43
	v_cvt_f64_u32_e32 v[9:10], v9
	v_cvt_f64_u32_e32 v[11:12], v11
	;; [unrolled: 1-line block ×5, first 2 shown]
	v_and_b32_e32 v49, 28, v19
	v_mad_u32_u24 v50, 0x84, v1, v19
	v_cvt_f64_u32_e32 v[19:20], v20
	v_add_nc_u32_e32 v45, s0, v44
	v_lshlrev_b32_e32 v21, 3, v1
	v_lshrrev_b32_e32 v22, 2, v0
	v_and_b32_e32 v2, 3, v0
	v_lshrrev_b32_e32 v42, 3, v0
	v_add_nc_u32_e32 v46, s0, v45
	v_and_b32_e32 v23, 31, v0
	v_add_nc_u32_e32 v24, v22, v21
	v_add_nc_u16 v21, v22, v21
	v_min_f64 v[5:6], v[5:6], v[7:8]
	v_add_nc_u32_e32 v47, s0, v46
	v_lshlrev_b32_e32 v22, 2, v2
	v_min_f64 v[3:4], v[3:4], v[7:8]
	v_lshrrev_b16 v21, 1, v21
	v_min_f64 v[9:10], v[9:10], v[7:8]
	v_add_nc_u32_e32 v48, s0, v47
	v_min_f64 v[11:12], v[11:12], v[7:8]
	v_min_f64 v[13:14], v[13:14], v[7:8]
	;; [unrolled: 1-line block ×4, first 2 shown]
	v_add_nc_u32_e32 v51, s0, v48
	v_min_f64 v[7:8], v[19:20], v[7:8]
	v_mul_lo_u32 v57, s4, v24
	v_add_nc_u32_e32 v25, 64, v24
	v_lshlrev_b32_e32 v26, 4, v24
	v_add_nc_u32_e32 v53, s0, v51
	v_and_b32_e32 v24, 63, v24
	v_and_b32_e32 v19, 0x7fc, v21
	v_lshrrev_b32_e32 v20, 1, v25
	v_lshl_or_b32 v23, v23, 2, 0x4200
	v_add_nc_u32_e32 v55, s0, v53
	v_cvt_i32_f64_e32 v5, v[5:6]
	v_or_b32_e32 v21, s7, v24
	v_lshlrev_b32_e32 v25, 4, v25
	v_cvt_i32_f64_e32 v27, v[3:4]
	v_add_nc_u32_e32 v56, s0, v55
	v_cvt_i32_f64_e32 v6, v[9:10]
	v_and_b32_e32 v3, 0xffc, v20
	v_cvt_i32_f64_e32 v10, v[11:12]
	v_cvt_i32_f64_e32 v11, v[13:14]
	v_add_nc_u32_e32 v58, s0, v56
	v_cvt_i32_f64_e32 v12, v[15:16]
	v_cvt_i32_f64_e32 v13, v[17:18]
	;; [unrolled: 1-line block ×3, first 2 shown]
	v_min_i32_e32 v4, s1, v21
	v_add_nc_u32_e32 v59, s0, v58
	v_add3_u32 v15, v3, v22, 0x6200
	v_add_nc_u32_e32 v16, 32, v0
	v_lshl_or_b32 v9, v24, 4, v22
	v_mad_u64_u32 v[3:4], null, v4, s11, v[2:3]
	v_add_nc_u32_e32 v60, s0, v59
	v_add_nc_u32_e32 v4, 0x60, v0
	v_mul_lo_u32 v67, s11, v5
	v_add_nc_u32_e32 v5, 64, v0
	v_lshlrev_b32_e32 v8, 7, v1
	v_add_nc_u32_e32 v61, s0, v60
	v_lshrrev_b32_e32 v4, 1, v4
	v_lshrrev_b32_e32 v16, 1, v16
	;; [unrolled: 1-line block ×3, first 2 shown]
	v_add3_u32 v14, v19, v22, 0x6200
	v_add_nc_u32_e32 v63, s0, v61
	v_add_nc_u32_e32 v65, 0x6a40, v9
	;; [unrolled: 1-line block ×3, first 2 shown]
	v_mul_lo_u32 v68, s11, v6
	v_add_nc_u32_e32 v6, 0x800, v8
	v_mul_lo_u32 v69, s11, v10
	v_add_nc_u32_e32 v10, 0xc00, v8
	;; [unrolled: 2-line block ×6, first 2 shown]
	v_lshlrev_b32_e32 v17, 4, v0
	v_and_b32_e32 v18, 0xfc, v4
	v_and_b32_e32 v19, 0xfc, v5
	;; [unrolled: 1-line block ×3, first 2 shown]
	v_lshlrev_b32_e32 v20, 2, v42
	v_mul_lo_u32 v66, s11, v27
	v_add_nc_u32_e32 v64, s0, v63
	v_add_co_u32 v4, s0, s2, v49
	v_mov_b32_e32 v41, 0
	v_add_nc_u32_e32 v52, 0x39c0, v50
	v_add_nc_u32_e32 v54, 0x3de0, v50
	v_lshl_add_u32 v62, s4, 6, v57
	v_mul_u32_u24_e32 v74, 0x84, v0
	v_add_co_ci_u32_e64 v5, null, s3, 0, s0
	v_add3_u32 v77, v17, v18, 0x6800
	v_add3_u32 v79, v17, v19, 0x6600
	;; [unrolled: 1-line block ×4, first 2 shown]
	v_lshl_add_u32 v84, v1, 4, 0x6a40
	v_add_nc_u32_e32 v86, 0x4200, v8
	v_add_nc_u32_e32 v88, v14, v26
	;; [unrolled: 1-line block ×11, first 2 shown]
	v_mov_b32_e32 v99, 0
	v_mov_b32_e32 v93, 0
	;; [unrolled: 1-line block ×31, first 2 shown]
	s_mov_b32 s11, 0
.LBB145_5:                              ; =>This Loop Header: Depth=1
                                        ;     Child Loop BB145_6 Depth 2
	s_mul_i32 s0, s11, 34
	s_mul_hi_u32 s1, s11, 34
	s_add_u32 s0, s5, s0
	s_addc_u32 s1, s9, s1
	v_mov_b32_e32 v122, v86
	v_mad_u64_u32 v[6:7], null, v42, 34, s[0:1]
	v_mov_b32_e32 v123, v84
	v_mov_b32_e32 v124, v82
	;; [unrolled: 1-line block ×6, first 2 shown]
	v_mad_u64_u32 v[8:9], null, v43, 34, v[6:7]
	v_add_co_u32 v8, vcc_lo, v8, v49
	v_add_co_ci_u32_e64 v9, null, 0, v9, vcc_lo
	global_load_dword v8, v[8:9], off offset:2
	s_waitcnt vmcnt(0)
	ds_write_b32 v50, v8
	v_mad_u64_u32 v[8:9], null, v44, 34, v[6:7]
	v_add_co_u32 v8, vcc_lo, v8, v49
	v_add_co_ci_u32_e64 v9, null, 0, v9, vcc_lo
	global_load_dword v8, v[8:9], off offset:2
	v_add_nc_u32_e32 v9, 0x420, v50
	s_waitcnt vmcnt(0)
	ds_write_b32 v9, v8
	v_mad_u64_u32 v[8:9], null, v45, 34, v[6:7]
	v_add_co_u32 v8, vcc_lo, v8, v49
	v_add_co_ci_u32_e64 v9, null, 0, v9, vcc_lo
	global_load_dword v8, v[8:9], off offset:2
	v_add_nc_u32_e32 v9, 0x840, v50
	;; [unrolled: 7-line block ×13, first 2 shown]
	s_waitcnt vmcnt(0)
	ds_write_b32 v9, v8
	v_mad_u64_u32 v[8:9], null, v63, 34, v[6:7]
	v_mad_u64_u32 v[6:7], null, v64, 34, v[6:7]
	v_add_co_u32 v8, vcc_lo, v8, v49
	v_add_co_ci_u32_e64 v9, null, 0, v9, vcc_lo
	v_add_co_u32 v6, vcc_lo, v6, v49
	v_add_co_ci_u32_e64 v7, null, 0, v7, vcc_lo
	s_clause 0x1
	global_load_dword v8, v[8:9], off offset:2
	global_load_dword v6, v[6:7], off offset:2
	s_waitcnt vmcnt(1)
	ds_write_b32 v52, v8
	s_waitcnt vmcnt(0)
	ds_write_b32 v54, v6
	v_mad_u64_u32 v[6:7], null, v2, 34, s[0:1]
	s_mov_b32 s0, -8
	v_mad_u64_u32 v[8:9], null, v57, 34, v[6:7]
	v_mad_u64_u32 v[6:7], null, v62, 34, v[6:7]
	s_clause 0x1
	global_load_ushort v8, v[8:9], off
	global_load_ushort v6, v[6:7], off
	s_waitcnt vmcnt(1)
	v_cvt_f32_f16_e32 v8, v8
	s_waitcnt vmcnt(0)
	v_cvt_f32_f16_e32 v6, v6
	ds_write_b32 v88, v8
	v_add_nc_u32_e32 v8, s11, v42
	ds_write_b32 v90, v6
	v_add_nc_u32_e32 v6, s11, v3
	v_mad_u64_u32 v[6:7], null, v6, 36, s[2:3]
	global_load_dword v9, v[6:7], off
	v_add_nc_u32_e32 v6, v8, v66
	v_mad_i64_i32 v[6:7], null, v6, 36, v[4:5]
	global_load_dword v6, v[6:7], off offset:4
	s_waitcnt vmcnt(0)
	ds_write_b32 v92, v6
	v_add_nc_u32_e32 v6, v8, v67
	v_mad_i64_i32 v[6:7], null, v6, 36, v[4:5]
	global_load_dword v6, v[6:7], off offset:4
	s_waitcnt vmcnt(0)
	ds_write_b32 v94, v6
	;; [unrolled: 5-line block ×8, first 2 shown]
	v_cvt_f32_f16_e32 v6, v9
	ds_write_b32 v65, v6
	s_waitcnt lgkmcnt(0)
	s_barrier
	buffer_gl0_inv
.LBB145_6:                              ;   Parent Loop BB145_5 Depth=1
                                        ; =>  This Inner Loop Header: Depth=2
	ds_read2_b32 v[38:39], v123 offset1:32
	ds_read_b128 v[34:37], v122
	ds_read_b128 v[133:136], v122 offset:16
	ds_read_b32 v131, v124
	ds_read2_b32 v[8:9], v128 offset1:1
	ds_read2_b32 v[12:13], v128 offset0:2 offset1:3
	ds_read2_b32 v[16:17], v128 offset0:4 offset1:5
	;; [unrolled: 1-line block ×3, first 2 shown]
	v_mov_b32_e32 v6, 0
	v_add_nc_u32_e32 v11, 0x1088, v128
	v_mov_b32_e32 v10, 0
	v_add_nc_u32_e32 v20, 0x2108, v128
	;; [unrolled: 2-line block ×3, first 2 shown]
	v_add_nc_u32_e32 v29, 0x2118, v128
	v_add_nc_u32_e32 v30, 0x3188, v128
	v_mov_b32_e32 v137, 0
	v_add_nc_u32_e32 v124, 4, v124
	s_add_i32 s0, s0, 8
	s_cmp_lt_u32 s0, 24
	s_waitcnt lgkmcnt(4)
	v_mul_f32_e32 v7, v38, v131
	s_waitcnt lgkmcnt(3)
	v_dot4c_i32_i8 v6, v8, v34
	v_mul_f32_e32 v141, v131, v39
	v_dot4c_i32_i8 v6, v9, v35
	s_waitcnt lgkmcnt(2)
	v_dot4c_i32_i8 v6, v12, v36
	v_dot4c_i32_i8 v6, v13, v37
	s_waitcnt lgkmcnt(1)
	v_dot4c_i32_i8 v6, v16, v133
	;; [unrolled: 3-line block ×3, first 2 shown]
	v_dot4c_i32_i8 v6, v23, v136
	v_cvt_f32_i32_e32 v6, v6
	v_fmac_f32_e32 v41, v7, v6
	v_add_nc_u32_e32 v6, 0x1080, v128
	ds_read_b32 v130, v125
	ds_read2_b32 v[6:7], v6 offset1:1
	ds_read2_b32 v[14:15], v11 offset1:1
	v_add_nc_u32_e32 v11, 0x1090, v128
	v_add_nc_u32_e32 v125, 4, v125
	ds_read2_b32 v[18:19], v11 offset1:1
	v_add_nc_u32_e32 v11, 0x1098, v128
	ds_read2_b32 v[24:25], v11 offset1:1
	s_waitcnt lgkmcnt(4)
	v_mul_f32_e32 v11, v38, v130
	s_waitcnt lgkmcnt(3)
	v_dot4c_i32_i8 v10, v6, v34
	v_dot4c_i32_i8 v10, v7, v35
	s_waitcnt lgkmcnt(2)
	v_dot4c_i32_i8 v10, v14, v36
	v_dot4c_i32_i8 v10, v15, v37
	;; [unrolled: 3-line block ×4, first 2 shown]
	v_cvt_f32_i32_e32 v10, v10
	v_fmac_f32_e32 v113, v11, v10
	v_add_nc_u32_e32 v10, 0x2100, v128
	ds_read_b32 v132, v126
	ds_read2_b32 v[10:11], v10 offset1:1
	ds_read2_b32 v[20:21], v20 offset1:1
	;; [unrolled: 1-line block ×4, first 2 shown]
	v_add_nc_u32_e32 v126, 4, v126
	s_waitcnt lgkmcnt(4)
	v_mul_f32_e32 v29, v38, v132
	s_waitcnt lgkmcnt(3)
	v_dot4c_i32_i8 v28, v10, v34
	v_dot4c_i32_i8 v28, v11, v35
	s_waitcnt lgkmcnt(2)
	v_dot4c_i32_i8 v28, v20, v36
	v_dot4c_i32_i8 v28, v21, v37
	;; [unrolled: 3-line block ×4, first 2 shown]
	v_cvt_f32_i32_e32 v28, v28
	v_fmac_f32_e32 v118, v29, v28
	v_add_nc_u32_e32 v28, 0x3180, v128
	ds_read_b32 v129, v127
	ds_read2_b32 v[28:29], v28 offset1:1
	ds_read2_b32 v[30:31], v30 offset1:1
	v_add_nc_u32_e32 v127, 4, v127
	s_waitcnt lgkmcnt(2)
	v_mul_f32_e32 v38, v38, v129
	s_waitcnt lgkmcnt(1)
	v_dot4c_i32_i8 v137, v28, v34
	v_add_nc_u32_e32 v34, 0x3190, v128
	v_dot4c_i32_i8 v137, v29, v35
	ds_read2_b32 v[34:35], v34 offset1:1
	s_waitcnt lgkmcnt(1)
	v_dot4c_i32_i8 v137, v30, v36
	v_add_nc_u32_e32 v36, 0x3198, v128
	v_add_nc_u32_e32 v128, 32, v128
	v_dot4c_i32_i8 v137, v31, v37
	ds_read2_b32 v[36:37], v36 offset1:1
	s_waitcnt lgkmcnt(1)
	v_dot4c_i32_i8 v137, v34, v133
	v_dot4c_i32_i8 v137, v35, v134
	s_waitcnt lgkmcnt(0)
	v_dot4c_i32_i8 v137, v36, v135
	v_dot4c_i32_i8 v137, v37, v136
	v_cvt_f32_i32_e32 v133, v137
	v_fmac_f32_e32 v121, v38, v133
	ds_read_b128 v[133:136], v122 offset:1024
	ds_read_b128 v[137:140], v122 offset:1040
	v_mov_b32_e32 v38, 0
	s_waitcnt lgkmcnt(1)
	v_dot4c_i32_i8 v38, v8, v133
	v_dot4c_i32_i8 v38, v9, v134
	;; [unrolled: 1-line block ×4, first 2 shown]
	s_waitcnt lgkmcnt(0)
	v_dot4c_i32_i8 v38, v16, v137
	v_dot4c_i32_i8 v38, v17, v138
	;; [unrolled: 1-line block ×4, first 2 shown]
	v_cvt_f32_i32_e32 v38, v38
	v_fmac_f32_e32 v99, v141, v38
	v_mov_b32_e32 v38, 0
	v_mul_f32_e32 v141, v130, v39
	v_dot4c_i32_i8 v38, v6, v133
	v_dot4c_i32_i8 v38, v7, v134
	;; [unrolled: 1-line block ×8, first 2 shown]
	v_cvt_f32_i32_e32 v38, v38
	v_fmac_f32_e32 v110, v141, v38
	v_mov_b32_e32 v38, 0
	v_mul_f32_e32 v141, v132, v39
	v_mul_f32_e32 v39, v129, v39
	v_dot4c_i32_i8 v38, v10, v133
	v_dot4c_i32_i8 v38, v11, v134
	v_dot4c_i32_i8 v38, v20, v135
	v_dot4c_i32_i8 v38, v21, v136
	v_dot4c_i32_i8 v38, v26, v137
	v_dot4c_i32_i8 v38, v27, v138
	v_dot4c_i32_i8 v38, v32, v139
	v_dot4c_i32_i8 v38, v33, v140
	v_cvt_f32_i32_e32 v38, v38
	v_fmac_f32_e32 v116, v141, v38
	v_mov_b32_e32 v38, 0
	v_mov_b32_e32 v141, 0
	v_dot4c_i32_i8 v38, v28, v133
	v_dot4c_i32_i8 v38, v29, v134
	;; [unrolled: 1-line block ×8, first 2 shown]
	v_cvt_f32_i32_e32 v38, v38
	v_fmac_f32_e32 v120, v39, v38
	ds_read2_b32 v[38:39], v123 offset0:64 offset1:96
	ds_read_b128 v[133:136], v122 offset:2048
	ds_read_b128 v[137:140], v122 offset:2064
	s_waitcnt lgkmcnt(2)
	v_mul_f32_e32 v142, v131, v38
	s_waitcnt lgkmcnt(1)
	v_dot4c_i32_i8 v141, v8, v133
	v_dot4c_i32_i8 v141, v9, v134
	v_dot4c_i32_i8 v141, v12, v135
	v_dot4c_i32_i8 v141, v13, v136
	s_waitcnt lgkmcnt(0)
	v_dot4c_i32_i8 v141, v16, v137
	v_dot4c_i32_i8 v141, v17, v138
	;; [unrolled: 1-line block ×4, first 2 shown]
	v_cvt_f32_i32_e32 v141, v141
	v_fmac_f32_e32 v93, v142, v141
	v_mov_b32_e32 v141, 0
	v_mul_f32_e32 v142, v130, v38
	v_dot4c_i32_i8 v141, v6, v133
	v_dot4c_i32_i8 v141, v7, v134
	;; [unrolled: 1-line block ×8, first 2 shown]
	v_cvt_f32_i32_e32 v141, v141
	v_fmac_f32_e32 v107, v142, v141
	v_mov_b32_e32 v141, 0
	v_mul_f32_e32 v142, v132, v38
	v_mul_f32_e32 v38, v129, v38
	v_dot4c_i32_i8 v141, v10, v133
	v_dot4c_i32_i8 v141, v11, v134
	;; [unrolled: 1-line block ×8, first 2 shown]
	v_cvt_f32_i32_e32 v141, v141
	v_fmac_f32_e32 v114, v142, v141
	v_mov_b32_e32 v141, 0
	v_dot4c_i32_i8 v141, v28, v133
	v_dot4c_i32_i8 v141, v29, v134
	v_dot4c_i32_i8 v141, v30, v135
	v_dot4c_i32_i8 v141, v31, v136
	v_dot4c_i32_i8 v141, v34, v137
	v_dot4c_i32_i8 v141, v35, v138
	v_dot4c_i32_i8 v141, v36, v139
	v_dot4c_i32_i8 v141, v37, v140
	v_cvt_f32_i32_e32 v133, v141
	v_mul_f32_e32 v141, v131, v39
	v_fmac_f32_e32 v119, v38, v133
	ds_read_b128 v[133:136], v122 offset:3072
	ds_read_b128 v[137:140], v122 offset:3088
	v_mov_b32_e32 v38, 0
	s_waitcnt lgkmcnt(1)
	v_dot4c_i32_i8 v38, v8, v133
	v_dot4c_i32_i8 v38, v9, v134
	;; [unrolled: 1-line block ×4, first 2 shown]
	s_waitcnt lgkmcnt(0)
	v_dot4c_i32_i8 v38, v16, v137
	v_dot4c_i32_i8 v38, v17, v138
	;; [unrolled: 1-line block ×4, first 2 shown]
	v_cvt_f32_i32_e32 v38, v38
	v_fmac_f32_e32 v87, v141, v38
	v_mov_b32_e32 v38, 0
	v_mul_f32_e32 v141, v130, v39
	v_dot4c_i32_i8 v38, v6, v133
	v_dot4c_i32_i8 v38, v7, v134
	;; [unrolled: 1-line block ×8, first 2 shown]
	v_cvt_f32_i32_e32 v38, v38
	v_fmac_f32_e32 v101, v141, v38
	v_mov_b32_e32 v38, 0
	v_mul_f32_e32 v141, v132, v39
	v_mul_f32_e32 v39, v129, v39
	v_dot4c_i32_i8 v38, v10, v133
	v_dot4c_i32_i8 v38, v11, v134
	;; [unrolled: 1-line block ×8, first 2 shown]
	v_cvt_f32_i32_e32 v38, v38
	v_fmac_f32_e32 v111, v141, v38
	v_mov_b32_e32 v38, 0
	v_mov_b32_e32 v141, 0
	v_dot4c_i32_i8 v38, v28, v133
	v_dot4c_i32_i8 v38, v29, v134
	;; [unrolled: 1-line block ×8, first 2 shown]
	v_cvt_f32_i32_e32 v38, v38
	v_fmac_f32_e32 v117, v39, v38
	ds_read2_b32 v[38:39], v123 offset0:128 offset1:160
	ds_read_b128 v[133:136], v122 offset:4096
	ds_read_b128 v[137:140], v122 offset:4112
	s_waitcnt lgkmcnt(2)
	v_mul_f32_e32 v142, v131, v38
	s_waitcnt lgkmcnt(1)
	v_dot4c_i32_i8 v141, v8, v133
	v_dot4c_i32_i8 v141, v9, v134
	;; [unrolled: 1-line block ×4, first 2 shown]
	s_waitcnt lgkmcnt(0)
	v_dot4c_i32_i8 v141, v16, v137
	v_dot4c_i32_i8 v141, v17, v138
	;; [unrolled: 1-line block ×4, first 2 shown]
	v_cvt_f32_i32_e32 v141, v141
	v_fmac_f32_e32 v83, v142, v141
	v_mov_b32_e32 v141, 0
	v_mul_f32_e32 v142, v130, v38
	v_dot4c_i32_i8 v141, v6, v133
	v_dot4c_i32_i8 v141, v7, v134
	;; [unrolled: 1-line block ×8, first 2 shown]
	v_cvt_f32_i32_e32 v141, v141
	v_fmac_f32_e32 v95, v142, v141
	v_mov_b32_e32 v141, 0
	v_mul_f32_e32 v142, v132, v38
	v_mul_f32_e32 v38, v129, v38
	v_dot4c_i32_i8 v141, v10, v133
	v_dot4c_i32_i8 v141, v11, v134
	;; [unrolled: 1-line block ×8, first 2 shown]
	v_cvt_f32_i32_e32 v141, v141
	v_fmac_f32_e32 v108, v142, v141
	v_mov_b32_e32 v141, 0
	v_dot4c_i32_i8 v141, v28, v133
	v_dot4c_i32_i8 v141, v29, v134
	;; [unrolled: 1-line block ×8, first 2 shown]
	v_cvt_f32_i32_e32 v133, v141
	v_mul_f32_e32 v141, v131, v39
	v_fmac_f32_e32 v115, v38, v133
	ds_read_b128 v[133:136], v122 offset:5120
	ds_read_b128 v[137:140], v122 offset:5136
	v_mov_b32_e32 v38, 0
	s_waitcnt lgkmcnt(1)
	v_dot4c_i32_i8 v38, v8, v133
	v_dot4c_i32_i8 v38, v9, v134
	;; [unrolled: 1-line block ×4, first 2 shown]
	s_waitcnt lgkmcnt(0)
	v_dot4c_i32_i8 v38, v16, v137
	v_dot4c_i32_i8 v38, v17, v138
	;; [unrolled: 1-line block ×4, first 2 shown]
	v_cvt_f32_i32_e32 v38, v38
	v_fmac_f32_e32 v78, v141, v38
	v_mov_b32_e32 v38, 0
	v_mul_f32_e32 v141, v130, v39
	v_dot4c_i32_i8 v38, v6, v133
	v_dot4c_i32_i8 v38, v7, v134
	;; [unrolled: 1-line block ×8, first 2 shown]
	v_cvt_f32_i32_e32 v38, v38
	v_fmac_f32_e32 v89, v141, v38
	v_mov_b32_e32 v38, 0
	v_mul_f32_e32 v141, v132, v39
	v_mul_f32_e32 v39, v129, v39
	v_dot4c_i32_i8 v38, v10, v133
	v_dot4c_i32_i8 v38, v11, v134
	;; [unrolled: 1-line block ×8, first 2 shown]
	v_cvt_f32_i32_e32 v38, v38
	v_fmac_f32_e32 v103, v141, v38
	v_mov_b32_e32 v38, 0
	v_mov_b32_e32 v141, 0
	v_dot4c_i32_i8 v38, v28, v133
	v_dot4c_i32_i8 v38, v29, v134
	;; [unrolled: 1-line block ×8, first 2 shown]
	v_cvt_f32_i32_e32 v38, v38
	v_fmac_f32_e32 v112, v39, v38
	ds_read2_b32 v[38:39], v123 offset0:192 offset1:224
	ds_read_b128 v[133:136], v122 offset:6144
	ds_read_b128 v[137:140], v122 offset:6160
	v_add_nc_u32_e32 v123, 4, v123
	s_waitcnt lgkmcnt(2)
	v_mul_f32_e32 v142, v131, v38
	s_waitcnt lgkmcnt(1)
	v_dot4c_i32_i8 v141, v8, v133
	v_dot4c_i32_i8 v141, v9, v134
	;; [unrolled: 1-line block ×4, first 2 shown]
	s_waitcnt lgkmcnt(0)
	v_dot4c_i32_i8 v141, v16, v137
	v_dot4c_i32_i8 v141, v17, v138
	;; [unrolled: 1-line block ×4, first 2 shown]
	v_cvt_f32_i32_e32 v141, v141
	v_fmac_f32_e32 v76, v142, v141
	v_mov_b32_e32 v141, 0
	v_mul_f32_e32 v142, v130, v38
	v_dot4c_i32_i8 v141, v6, v133
	v_dot4c_i32_i8 v141, v7, v134
	;; [unrolled: 1-line block ×8, first 2 shown]
	v_cvt_f32_i32_e32 v141, v141
	v_fmac_f32_e32 v85, v142, v141
	v_mov_b32_e32 v141, 0
	v_mul_f32_e32 v142, v132, v38
	v_mul_f32_e32 v38, v129, v38
	v_dot4c_i32_i8 v141, v10, v133
	v_dot4c_i32_i8 v141, v11, v134
	;; [unrolled: 1-line block ×8, first 2 shown]
	v_cvt_f32_i32_e32 v141, v141
	v_fmac_f32_e32 v97, v142, v141
	v_mov_b32_e32 v141, 0
	v_dot4c_i32_i8 v141, v28, v133
	v_dot4c_i32_i8 v141, v29, v134
	;; [unrolled: 1-line block ×8, first 2 shown]
	v_cvt_f32_i32_e32 v133, v141
	v_fmac_f32_e32 v109, v38, v133
	ds_read_b128 v[133:136], v122 offset:7168
	ds_read_b128 v[137:140], v122 offset:7184
	v_mov_b32_e32 v38, 0
	v_add_nc_u32_e32 v122, 32, v122
	s_waitcnt lgkmcnt(1)
	v_dot4c_i32_i8 v38, v8, v133
	v_mul_f32_e32 v8, v131, v39
	v_dot4c_i32_i8 v38, v9, v134
	v_dot4c_i32_i8 v38, v12, v135
	;; [unrolled: 1-line block ×3, first 2 shown]
	s_waitcnt lgkmcnt(0)
	v_dot4c_i32_i8 v38, v16, v137
	v_dot4c_i32_i8 v38, v17, v138
	;; [unrolled: 1-line block ×4, first 2 shown]
	v_cvt_f32_i32_e32 v9, v38
	v_fmac_f32_e32 v75, v8, v9
	v_mov_b32_e32 v8, 0
	v_dot4c_i32_i8 v8, v6, v133
	v_mul_f32_e32 v6, v130, v39
	v_dot4c_i32_i8 v8, v7, v134
	v_dot4c_i32_i8 v8, v14, v135
	;; [unrolled: 1-line block ×7, first 2 shown]
	v_cvt_f32_i32_e32 v7, v8
	v_fmac_f32_e32 v80, v6, v7
	v_mov_b32_e32 v6, 0
	v_mul_f32_e32 v7, v132, v39
	v_dot4c_i32_i8 v6, v10, v133
	v_dot4c_i32_i8 v6, v11, v134
	;; [unrolled: 1-line block ×8, first 2 shown]
	v_cvt_f32_i32_e32 v6, v6
	v_fmac_f32_e32 v91, v7, v6
	v_mov_b32_e32 v6, 0
	v_mul_f32_e32 v7, v129, v39
	v_dot4c_i32_i8 v6, v28, v133
	v_dot4c_i32_i8 v6, v29, v134
	;; [unrolled: 1-line block ×8, first 2 shown]
	v_cvt_f32_i32_e32 v6, v6
	v_fmac_f32_e32 v105, v7, v6
	s_cbranch_scc1 .LBB145_6
; %bb.7:                                ;   in Loop: Header=BB145_5 Depth=1
	s_add_i32 s11, s11, 4
	s_cmp_ge_i32 s11, s4
	s_barrier
	buffer_gl0_inv
	s_cbranch_scc0 .LBB145_5
; %bb.8:
	v_cvt_f16_f32_e32 v12, v41
	v_cvt_f16_f32_e32 v13, v113
	;; [unrolled: 1-line block ×32, first 2 shown]
	v_mov_b32_e32 v34, v40
.LBB145_9:
	s_mov_b32 s0, exec_lo
	v_cmpx_gt_u32_e64 s8, v34
	s_cbranch_execz .LBB145_60
; %bb.10:
	v_add_nc_u32_e32 v0, s6, v0
	v_mul_lo_u32 v34, v34, s10
	v_cmp_gt_u32_e32 vcc_lo, s10, v0
	s_and_saveexec_b32 s1, vcc_lo
	s_cbranch_execz .LBB145_12
; %bb.11:
	v_add_nc_u32_e32 v35, v0, v34
	v_mov_b32_e32 v36, 0
	v_lshlrev_b64 v[35:36], 1, v[35:36]
	s_waitcnt lgkmcnt(0)
	v_add_co_u32 v35, s0, s12, v35
	v_add_co_ci_u32_e64 v36, null, s13, v36, s0
	global_store_short v[35:36], v12, off
.LBB145_12:
	s_or_b32 exec_lo, exec_lo, s1
	v_add_nc_u32_e32 v12, 32, v0
	v_cmp_gt_u32_e64 s0, s10, v12
	s_and_saveexec_b32 s2, s0
	s_cbranch_execz .LBB145_14
; %bb.13:
	v_add_nc_u32_e32 v35, v12, v34
	v_mov_b32_e32 v36, 0
	v_lshlrev_b64 v[35:36], 1, v[35:36]
	s_waitcnt lgkmcnt(0)
	v_add_co_u32 v35, s1, s12, v35
	v_add_co_ci_u32_e64 v36, null, s13, v36, s1
	global_store_short v[35:36], v13, off
.LBB145_14:
	s_or_b32 exec_lo, exec_lo, s2
	v_add_nc_u32_e32 v13, 64, v0
	v_cmp_gt_u32_e64 s1, s10, v13
	s_and_saveexec_b32 s3, s1
	s_cbranch_execz .LBB145_16
; %bb.15:
	v_add_nc_u32_e32 v35, v13, v34
	v_mov_b32_e32 v36, 0
	v_lshlrev_b64 v[35:36], 1, v[35:36]
	s_waitcnt lgkmcnt(0)
	v_add_co_u32 v35, s2, s12, v35
	v_add_co_ci_u32_e64 v36, null, s13, v36, s2
	global_store_short v[35:36], v14, off
.LBB145_16:
	s_or_b32 exec_lo, exec_lo, s3
	v_add_nc_u32_e32 v14, 0x60, v0
	v_cmp_gt_u32_e64 s2, s10, v14
	s_and_saveexec_b32 s4, s2
	s_cbranch_execz .LBB145_18
; %bb.17:
	v_add_nc_u32_e32 v34, v14, v34
	v_mov_b32_e32 v35, 0
	v_lshlrev_b64 v[34:35], 1, v[34:35]
	s_waitcnt lgkmcnt(0)
	v_add_co_u32 v34, s3, s12, v34
	v_add_co_ci_u32_e64 v35, null, s13, v35, s3
	global_store_short v[34:35], v33, off
.LBB145_18:
	s_or_b32 exec_lo, exec_lo, s4
	v_add3_u32 v33, v1, s7, 8
	v_cmp_gt_u32_e64 s3, s8, v33
	s_and_b32 exec_lo, exec_lo, s3
	s_cbranch_execz .LBB145_60
; %bb.19:
	v_mul_lo_u32 v33, v33, s10
	s_and_saveexec_b32 s4, vcc_lo
	s_cbranch_execnz .LBB145_61
; %bb.20:
	s_or_b32 exec_lo, exec_lo, s4
	s_and_saveexec_b32 s4, s0
	s_cbranch_execnz .LBB145_62
.LBB145_21:
	s_or_b32 exec_lo, exec_lo, s4
	s_and_saveexec_b32 s4, s1
	s_cbranch_execnz .LBB145_63
.LBB145_22:
	s_or_b32 exec_lo, exec_lo, s4
	s_and_saveexec_b32 s4, s2
	s_cbranch_execz .LBB145_24
.LBB145_23:
	v_add_nc_u32_e32 v30, v33, v14
	v_mov_b32_e32 v31, 0
	v_lshlrev_b64 v[30:31], 1, v[30:31]
	s_waitcnt lgkmcnt(0)
	v_add_co_u32 v30, s3, s12, v30
	v_add_co_ci_u32_e64 v31, null, s13, v31, s3
	global_store_short v[30:31], v29, off
.LBB145_24:
	s_or_b32 exec_lo, exec_lo, s4
	v_add3_u32 v29, v1, s7, 16
	v_cmp_gt_u32_e64 s3, s8, v29
	s_and_b32 exec_lo, exec_lo, s3
	s_cbranch_execz .LBB145_60
; %bb.25:
	v_mul_lo_u32 v29, v29, s10
	s_and_saveexec_b32 s4, vcc_lo
	s_cbranch_execnz .LBB145_64
; %bb.26:
	s_or_b32 exec_lo, exec_lo, s4
	s_and_saveexec_b32 s4, s0
	s_cbranch_execnz .LBB145_65
.LBB145_27:
	s_or_b32 exec_lo, exec_lo, s4
	s_and_saveexec_b32 s4, s1
	s_cbranch_execnz .LBB145_66
.LBB145_28:
	s_or_b32 exec_lo, exec_lo, s4
	s_and_saveexec_b32 s4, s2
	s_cbranch_execz .LBB145_30
.LBB145_29:
	v_add_nc_u32_e32 v26, v29, v14
	v_mov_b32_e32 v27, 0
	v_lshlrev_b64 v[26:27], 1, v[26:27]
	s_waitcnt lgkmcnt(0)
	v_add_co_u32 v26, s3, s12, v26
	v_add_co_ci_u32_e64 v27, null, s13, v27, s3
	global_store_short v[26:27], v25, off
.LBB145_30:
	s_or_b32 exec_lo, exec_lo, s4
	v_add3_u32 v25, v1, s7, 24
	v_cmp_gt_u32_e64 s3, s8, v25
	s_and_b32 exec_lo, exec_lo, s3
	s_cbranch_execz .LBB145_60
; %bb.31:
	v_mul_lo_u32 v25, v25, s10
	s_and_saveexec_b32 s4, vcc_lo
	s_cbranch_execnz .LBB145_67
; %bb.32:
	s_or_b32 exec_lo, exec_lo, s4
	s_and_saveexec_b32 s4, s0
	s_cbranch_execnz .LBB145_68
.LBB145_33:
	s_or_b32 exec_lo, exec_lo, s4
	s_and_saveexec_b32 s4, s1
	s_cbranch_execnz .LBB145_69
.LBB145_34:
	s_or_b32 exec_lo, exec_lo, s4
	s_and_saveexec_b32 s4, s2
	s_cbranch_execz .LBB145_36
.LBB145_35:
	v_add_nc_u32_e32 v22, v25, v14
	v_mov_b32_e32 v23, 0
	v_lshlrev_b64 v[22:23], 1, v[22:23]
	s_waitcnt lgkmcnt(0)
	v_add_co_u32 v22, s3, s12, v22
	v_add_co_ci_u32_e64 v23, null, s13, v23, s3
	global_store_short v[22:23], v21, off
.LBB145_36:
	s_or_b32 exec_lo, exec_lo, s4
	v_add3_u32 v21, v1, s7, 32
	v_cmp_gt_u32_e64 s3, s8, v21
	s_and_b32 exec_lo, exec_lo, s3
	s_cbranch_execz .LBB145_60
; %bb.37:
	v_mul_lo_u32 v21, v21, s10
	s_and_saveexec_b32 s4, vcc_lo
	s_cbranch_execnz .LBB145_70
; %bb.38:
	s_or_b32 exec_lo, exec_lo, s4
	s_and_saveexec_b32 s4, s0
	s_cbranch_execnz .LBB145_71
.LBB145_39:
	s_or_b32 exec_lo, exec_lo, s4
	s_and_saveexec_b32 s4, s1
	s_cbranch_execnz .LBB145_72
.LBB145_40:
	s_or_b32 exec_lo, exec_lo, s4
	s_and_saveexec_b32 s4, s2
	s_cbranch_execz .LBB145_42
.LBB145_41:
	v_add_nc_u32_e32 v18, v21, v14
	v_mov_b32_e32 v19, 0
	v_lshlrev_b64 v[18:19], 1, v[18:19]
	s_waitcnt lgkmcnt(0)
	v_add_co_u32 v18, s3, s12, v18
	v_add_co_ci_u32_e64 v19, null, s13, v19, s3
	global_store_short v[18:19], v17, off
.LBB145_42:
	s_or_b32 exec_lo, exec_lo, s4
	v_add3_u32 v17, v1, s7, 40
	v_cmp_gt_u32_e64 s3, s8, v17
	s_and_b32 exec_lo, exec_lo, s3
	s_cbranch_execz .LBB145_60
; %bb.43:
	v_mul_lo_u32 v17, v17, s10
	s_and_saveexec_b32 s4, vcc_lo
	s_cbranch_execnz .LBB145_73
; %bb.44:
	s_or_b32 exec_lo, exec_lo, s4
	s_and_saveexec_b32 s4, s0
	s_cbranch_execnz .LBB145_74
.LBB145_45:
	s_or_b32 exec_lo, exec_lo, s4
	s_and_saveexec_b32 s4, s1
	s_cbranch_execnz .LBB145_75
.LBB145_46:
	s_or_b32 exec_lo, exec_lo, s4
	s_and_saveexec_b32 s4, s2
	s_cbranch_execz .LBB145_48
.LBB145_47:
	v_add_nc_u32_e32 v15, v17, v14
	v_mov_b32_e32 v16, 0
	v_lshlrev_b64 v[15:16], 1, v[15:16]
	s_waitcnt lgkmcnt(0)
	v_add_co_u32 v15, s3, s12, v15
	v_add_co_ci_u32_e64 v16, null, s13, v16, s3
	global_store_short v[15:16], v10, off
.LBB145_48:
	s_or_b32 exec_lo, exec_lo, s4
	v_add3_u32 v10, v1, s7, 48
	v_cmp_gt_u32_e64 s3, s8, v10
	s_and_b32 exec_lo, exec_lo, s3
	s_cbranch_execz .LBB145_60
; %bb.49:
	v_mul_lo_u32 v10, v10, s10
	s_and_saveexec_b32 s4, vcc_lo
	s_cbranch_execnz .LBB145_76
; %bb.50:
	s_or_b32 exec_lo, exec_lo, s4
	s_and_saveexec_b32 s4, s0
	s_cbranch_execnz .LBB145_77
.LBB145_51:
	s_or_b32 exec_lo, exec_lo, s4
	s_and_saveexec_b32 s4, s1
	s_cbranch_execnz .LBB145_78
.LBB145_52:
	s_or_b32 exec_lo, exec_lo, s4
	s_and_saveexec_b32 s4, s2
	s_cbranch_execz .LBB145_54
.LBB145_53:
	v_add_nc_u32_e32 v7, v10, v14
	v_mov_b32_e32 v8, 0
	v_lshlrev_b64 v[7:8], 1, v[7:8]
	s_waitcnt lgkmcnt(0)
	v_add_co_u32 v7, s3, s12, v7
	v_add_co_ci_u32_e64 v8, null, s13, v8, s3
	global_store_short v[7:8], v6, off
.LBB145_54:
	s_or_b32 exec_lo, exec_lo, s4
	v_add3_u32 v1, v1, s7, 56
	v_cmp_gt_u32_e64 s3, s8, v1
	s_and_b32 exec_lo, exec_lo, s3
	s_cbranch_execz .LBB145_60
; %bb.55:
	v_mul_lo_u32 v1, v1, s10
	s_and_saveexec_b32 s3, vcc_lo
	s_cbranch_execnz .LBB145_79
; %bb.56:
	s_or_b32 exec_lo, exec_lo, s3
	s_and_saveexec_b32 s3, s0
	s_cbranch_execnz .LBB145_80
.LBB145_57:
	s_or_b32 exec_lo, exec_lo, s3
	s_and_saveexec_b32 s0, s1
	s_cbranch_execnz .LBB145_81
.LBB145_58:
	s_or_b32 exec_lo, exec_lo, s0
	s_and_b32 exec_lo, exec_lo, s2
	s_cbranch_execz .LBB145_60
.LBB145_59:
	v_add_nc_u32_e32 v0, v1, v14
	v_mov_b32_e32 v1, 0
	v_lshlrev_b64 v[0:1], 1, v[0:1]
	s_waitcnt lgkmcnt(0)
	v_add_co_u32 v0, vcc_lo, s12, v0
	v_add_co_ci_u32_e64 v1, null, s13, v1, vcc_lo
	global_store_short v[0:1], v2, off
.LBB145_60:
	s_endpgm
.LBB145_61:
	v_add_nc_u32_e32 v34, v33, v0
	v_mov_b32_e32 v35, 0
	v_lshlrev_b64 v[34:35], 1, v[34:35]
	s_waitcnt lgkmcnt(0)
	v_add_co_u32 v34, s3, s12, v34
	v_add_co_ci_u32_e64 v35, null, s13, v35, s3
	global_store_short v[34:35], v32, off
	s_or_b32 exec_lo, exec_lo, s4
	s_and_saveexec_b32 s4, s0
	s_cbranch_execz .LBB145_21
.LBB145_62:
	v_add_nc_u32_e32 v34, v33, v12
	v_mov_b32_e32 v35, 0
	v_lshlrev_b64 v[34:35], 1, v[34:35]
	s_waitcnt lgkmcnt(0)
	v_add_co_u32 v34, s3, s12, v34
	v_add_co_ci_u32_e64 v35, null, s13, v35, s3
	global_store_short v[34:35], v31, off
	s_or_b32 exec_lo, exec_lo, s4
	s_and_saveexec_b32 s4, s1
	s_cbranch_execz .LBB145_22
.LBB145_63:
	v_add_nc_u32_e32 v31, v33, v13
	v_mov_b32_e32 v32, 0
	v_lshlrev_b64 v[31:32], 1, v[31:32]
	s_waitcnt lgkmcnt(0)
	v_add_co_u32 v31, s3, s12, v31
	v_add_co_ci_u32_e64 v32, null, s13, v32, s3
	global_store_short v[31:32], v30, off
	s_or_b32 exec_lo, exec_lo, s4
	s_and_saveexec_b32 s4, s2
	s_cbranch_execnz .LBB145_23
	s_branch .LBB145_24
.LBB145_64:
	v_add_nc_u32_e32 v30, v29, v0
	v_mov_b32_e32 v31, 0
	v_lshlrev_b64 v[30:31], 1, v[30:31]
	s_waitcnt lgkmcnt(0)
	v_add_co_u32 v30, s3, s12, v30
	v_add_co_ci_u32_e64 v31, null, s13, v31, s3
	global_store_short v[30:31], v28, off
	s_or_b32 exec_lo, exec_lo, s4
	s_and_saveexec_b32 s4, s0
	s_cbranch_execz .LBB145_27
.LBB145_65:
	v_add_nc_u32_e32 v30, v29, v12
	v_mov_b32_e32 v31, 0
	v_lshlrev_b64 v[30:31], 1, v[30:31]
	s_waitcnt lgkmcnt(0)
	v_add_co_u32 v30, s3, s12, v30
	v_add_co_ci_u32_e64 v31, null, s13, v31, s3
	global_store_short v[30:31], v27, off
	s_or_b32 exec_lo, exec_lo, s4
	s_and_saveexec_b32 s4, s1
	s_cbranch_execz .LBB145_28
.LBB145_66:
	v_add_nc_u32_e32 v27, v29, v13
	v_mov_b32_e32 v28, 0
	v_lshlrev_b64 v[27:28], 1, v[27:28]
	s_waitcnt lgkmcnt(0)
	v_add_co_u32 v27, s3, s12, v27
	v_add_co_ci_u32_e64 v28, null, s13, v28, s3
	global_store_short v[27:28], v26, off
	s_or_b32 exec_lo, exec_lo, s4
	s_and_saveexec_b32 s4, s2
	s_cbranch_execnz .LBB145_29
	s_branch .LBB145_30
.LBB145_67:
	v_add_nc_u32_e32 v26, v25, v0
	v_mov_b32_e32 v27, 0
	v_lshlrev_b64 v[26:27], 1, v[26:27]
	s_waitcnt lgkmcnt(0)
	v_add_co_u32 v26, s3, s12, v26
	v_add_co_ci_u32_e64 v27, null, s13, v27, s3
	global_store_short v[26:27], v24, off
	s_or_b32 exec_lo, exec_lo, s4
	s_and_saveexec_b32 s4, s0
	s_cbranch_execz .LBB145_33
.LBB145_68:
	v_add_nc_u32_e32 v26, v25, v12
	v_mov_b32_e32 v27, 0
	v_lshlrev_b64 v[26:27], 1, v[26:27]
	s_waitcnt lgkmcnt(0)
	v_add_co_u32 v26, s3, s12, v26
	v_add_co_ci_u32_e64 v27, null, s13, v27, s3
	global_store_short v[26:27], v23, off
	s_or_b32 exec_lo, exec_lo, s4
	s_and_saveexec_b32 s4, s1
	s_cbranch_execz .LBB145_34
.LBB145_69:
	v_add_nc_u32_e32 v23, v25, v13
	v_mov_b32_e32 v24, 0
	v_lshlrev_b64 v[23:24], 1, v[23:24]
	s_waitcnt lgkmcnt(0)
	v_add_co_u32 v23, s3, s12, v23
	v_add_co_ci_u32_e64 v24, null, s13, v24, s3
	global_store_short v[23:24], v22, off
	s_or_b32 exec_lo, exec_lo, s4
	s_and_saveexec_b32 s4, s2
	s_cbranch_execnz .LBB145_35
	s_branch .LBB145_36
.LBB145_70:
	v_add_nc_u32_e32 v22, v21, v0
	v_mov_b32_e32 v23, 0
	v_lshlrev_b64 v[22:23], 1, v[22:23]
	s_waitcnt lgkmcnt(0)
	v_add_co_u32 v22, s3, s12, v22
	v_add_co_ci_u32_e64 v23, null, s13, v23, s3
	global_store_short v[22:23], v20, off
	s_or_b32 exec_lo, exec_lo, s4
	s_and_saveexec_b32 s4, s0
	s_cbranch_execz .LBB145_39
.LBB145_71:
	v_add_nc_u32_e32 v22, v21, v12
	v_mov_b32_e32 v23, 0
	v_lshlrev_b64 v[22:23], 1, v[22:23]
	s_waitcnt lgkmcnt(0)
	v_add_co_u32 v22, s3, s12, v22
	v_add_co_ci_u32_e64 v23, null, s13, v23, s3
	global_store_short v[22:23], v19, off
	s_or_b32 exec_lo, exec_lo, s4
	s_and_saveexec_b32 s4, s1
	s_cbranch_execz .LBB145_40
.LBB145_72:
	v_add_nc_u32_e32 v19, v21, v13
	v_mov_b32_e32 v20, 0
	v_lshlrev_b64 v[19:20], 1, v[19:20]
	s_waitcnt lgkmcnt(0)
	v_add_co_u32 v19, s3, s12, v19
	v_add_co_ci_u32_e64 v20, null, s13, v20, s3
	global_store_short v[19:20], v18, off
	s_or_b32 exec_lo, exec_lo, s4
	s_and_saveexec_b32 s4, s2
	s_cbranch_execnz .LBB145_41
	s_branch .LBB145_42
.LBB145_73:
	v_add_nc_u32_e32 v18, v17, v0
	v_mov_b32_e32 v19, 0
	v_lshlrev_b64 v[18:19], 1, v[18:19]
	s_waitcnt lgkmcnt(0)
	v_add_co_u32 v18, s3, s12, v18
	v_add_co_ci_u32_e64 v19, null, s13, v19, s3
	global_store_short v[18:19], v16, off
	s_or_b32 exec_lo, exec_lo, s4
	s_and_saveexec_b32 s4, s0
	s_cbranch_execz .LBB145_45
.LBB145_74:
	v_add_nc_u32_e32 v18, v17, v12
	v_mov_b32_e32 v19, 0
	v_lshlrev_b64 v[18:19], 1, v[18:19]
	s_waitcnt lgkmcnt(0)
	v_add_co_u32 v18, s3, s12, v18
	v_add_co_ci_u32_e64 v19, null, s13, v19, s3
	global_store_short v[18:19], v15, off
	s_or_b32 exec_lo, exec_lo, s4
	s_and_saveexec_b32 s4, s1
	s_cbranch_execz .LBB145_46
.LBB145_75:
	v_add_nc_u32_e32 v15, v17, v13
	v_mov_b32_e32 v16, 0
	v_lshlrev_b64 v[15:16], 1, v[15:16]
	s_waitcnt lgkmcnt(0)
	v_add_co_u32 v15, s3, s12, v15
	v_add_co_ci_u32_e64 v16, null, s13, v16, s3
	global_store_short v[15:16], v11, off
	s_or_b32 exec_lo, exec_lo, s4
	s_and_saveexec_b32 s4, s2
	s_cbranch_execnz .LBB145_47
	s_branch .LBB145_48
.LBB145_76:
	v_add_nc_u32_e32 v15, v10, v0
	v_mov_b32_e32 v16, 0
	v_lshlrev_b64 v[15:16], 1, v[15:16]
	s_waitcnt lgkmcnt(0)
	v_add_co_u32 v15, s3, s12, v15
	v_add_co_ci_u32_e64 v16, null, s13, v16, s3
	global_store_short v[15:16], v9, off
	s_or_b32 exec_lo, exec_lo, s4
	s_and_saveexec_b32 s4, s0
	s_cbranch_execz .LBB145_51
.LBB145_77:
	v_add_nc_u32_e32 v15, v10, v12
	v_mov_b32_e32 v16, 0
	v_lshlrev_b64 v[15:16], 1, v[15:16]
	s_waitcnt lgkmcnt(0)
	v_add_co_u32 v15, s3, s12, v15
	v_add_co_ci_u32_e64 v16, null, s13, v16, s3
	global_store_short v[15:16], v8, off
	s_or_b32 exec_lo, exec_lo, s4
	s_and_saveexec_b32 s4, s1
	s_cbranch_execz .LBB145_52
.LBB145_78:
	v_add_nc_u32_e32 v8, v10, v13
	v_mov_b32_e32 v9, 0
	v_lshlrev_b64 v[8:9], 1, v[8:9]
	s_waitcnt lgkmcnt(0)
	v_add_co_u32 v8, s3, s12, v8
	v_add_co_ci_u32_e64 v9, null, s13, v9, s3
	global_store_short v[8:9], v7, off
	s_or_b32 exec_lo, exec_lo, s4
	s_and_saveexec_b32 s4, s2
	s_cbranch_execnz .LBB145_53
	s_branch .LBB145_54
.LBB145_79:
	v_add_nc_u32_e32 v6, v1, v0
	v_mov_b32_e32 v7, 0
	v_lshlrev_b64 v[6:7], 1, v[6:7]
	s_waitcnt lgkmcnt(0)
	v_add_co_u32 v6, vcc_lo, s12, v6
	v_add_co_ci_u32_e64 v7, null, s13, v7, vcc_lo
	global_store_short v[6:7], v5, off
	s_or_b32 exec_lo, exec_lo, s3
	s_and_saveexec_b32 s3, s0
	s_cbranch_execz .LBB145_57
.LBB145_80:
	v_add_nc_u32_e32 v5, v1, v12
	v_mov_b32_e32 v6, 0
	v_lshlrev_b64 v[5:6], 1, v[5:6]
	s_waitcnt lgkmcnt(0)
	v_add_co_u32 v5, vcc_lo, s12, v5
	v_add_co_ci_u32_e64 v6, null, s13, v6, vcc_lo
	global_store_short v[5:6], v4, off
	s_or_b32 exec_lo, exec_lo, s3
	s_and_saveexec_b32 s0, s1
	s_cbranch_execz .LBB145_58
.LBB145_81:
	v_add_nc_u32_e32 v4, v1, v13
	v_mov_b32_e32 v5, 0
	v_lshlrev_b64 v[4:5], 1, v[4:5]
	s_waitcnt lgkmcnt(0)
	v_add_co_u32 v4, vcc_lo, s12, v4
	v_add_co_ci_u32_e64 v5, null, s13, v5, vcc_lo
	global_store_short v[4:5], v3, off
	s_or_b32 exec_lo, exec_lo, s0
	s_and_b32 exec_lo, exec_lo, s2
	s_cbranch_execnz .LBB145_59
	s_branch .LBB145_60
	.section	.rodata,"a",@progbits
	.p2align	6, 0x0
	.amdhsa_kernel _ZL12mul_mat_q8_0IN3c104HalfELb0EEvPKvS3_PT_iiiii
		.amdhsa_group_segment_fixed_size 28224
		.amdhsa_private_segment_fixed_size 0
		.amdhsa_kernarg_size 44
		.amdhsa_user_sgpr_count 6
		.amdhsa_user_sgpr_private_segment_buffer 1
		.amdhsa_user_sgpr_dispatch_ptr 0
		.amdhsa_user_sgpr_queue_ptr 0
		.amdhsa_user_sgpr_kernarg_segment_ptr 1
		.amdhsa_user_sgpr_dispatch_id 0
		.amdhsa_user_sgpr_flat_scratch_init 0
		.amdhsa_user_sgpr_private_segment_size 0
		.amdhsa_wavefront_size32 1
		.amdhsa_uses_dynamic_stack 0
		.amdhsa_system_sgpr_private_segment_wavefront_offset 0
		.amdhsa_system_sgpr_workgroup_id_x 1
		.amdhsa_system_sgpr_workgroup_id_y 1
		.amdhsa_system_sgpr_workgroup_id_z 0
		.amdhsa_system_sgpr_workgroup_info 0
		.amdhsa_system_vgpr_workitem_id 1
		.amdhsa_next_free_vgpr 143
		.amdhsa_next_free_sgpr 15
		.amdhsa_reserve_vcc 1
		.amdhsa_reserve_flat_scratch 0
		.amdhsa_float_round_mode_32 0
		.amdhsa_float_round_mode_16_64 0
		.amdhsa_float_denorm_mode_32 3
		.amdhsa_float_denorm_mode_16_64 3
		.amdhsa_dx10_clamp 1
		.amdhsa_ieee_mode 1
		.amdhsa_fp16_overflow 0
		.amdhsa_workgroup_processor_mode 1
		.amdhsa_memory_ordered 1
		.amdhsa_forward_progress 1
		.amdhsa_shared_vgpr_count 0
		.amdhsa_exception_fp_ieee_invalid_op 0
		.amdhsa_exception_fp_denorm_src 0
		.amdhsa_exception_fp_ieee_div_zero 0
		.amdhsa_exception_fp_ieee_overflow 0
		.amdhsa_exception_fp_ieee_underflow 0
		.amdhsa_exception_fp_ieee_inexact 0
		.amdhsa_exception_int_div_zero 0
	.end_amdhsa_kernel
	.section	.text._ZL12mul_mat_q8_0IN3c104HalfELb0EEvPKvS3_PT_iiiii,"axG",@progbits,_ZL12mul_mat_q8_0IN3c104HalfELb0EEvPKvS3_PT_iiiii,comdat
.Lfunc_end145:
	.size	_ZL12mul_mat_q8_0IN3c104HalfELb0EEvPKvS3_PT_iiiii, .Lfunc_end145-_ZL12mul_mat_q8_0IN3c104HalfELb0EEvPKvS3_PT_iiiii
                                        ; -- End function
	.set _ZL12mul_mat_q8_0IN3c104HalfELb0EEvPKvS3_PT_iiiii.num_vgpr, 143
	.set _ZL12mul_mat_q8_0IN3c104HalfELb0EEvPKvS3_PT_iiiii.num_agpr, 0
	.set _ZL12mul_mat_q8_0IN3c104HalfELb0EEvPKvS3_PT_iiiii.numbered_sgpr, 15
	.set _ZL12mul_mat_q8_0IN3c104HalfELb0EEvPKvS3_PT_iiiii.num_named_barrier, 0
	.set _ZL12mul_mat_q8_0IN3c104HalfELb0EEvPKvS3_PT_iiiii.private_seg_size, 0
	.set _ZL12mul_mat_q8_0IN3c104HalfELb0EEvPKvS3_PT_iiiii.uses_vcc, 1
	.set _ZL12mul_mat_q8_0IN3c104HalfELb0EEvPKvS3_PT_iiiii.uses_flat_scratch, 0
	.set _ZL12mul_mat_q8_0IN3c104HalfELb0EEvPKvS3_PT_iiiii.has_dyn_sized_stack, 0
	.set _ZL12mul_mat_q8_0IN3c104HalfELb0EEvPKvS3_PT_iiiii.has_recursion, 0
	.set _ZL12mul_mat_q8_0IN3c104HalfELb0EEvPKvS3_PT_iiiii.has_indirect_call, 0
	.section	.AMDGPU.csdata,"",@progbits
; Kernel info:
; codeLenInByte = 7068
; TotalNumSgprs: 17
; NumVgprs: 143
; ScratchSize: 0
; MemoryBound: 0
; FloatMode: 240
; IeeeMode: 1
; LDSByteSize: 28224 bytes/workgroup (compile time only)
; SGPRBlocks: 0
; VGPRBlocks: 17
; NumSGPRsForWavesPerEU: 17
; NumVGPRsForWavesPerEU: 143
; Occupancy: 7
; WaveLimiterHint : 0
; COMPUTE_PGM_RSRC2:SCRATCH_EN: 0
; COMPUTE_PGM_RSRC2:USER_SGPR: 6
; COMPUTE_PGM_RSRC2:TRAP_HANDLER: 0
; COMPUTE_PGM_RSRC2:TGID_X_EN: 1
; COMPUTE_PGM_RSRC2:TGID_Y_EN: 1
; COMPUTE_PGM_RSRC2:TGID_Z_EN: 0
; COMPUTE_PGM_RSRC2:TIDIG_COMP_CNT: 1
	.section	.text._ZL12mul_mat_q8_0IN3c104HalfELb1EEvPKvS3_PT_iiiii,"axG",@progbits,_ZL12mul_mat_q8_0IN3c104HalfELb1EEvPKvS3_PT_iiiii,comdat
	.globl	_ZL12mul_mat_q8_0IN3c104HalfELb1EEvPKvS3_PT_iiiii ; -- Begin function _ZL12mul_mat_q8_0IN3c104HalfELb1EEvPKvS3_PT_iiiii
	.p2align	8
	.type	_ZL12mul_mat_q8_0IN3c104HalfELb1EEvPKvS3_PT_iiiii,@function
_ZL12mul_mat_q8_0IN3c104HalfELb1EEvPKvS3_PT_iiiii: ; @_ZL12mul_mat_q8_0IN3c104HalfELb1EEvPKvS3_PT_iiiii
; %bb.0:
	s_clause 0x1
	s_load_dwordx4 s[8:11], s[4:5], 0x18
	s_load_dword s14, s[4:5], 0x28
	s_lshl_b32 s7, s7, 6
	v_add_nc_u32_e32 v56, s7, v1
	s_waitcnt lgkmcnt(0)
	s_cmp_gt_i32 s8, 31
	s_cbranch_scc1 .LBB146_2
; %bb.1:
	v_add_nc_u32_e32 v34, s7, v1
	s_mov_b32 s0, 0
	s_branch .LBB146_3
.LBB146_2:
	s_mov_b32 s0, -1
                                        ; implicit-def: $vgpr34
.LBB146_3:
	s_load_dwordx2 s[12:13], s[4:5], 0x10
	v_mov_b32_e32 v2, 0
	v_mov_b32_e32 v6, 0
	;; [unrolled: 1-line block ×32, first 2 shown]
	s_andn2_b32 vcc_lo, exec_lo, s0
	s_lshl_b32 s6, s6, 7
	s_cbranch_vccnz .LBB146_9
; %bb.4:
	s_load_dwordx4 s[0:3], s[4:5], 0x0
	s_ashr_i32 s4, s8, 31
	s_ashr_i32 s5, s11, 31
	s_lshr_b32 s4, s4, 27
	s_lshr_b32 s5, s5, 27
	s_add_i32 s4, s8, s4
	s_add_i32 s5, s11, s5
	s_ashr_i32 s4, s4, 5
	s_ashr_i32 s11, s5, 5
	s_mul_i32 s8, s4, s6
	v_add_nc_u32_e32 v37, 8, v1
	s_mul_i32 s5, s8, 34
	s_mul_hi_i32 s8, s8, 34
	v_add_nc_u32_e32 v38, 16, v1
	v_add_nc_u32_e32 v39, 24, v1
	;; [unrolled: 1-line block ×3, first 2 shown]
	v_lshlrev_b32_e32 v18, 2, v0
	v_add_nc_u32_e32 v41, 40, v1
	v_add_nc_u32_e32 v42, 48, v1
	;; [unrolled: 1-line block ×3, first 2 shown]
	s_waitcnt lgkmcnt(0)
	s_add_u32 s5, s0, s5
	s_addc_u32 s8, s1, s8
	s_not_b32 s0, s6
	v_add_nc_u32_e32 v10, 64, v1
	s_add_i32 s0, s9, s0
	v_add_nc_u32_e32 v12, 0x48, v1
	v_min_i32_e32 v2, s0, v1
	v_min_i32_e32 v4, s0, v37
	;; [unrolled: 1-line block ×5, first 2 shown]
	v_mul_lo_u32 v60, v2, s4
	v_mad_u64_u32 v[2:3], null, 0x84, v2, v[18:19]
	v_min_i32_e32 v8, s0, v41
	v_mul_lo_u32 v61, v4, s4
	v_mad_u64_u32 v[3:4], null, 0x84, v4, v[18:19]
	v_min_i32_e32 v9, s0, v42
	;; [unrolled: 3-line block ×4, first 2 shown]
	v_mul_lo_u32 v64, v7, s4
	v_mad_u64_u32 v[6:7], null, 0x84, v7, v[18:19]
	v_mul_lo_u32 v65, v8, s4
	v_mad_u64_u32 v[7:8], null, 0x84, v8, v[18:19]
	v_mul_lo_u32 v66, v9, s4
	v_mad_u64_u32 v[8:9], null, 0x84, v9, v[18:19]
	v_mad_u64_u32 v[9:10], null, 0x84, v11, v[18:19]
	v_add_nc_u32_e32 v14, 0x50, v1
	v_mul_lo_u32 v67, v11, s4
	v_mul_lo_u32 v68, v13, s4
	v_mad_u64_u32 v[10:11], null, 0x84, v13, v[18:19]
	v_add_nc_u32_e32 v13, 0x58, v1
	v_add_nc_u32_e32 v15, 0x60, v1
	v_min_i32_e32 v12, s0, v12
	v_min_i32_e32 v14, s0, v14
	v_add_nc_u32_e32 v17, 0x68, v1
	v_min_i32_e32 v16, s0, v13
	v_min_i32_e32 v15, s0, v15
	v_mul_lo_u32 v69, v12, s4
	v_mad_u64_u32 v[11:12], null, 0x84, v12, v[18:19]
	v_mad_u64_u32 v[12:13], null, 0x84, v14, v[18:19]
	v_mul_lo_u32 v70, v14, s4
	v_mad_u64_u32 v[13:14], null, 0x84, v16, v[18:19]
	v_mul_lo_u32 v71, v16, s4
	v_mul_lo_u32 v72, v15, s4
	v_lshrrev_b32_e32 v16, 2, v0
	v_min_i32_e32 v17, s0, v17
	v_mad_u64_u32 v[14:15], null, 0x84, v15, v[18:19]
	v_add_nc_u32_e32 v19, 0x70, v1
	s_add_i32 s1, s10, -1
	v_lshl_add_u32 v44, v1, 3, v16
	v_mul_lo_u32 v73, v17, s4
	v_cvt_f64_u32_e32 v[21:22], v56
	v_mad_u64_u32 v[15:16], null, 0x84, v17, v[18:19]
	v_min_i32_e32 v16, s0, v19
	v_add_nc_u32_e32 v17, 8, v56
	v_cvt_f64_i32_e32 v[19:20], s1
	v_add_nc_u32_e32 v25, 16, v56
	v_add_nc_u32_e32 v27, 24, v56
	;; [unrolled: 1-line block ×3, first 2 shown]
	v_cvt_f64_u32_e32 v[23:24], v17
	v_add_nc_u32_e32 v17, 32, v56
	v_add_nc_u32_e32 v33, 48, v56
	v_add_nc_u32_e32 v35, 56, v56
	v_cvt_f64_u32_e32 v[25:26], v25
	v_cvt_f64_u32_e32 v[27:28], v27
	;; [unrolled: 1-line block ×6, first 2 shown]
	v_add_nc_u32_e32 v47, 64, v44
	v_min_i32_e32 v45, s0, v44
	v_add_nc_u32_e32 v46, 0x78, v1
	v_and_b32_e32 v59, 28, v18
	v_mul_lo_u32 v74, v16, s4
	v_min_i32_e32 v47, s0, v47
	v_ashrrev_i32_e32 v17, 31, v45
	v_min_i32_e32 v46, s0, v46
	v_min_f64 v[21:22], v[21:22], v[19:20]
	v_lshrrev_b32_e32 v58, 3, v0
	v_ashrrev_i32_e32 v49, 31, v47
	v_lshrrev_b32_e32 v48, 29, v17
	v_min_f64 v[23:24], v[23:24], v[19:20]
	v_mad_u64_u32 v[16:17], null, 0x84, v16, v[18:19]
	v_lshrrev_b32_e32 v49, 29, v49
	v_min_f64 v[25:26], v[25:26], v[19:20]
	v_min_f64 v[27:28], v[27:28], v[19:20]
	;; [unrolled: 1-line block ×6, first 2 shown]
	v_add_nc_u32_e32 v49, v47, v49
	v_mad_u64_u32 v[18:19], null, 0x84, v46, v[18:19]
	v_and_b32_e32 v17, 3, v0
	v_and_b32_e32 v20, 63, v44
	v_ashrrev_i32_e32 v19, 3, v49
	v_add_nc_u32_e32 v48, v45, v48
	v_mul_lo_u32 v75, v46, s4
	v_cvt_i32_f64_e32 v21, v[21:22]
	v_lshlrev_b32_e32 v50, 2, v17
	v_lshlrev_b32_e32 v19, 2, v19
	v_ashrrev_i32_e32 v48, 3, v48
	v_cvt_i32_f64_e32 v23, v[23:24]
	v_lshlrev_b32_e32 v22, 4, v45
	v_mul_lo_u32 v76, v45, s4
	v_mul_lo_u32 v77, v47, s4
	v_cvt_i32_f64_e32 v24, v[25:26]
	v_cvt_i32_f64_e32 v25, v[27:28]
	;; [unrolled: 1-line block ×6, first 2 shown]
	v_or_b32_e32 v27, s7, v20
	v_add3_u32 v29, v19, v50, 0x6200
	v_and_b32_e32 v19, 31, v0
	v_lshl_or_b32 v32, v20, 4, v50
	v_lshlrev_b32_e32 v48, 2, v48
	v_min_i32_e32 v27, s1, v27
	v_lshlrev_b32_e32 v31, 4, v47
	v_lshl_or_b32 v34, v19, 2, 0x4200
	v_add_nc_u32_e32 v78, 0x6a40, v32
	v_mul_lo_u32 v79, s11, v21
	v_mad_u64_u32 v[19:20], null, v27, s11, v[17:18]
	v_add_nc_u32_e32 v20, 0x60, v0
	v_add_nc_u32_e32 v21, 64, v0
	;; [unrolled: 1-line block ×3, first 2 shown]
	v_add3_u32 v46, v48, v50, 0x6200
	v_lshlrev_b32_e32 v27, 7, v1
	v_lshrrev_b32_e32 v20, 1, v20
	v_lshrrev_b32_e32 v21, 1, v21
	;; [unrolled: 1-line block ×3, first 2 shown]
	v_mul_lo_u32 v80, s11, v23
	v_lshlrev_b32_e32 v23, 7, v37
	v_mul_lo_u32 v81, s11, v24
	v_lshlrev_b32_e32 v24, 7, v38
	;; [unrolled: 2-line block ×7, first 2 shown]
	v_lshlrev_b32_e32 v35, 4, v0
	v_and_b32_e32 v36, 0xfc, v20
	v_and_b32_e32 v37, 0xfc, v21
	;; [unrolled: 1-line block ×3, first 2 shown]
	v_lshlrev_b32_e32 v38, 2, v58
	v_add_co_u32 v20, s0, s2, v59
	v_mov_b32_e32 v57, 0
	v_mul_u32_u24_e32 v87, 0x84, v0
	v_add_co_ci_u32_e64 v21, null, s3, 0, s0
	v_add3_u32 v90, v35, v36, 0x6800
	v_add3_u32 v92, v35, v37, 0x6600
	;; [unrolled: 1-line block ×4, first 2 shown]
	v_lshl_add_u32 v97, v1, 4, 0x6a40
	v_add_nc_u32_e32 v99, 0x4200, v27
	v_add_nc_u32_e32 v101, v46, v22
	;; [unrolled: 1-line block ×11, first 2 shown]
	v_mov_b32_e32 v112, 0
	v_mov_b32_e32 v106, 0
	;; [unrolled: 1-line block ×31, first 2 shown]
	s_mov_b32 s9, 0
.LBB146_5:                              ; =>This Loop Header: Depth=1
                                        ;     Child Loop BB146_6 Depth 2
	s_mul_i32 s0, s9, 34
	s_mul_hi_u32 s1, s9, 34
	s_add_u32 s0, s5, s0
	s_addc_u32 s1, s8, s1
	v_add_nc_u32_e32 v54, s9, v58
	v_mad_u64_u32 v[22:23], null, v58, 34, s[0:1]
	v_add_nc_u32_e32 v42, s9, v19
	v_mov_b32_e32 v139, v92
	v_add_nc_u32_e32 v44, v54, v79
	v_add_nc_u32_e32 v46, v54, v80
	;; [unrolled: 1-line block ×4, first 2 shown]
	v_mad_i64_i32 v[24:25], null, v60, 34, v[22:23]
	v_mad_i64_i32 v[26:27], null, v61, 34, v[22:23]
	;; [unrolled: 1-line block ×4, first 2 shown]
	v_add_co_u32 v24, vcc_lo, v24, v59
	v_mad_i64_i32 v[32:33], null, v64, 34, v[22:23]
	v_add_co_ci_u32_e64 v25, null, 0, v25, vcc_lo
	v_add_co_u32 v26, vcc_lo, v26, v59
	v_mad_i64_i32 v[34:35], null, v65, 34, v[22:23]
	v_add_co_ci_u32_e64 v27, null, 0, v27, vcc_lo
	;; [unrolled: 3-line block ×4, first 2 shown]
	v_add_co_u32 v32, vcc_lo, v32, v59
	v_add_co_ci_u32_e64 v33, null, 0, v33, vcc_lo
	v_add_co_u32 v34, vcc_lo, v34, v59
	v_add_co_ci_u32_e64 v35, null, 0, v35, vcc_lo
	;; [unrolled: 2-line block ×3, first 2 shown]
	v_add_co_u32 v38, vcc_lo, v38, v59
	v_mad_i64_i32 v[40:41], null, v68, 34, v[22:23]
	v_add_co_ci_u32_e64 v39, null, 0, v39, vcc_lo
	s_clause 0x7
	global_load_dword v142, v[24:25], off offset:2
	global_load_dword v143, v[26:27], off offset:2
	;; [unrolled: 1-line block ×8, first 2 shown]
	v_mad_i64_i32 v[24:25], null, v69, 34, v[22:23]
	v_mad_i64_i32 v[28:29], null, v70, 34, v[22:23]
	v_mad_u64_u32 v[36:37], null, v17, 34, s[0:1]
	v_mad_i64_i32 v[30:31], null, v71, 34, v[22:23]
	v_add_co_u32 v26, vcc_lo, v40, v59
	v_mad_i64_i32 v[32:33], null, v72, 34, v[22:23]
	v_add_co_ci_u32_e64 v27, null, 0, v41, vcc_lo
	v_add_co_u32 v24, vcc_lo, v24, v59
	v_mad_i64_i32 v[34:35], null, v73, 34, v[22:23]
	v_add_co_ci_u32_e64 v25, null, 0, v25, vcc_lo
	v_add_co_u32 v28, vcc_lo, v28, v59
	v_mad_i64_i32 v[38:39], null, v74, 34, v[22:23]
	v_mad_i64_i32 v[40:41], null, v76, 34, v[36:37]
	v_mad_u64_u32 v[42:43], null, v42, 36, s[2:3]
	v_add_nc_u32_e32 v52, v54, v83
	v_mad_i64_i32 v[36:37], null, v77, 34, v[36:37]
	v_mad_i64_i32 v[44:45], null, v44, 36, v[20:21]
	v_add_nc_u32_e32 v55, v54, v84
	v_add_co_ci_u32_e64 v29, null, 0, v29, vcc_lo
	v_add_co_u32 v30, vcc_lo, v30, v59
	v_mad_i64_i32 v[46:47], null, v46, 36, v[20:21]
	v_add_nc_u32_e32 v135, v54, v85
	v_mad_i64_i32 v[22:23], null, v75, 34, v[22:23]
	v_mad_i64_i32 v[48:49], null, v48, 36, v[20:21]
	v_add_nc_u32_e32 v137, v54, v86
	v_add_co_ci_u32_e64 v31, null, 0, v31, vcc_lo
	v_add_co_u32 v32, vcc_lo, v32, v59
	v_mad_i64_i32 v[50:51], null, v50, 36, v[20:21]
	v_mad_i64_i32 v[52:53], null, v52, 36, v[20:21]
	v_add_co_ci_u32_e64 v33, null, 0, v33, vcc_lo
	v_add_co_u32 v34, vcc_lo, v34, v59
	v_mad_i64_i32 v[54:55], null, v55, 36, v[20:21]
	v_mad_i64_i32 v[135:136], null, v135, 36, v[20:21]
	v_add_co_ci_u32_e64 v35, null, 0, v35, vcc_lo
	v_mad_i64_i32 v[137:138], null, v137, 36, v[20:21]
	s_clause 0x8
	global_load_dword v42, v[42:43], off
	global_load_dword v43, v[44:45], off offset:4
	global_load_dword v44, v[46:47], off offset:4
	;; [unrolled: 1-line block ×8, first 2 shown]
	s_clause 0x1
	global_load_ushort v40, v[40:41], off
	global_load_ushort v41, v[36:37], off
	v_add_co_u32 v36, vcc_lo, v38, v59
	v_add_co_ci_u32_e64 v37, null, 0, v39, vcc_lo
	v_add_co_u32 v22, vcc_lo, v22, v59
	v_add_co_ci_u32_e64 v23, null, 0, v23, vcc_lo
	s_clause 0x7
	global_load_dword v26, v[26:27], off offset:2
	global_load_dword v24, v[24:25], off offset:2
	;; [unrolled: 1-line block ×8, first 2 shown]
	v_mov_b32_e32 v135, v99
	v_mov_b32_e32 v136, v97
	;; [unrolled: 1-line block ×6, first 2 shown]
	s_mov_b32 s0, -8
	s_waitcnt vmcnt(18)
	v_cvt_f32_f16_e32 v23, v42
	s_waitcnt vmcnt(17)
	ds_write_b32 v105, v43
	s_waitcnt vmcnt(16)
	ds_write_b32 v107, v44
	;; [unrolled: 2-line block ×8, first 2 shown]
	ds_write_b32 v78, v23
	s_waitcnt vmcnt(9)
	v_cvt_f32_f16_e32 v23, v40
	s_waitcnt vmcnt(8)
	v_cvt_f32_f16_e32 v31, v41
	ds_write_b32 v2, v142
	ds_write_b32 v3, v143
	;; [unrolled: 1-line block ×8, first 2 shown]
	s_waitcnt vmcnt(7)
	ds_write_b32 v10, v26
	s_waitcnt vmcnt(6)
	ds_write_b32 v11, v24
	;; [unrolled: 2-line block ×8, first 2 shown]
	ds_write_b32 v101, v23
	ds_write_b32 v103, v31
	s_waitcnt lgkmcnt(0)
	s_barrier
	buffer_gl0_inv
.LBB146_6:                              ;   Parent Loop BB146_5 Depth=1
                                        ; =>  This Inner Loop Header: Depth=2
	ds_read2_b32 v[153:154], v136 offset1:32
	ds_read_b128 v[48:51], v135
	ds_read_b128 v[52:55], v135 offset:16
	ds_read_b32 v143, v137
	ds_read2_b32 v[24:25], v141 offset1:1
	ds_read2_b32 v[30:31], v141 offset0:2 offset1:3
	ds_read2_b32 v[34:35], v141 offset0:4 offset1:5
	;; [unrolled: 1-line block ×3, first 2 shown]
	v_mov_b32_e32 v22, 0
	v_add_nc_u32_e32 v27, 0x1088, v141
	v_mov_b32_e32 v26, 0
	v_add_nc_u32_e32 v32, 0x2108, v141
	;; [unrolled: 2-line block ×3, first 2 shown]
	v_add_nc_u32_e32 v43, 0x2118, v141
	v_mov_b32_e32 v146, 0
	v_add_nc_u32_e32 v137, 4, v137
	s_add_i32 s0, s0, 8
	s_cmp_lt_u32 s0, 24
	s_waitcnt lgkmcnt(4)
	v_mul_f32_e32 v23, v153, v143
	s_waitcnt lgkmcnt(3)
	v_dot4c_i32_i8 v22, v24, v48
	v_dot4c_i32_i8 v22, v25, v49
	s_waitcnt lgkmcnt(2)
	v_dot4c_i32_i8 v22, v30, v50
	v_dot4c_i32_i8 v22, v31, v51
	;; [unrolled: 3-line block ×4, first 2 shown]
	v_cvt_f32_i32_e32 v22, v22
	v_fmac_f32_e32 v57, v23, v22
	v_add_nc_u32_e32 v22, 0x1080, v141
	ds_read_b32 v142, v138
	ds_read2_b32 v[22:23], v22 offset1:1
	ds_read2_b32 v[28:29], v27 offset1:1
	v_add_nc_u32_e32 v27, 0x1090, v141
	v_add_nc_u32_e32 v138, 4, v138
	ds_read2_b32 v[36:37], v27 offset1:1
	v_add_nc_u32_e32 v27, 0x1098, v141
	ds_read2_b32 v[44:45], v27 offset1:1
	s_waitcnt lgkmcnt(4)
	v_mul_f32_e32 v27, v153, v142
	s_waitcnt lgkmcnt(3)
	v_dot4c_i32_i8 v26, v22, v48
	v_dot4c_i32_i8 v26, v23, v49
	s_waitcnt lgkmcnt(2)
	v_dot4c_i32_i8 v26, v28, v50
	v_dot4c_i32_i8 v26, v29, v51
	;; [unrolled: 3-line block ×4, first 2 shown]
	v_cvt_f32_i32_e32 v26, v26
	v_fmac_f32_e32 v126, v27, v26
	v_add_nc_u32_e32 v26, 0x2100, v141
	ds_read_b32 v144, v139
	ds_read2_b32 v[26:27], v26 offset1:1
	ds_read2_b32 v[32:33], v32 offset1:1
	ds_read2_b32 v[40:41], v40 offset1:1
	ds_read2_b32 v[46:47], v43 offset1:1
	v_add_nc_u32_e32 v139, 4, v139
	s_waitcnt lgkmcnt(4)
	v_mul_f32_e32 v43, v153, v144
	s_waitcnt lgkmcnt(3)
	v_dot4c_i32_i8 v42, v26, v48
	v_dot4c_i32_i8 v42, v27, v49
	s_waitcnt lgkmcnt(2)
	v_dot4c_i32_i8 v42, v32, v50
	v_dot4c_i32_i8 v42, v33, v51
	;; [unrolled: 3-line block ×4, first 2 shown]
	v_cvt_f32_i32_e32 v42, v42
	v_fmac_f32_e32 v131, v43, v42
	v_add_nc_u32_e32 v42, 0x3180, v141
	ds_read_b32 v145, v140
	ds_read2_b32 v[42:43], v42 offset1:1
	v_add_nc_u32_e32 v140, 4, v140
	s_waitcnt lgkmcnt(0)
	v_dot4c_i32_i8 v146, v42, v48
	v_add_nc_u32_e32 v48, 0x3188, v141
	v_dot4c_i32_i8 v146, v43, v49
	ds_read2_b32 v[48:49], v48 offset1:1
	s_waitcnt lgkmcnt(0)
	v_dot4c_i32_i8 v146, v48, v50
	v_add_nc_u32_e32 v50, 0x3190, v141
	v_dot4c_i32_i8 v146, v49, v51
	ds_read2_b32 v[50:51], v50 offset1:1
	s_waitcnt lgkmcnt(0)
	v_dot4c_i32_i8 v146, v50, v52
	v_add_nc_u32_e32 v52, 0x3198, v141
	v_add_nc_u32_e32 v141, 32, v141
	v_dot4c_i32_i8 v146, v51, v53
	ds_read2_b32 v[52:53], v52 offset1:1
	s_waitcnt lgkmcnt(0)
	v_dot4c_i32_i8 v146, v52, v54
	v_mul_f32_e32 v54, v153, v145
	v_dot4c_i32_i8 v146, v53, v55
	v_cvt_f32_i32_e32 v55, v146
	ds_read_b128 v[146:149], v135 offset:1024
	ds_read_b128 v[150:153], v135 offset:1040
	v_fmac_f32_e32 v134, v54, v55
	v_mov_b32_e32 v54, 0
	v_mul_f32_e32 v55, v143, v154
	s_waitcnt lgkmcnt(1)
	v_dot4c_i32_i8 v54, v24, v146
	v_dot4c_i32_i8 v54, v25, v147
	v_dot4c_i32_i8 v54, v30, v148
	v_dot4c_i32_i8 v54, v31, v149
	s_waitcnt lgkmcnt(0)
	v_dot4c_i32_i8 v54, v34, v150
	v_dot4c_i32_i8 v54, v35, v151
	;; [unrolled: 1-line block ×4, first 2 shown]
	v_cvt_f32_i32_e32 v54, v54
	v_fmac_f32_e32 v112, v55, v54
	v_mov_b32_e32 v54, 0
	v_mul_f32_e32 v55, v142, v154
	v_dot4c_i32_i8 v54, v22, v146
	v_dot4c_i32_i8 v54, v23, v147
	;; [unrolled: 1-line block ×8, first 2 shown]
	v_cvt_f32_i32_e32 v54, v54
	v_fmac_f32_e32 v123, v55, v54
	v_mov_b32_e32 v54, 0
	v_mul_f32_e32 v55, v144, v154
	v_dot4c_i32_i8 v54, v26, v146
	v_dot4c_i32_i8 v54, v27, v147
	;; [unrolled: 1-line block ×8, first 2 shown]
	v_cvt_f32_i32_e32 v54, v54
	v_fmac_f32_e32 v129, v55, v54
	v_mov_b32_e32 v54, 0
	v_mul_f32_e32 v55, v145, v154
	v_mov_b32_e32 v154, 0
	v_dot4c_i32_i8 v54, v42, v146
	v_dot4c_i32_i8 v54, v43, v147
	;; [unrolled: 1-line block ×8, first 2 shown]
	v_cvt_f32_i32_e32 v54, v54
	v_fmac_f32_e32 v133, v55, v54
	ds_read2_b32 v[54:55], v136 offset0:64 offset1:96
	ds_read_b128 v[146:149], v135 offset:2048
	ds_read_b128 v[150:153], v135 offset:2064
	s_waitcnt lgkmcnt(2)
	v_mul_f32_e32 v155, v143, v54
	s_waitcnt lgkmcnt(1)
	v_dot4c_i32_i8 v154, v24, v146
	v_dot4c_i32_i8 v154, v25, v147
	v_dot4c_i32_i8 v154, v30, v148
	v_dot4c_i32_i8 v154, v31, v149
	s_waitcnt lgkmcnt(0)
	v_dot4c_i32_i8 v154, v34, v150
	v_dot4c_i32_i8 v154, v35, v151
	;; [unrolled: 1-line block ×4, first 2 shown]
	v_cvt_f32_i32_e32 v154, v154
	v_fmac_f32_e32 v106, v155, v154
	v_mov_b32_e32 v154, 0
	v_mul_f32_e32 v155, v142, v54
	v_dot4c_i32_i8 v154, v22, v146
	v_dot4c_i32_i8 v154, v23, v147
	;; [unrolled: 1-line block ×8, first 2 shown]
	v_cvt_f32_i32_e32 v154, v154
	v_fmac_f32_e32 v120, v155, v154
	v_mov_b32_e32 v154, 0
	v_mul_f32_e32 v155, v144, v54
	v_mul_f32_e32 v54, v145, v54
	v_dot4c_i32_i8 v154, v26, v146
	v_dot4c_i32_i8 v154, v27, v147
	;; [unrolled: 1-line block ×8, first 2 shown]
	v_cvt_f32_i32_e32 v154, v154
	v_fmac_f32_e32 v127, v155, v154
	v_mov_b32_e32 v154, 0
	v_dot4c_i32_i8 v154, v42, v146
	v_dot4c_i32_i8 v154, v43, v147
	;; [unrolled: 1-line block ×8, first 2 shown]
	v_cvt_f32_i32_e32 v146, v154
	v_mul_f32_e32 v154, v143, v55
	v_fmac_f32_e32 v132, v54, v146
	ds_read_b128 v[146:149], v135 offset:3072
	ds_read_b128 v[150:153], v135 offset:3088
	v_mov_b32_e32 v54, 0
	s_waitcnt lgkmcnt(1)
	v_dot4c_i32_i8 v54, v24, v146
	v_dot4c_i32_i8 v54, v25, v147
	;; [unrolled: 1-line block ×4, first 2 shown]
	s_waitcnt lgkmcnt(0)
	v_dot4c_i32_i8 v54, v34, v150
	v_dot4c_i32_i8 v54, v35, v151
	;; [unrolled: 1-line block ×4, first 2 shown]
	v_cvt_f32_i32_e32 v54, v54
	v_fmac_f32_e32 v100, v154, v54
	v_mov_b32_e32 v54, 0
	v_mul_f32_e32 v154, v142, v55
	v_dot4c_i32_i8 v54, v22, v146
	v_dot4c_i32_i8 v54, v23, v147
	;; [unrolled: 1-line block ×8, first 2 shown]
	v_cvt_f32_i32_e32 v54, v54
	v_fmac_f32_e32 v114, v154, v54
	v_mov_b32_e32 v54, 0
	v_mul_f32_e32 v154, v144, v55
	v_mul_f32_e32 v55, v145, v55
	v_dot4c_i32_i8 v54, v26, v146
	v_dot4c_i32_i8 v54, v27, v147
	;; [unrolled: 1-line block ×8, first 2 shown]
	v_cvt_f32_i32_e32 v54, v54
	v_fmac_f32_e32 v124, v154, v54
	v_mov_b32_e32 v54, 0
	v_mov_b32_e32 v154, 0
	v_dot4c_i32_i8 v54, v42, v146
	v_dot4c_i32_i8 v54, v43, v147
	;; [unrolled: 1-line block ×8, first 2 shown]
	v_cvt_f32_i32_e32 v54, v54
	v_fmac_f32_e32 v130, v55, v54
	ds_read2_b32 v[54:55], v136 offset0:128 offset1:160
	ds_read_b128 v[146:149], v135 offset:4096
	ds_read_b128 v[150:153], v135 offset:4112
	s_waitcnt lgkmcnt(2)
	v_mul_f32_e32 v155, v143, v54
	s_waitcnt lgkmcnt(1)
	v_dot4c_i32_i8 v154, v24, v146
	v_dot4c_i32_i8 v154, v25, v147
	;; [unrolled: 1-line block ×4, first 2 shown]
	s_waitcnt lgkmcnt(0)
	v_dot4c_i32_i8 v154, v34, v150
	v_dot4c_i32_i8 v154, v35, v151
	;; [unrolled: 1-line block ×4, first 2 shown]
	v_cvt_f32_i32_e32 v154, v154
	v_fmac_f32_e32 v96, v155, v154
	v_mov_b32_e32 v154, 0
	v_mul_f32_e32 v155, v142, v54
	v_dot4c_i32_i8 v154, v22, v146
	v_dot4c_i32_i8 v154, v23, v147
	;; [unrolled: 1-line block ×8, first 2 shown]
	v_cvt_f32_i32_e32 v154, v154
	v_fmac_f32_e32 v108, v155, v154
	v_mov_b32_e32 v154, 0
	v_mul_f32_e32 v155, v144, v54
	v_mul_f32_e32 v54, v145, v54
	v_dot4c_i32_i8 v154, v26, v146
	v_dot4c_i32_i8 v154, v27, v147
	;; [unrolled: 1-line block ×8, first 2 shown]
	v_cvt_f32_i32_e32 v154, v154
	v_fmac_f32_e32 v121, v155, v154
	v_mov_b32_e32 v154, 0
	v_dot4c_i32_i8 v154, v42, v146
	v_dot4c_i32_i8 v154, v43, v147
	;; [unrolled: 1-line block ×8, first 2 shown]
	v_cvt_f32_i32_e32 v146, v154
	v_mul_f32_e32 v154, v143, v55
	v_fmac_f32_e32 v128, v54, v146
	ds_read_b128 v[146:149], v135 offset:5120
	ds_read_b128 v[150:153], v135 offset:5136
	v_mov_b32_e32 v54, 0
	s_waitcnt lgkmcnt(1)
	v_dot4c_i32_i8 v54, v24, v146
	v_dot4c_i32_i8 v54, v25, v147
	;; [unrolled: 1-line block ×4, first 2 shown]
	s_waitcnt lgkmcnt(0)
	v_dot4c_i32_i8 v54, v34, v150
	v_dot4c_i32_i8 v54, v35, v151
	;; [unrolled: 1-line block ×4, first 2 shown]
	v_cvt_f32_i32_e32 v54, v54
	v_fmac_f32_e32 v91, v154, v54
	v_mov_b32_e32 v54, 0
	v_mul_f32_e32 v154, v142, v55
	v_dot4c_i32_i8 v54, v22, v146
	v_dot4c_i32_i8 v54, v23, v147
	v_dot4c_i32_i8 v54, v28, v148
	v_dot4c_i32_i8 v54, v29, v149
	v_dot4c_i32_i8 v54, v36, v150
	v_dot4c_i32_i8 v54, v37, v151
	v_dot4c_i32_i8 v54, v44, v152
	v_dot4c_i32_i8 v54, v45, v153
	v_cvt_f32_i32_e32 v54, v54
	v_fmac_f32_e32 v102, v154, v54
	v_mov_b32_e32 v54, 0
	v_mul_f32_e32 v154, v144, v55
	v_mul_f32_e32 v55, v145, v55
	v_dot4c_i32_i8 v54, v26, v146
	v_dot4c_i32_i8 v54, v27, v147
	;; [unrolled: 1-line block ×8, first 2 shown]
	v_cvt_f32_i32_e32 v54, v54
	v_fmac_f32_e32 v116, v154, v54
	v_mov_b32_e32 v54, 0
	v_mov_b32_e32 v154, 0
	v_dot4c_i32_i8 v54, v42, v146
	v_dot4c_i32_i8 v54, v43, v147
	;; [unrolled: 1-line block ×8, first 2 shown]
	v_cvt_f32_i32_e32 v54, v54
	v_fmac_f32_e32 v125, v55, v54
	ds_read2_b32 v[54:55], v136 offset0:192 offset1:224
	ds_read_b128 v[146:149], v135 offset:6144
	ds_read_b128 v[150:153], v135 offset:6160
	v_add_nc_u32_e32 v136, 4, v136
	s_waitcnt lgkmcnt(2)
	v_mul_f32_e32 v155, v143, v54
	s_waitcnt lgkmcnt(1)
	v_dot4c_i32_i8 v154, v24, v146
	v_dot4c_i32_i8 v154, v25, v147
	;; [unrolled: 1-line block ×4, first 2 shown]
	s_waitcnt lgkmcnt(0)
	v_dot4c_i32_i8 v154, v34, v150
	v_dot4c_i32_i8 v154, v35, v151
	;; [unrolled: 1-line block ×4, first 2 shown]
	v_cvt_f32_i32_e32 v154, v154
	v_fmac_f32_e32 v89, v155, v154
	v_mov_b32_e32 v154, 0
	v_mul_f32_e32 v155, v142, v54
	v_dot4c_i32_i8 v154, v22, v146
	v_dot4c_i32_i8 v154, v23, v147
	;; [unrolled: 1-line block ×8, first 2 shown]
	v_cvt_f32_i32_e32 v154, v154
	v_fmac_f32_e32 v98, v155, v154
	v_mov_b32_e32 v154, 0
	v_mul_f32_e32 v155, v144, v54
	v_mul_f32_e32 v54, v145, v54
	v_dot4c_i32_i8 v154, v26, v146
	v_dot4c_i32_i8 v154, v27, v147
	;; [unrolled: 1-line block ×8, first 2 shown]
	v_cvt_f32_i32_e32 v154, v154
	v_fmac_f32_e32 v110, v155, v154
	v_mov_b32_e32 v154, 0
	v_dot4c_i32_i8 v154, v42, v146
	v_dot4c_i32_i8 v154, v43, v147
	v_dot4c_i32_i8 v154, v48, v148
	v_dot4c_i32_i8 v154, v49, v149
	v_dot4c_i32_i8 v154, v50, v150
	v_dot4c_i32_i8 v154, v51, v151
	v_dot4c_i32_i8 v154, v52, v152
	v_dot4c_i32_i8 v154, v53, v153
	v_cvt_f32_i32_e32 v146, v154
	v_fmac_f32_e32 v122, v54, v146
	ds_read_b128 v[146:149], v135 offset:7168
	ds_read_b128 v[150:153], v135 offset:7184
	v_mov_b32_e32 v54, 0
	v_add_nc_u32_e32 v135, 32, v135
	s_waitcnt lgkmcnt(1)
	v_dot4c_i32_i8 v54, v24, v146
	v_mul_f32_e32 v24, v143, v55
	v_dot4c_i32_i8 v54, v25, v147
	v_dot4c_i32_i8 v54, v30, v148
	;; [unrolled: 1-line block ×3, first 2 shown]
	s_waitcnt lgkmcnt(0)
	v_dot4c_i32_i8 v54, v34, v150
	v_dot4c_i32_i8 v54, v35, v151
	;; [unrolled: 1-line block ×4, first 2 shown]
	v_cvt_f32_i32_e32 v25, v54
	v_fmac_f32_e32 v88, v24, v25
	v_mov_b32_e32 v24, 0
	v_dot4c_i32_i8 v24, v22, v146
	v_mul_f32_e32 v22, v142, v55
	v_dot4c_i32_i8 v24, v23, v147
	v_dot4c_i32_i8 v24, v28, v148
	;; [unrolled: 1-line block ×7, first 2 shown]
	v_cvt_f32_i32_e32 v23, v24
	v_fmac_f32_e32 v93, v22, v23
	v_mov_b32_e32 v22, 0
	v_mul_f32_e32 v23, v144, v55
	v_dot4c_i32_i8 v22, v26, v146
	v_dot4c_i32_i8 v22, v27, v147
	;; [unrolled: 1-line block ×8, first 2 shown]
	v_cvt_f32_i32_e32 v22, v22
	v_fmac_f32_e32 v104, v23, v22
	v_mov_b32_e32 v22, 0
	v_mul_f32_e32 v23, v145, v55
	v_dot4c_i32_i8 v22, v42, v146
	v_dot4c_i32_i8 v22, v43, v147
	;; [unrolled: 1-line block ×8, first 2 shown]
	v_cvt_f32_i32_e32 v22, v22
	v_fmac_f32_e32 v118, v23, v22
	s_cbranch_scc1 .LBB146_6
; %bb.7:                                ;   in Loop: Header=BB146_5 Depth=1
	s_add_i32 s9, s9, 4
	s_cmp_ge_i32 s9, s4
	s_barrier
	buffer_gl0_inv
	s_cbranch_scc0 .LBB146_5
; %bb.8:
	v_cvt_f16_f32_e32 v12, v57
	v_cvt_f16_f32_e32 v13, v126
	;; [unrolled: 1-line block ×32, first 2 shown]
	v_mov_b32_e32 v34, v56
.LBB146_9:
	s_mov_b32 s0, exec_lo
	v_cmpx_gt_u32_e64 s10, v34
	s_cbranch_execz .LBB146_60
; %bb.10:
	v_add_nc_u32_e32 v0, s6, v0
	v_mul_lo_u32 v34, v34, s14
	v_cmp_gt_u32_e32 vcc_lo, s14, v0
	s_and_saveexec_b32 s1, vcc_lo
	s_cbranch_execz .LBB146_12
; %bb.11:
	v_add_nc_u32_e32 v35, v0, v34
	v_mov_b32_e32 v36, 0
	v_lshlrev_b64 v[35:36], 1, v[35:36]
	s_waitcnt lgkmcnt(0)
	v_add_co_u32 v35, s0, s12, v35
	v_add_co_ci_u32_e64 v36, null, s13, v36, s0
	global_store_short v[35:36], v12, off
.LBB146_12:
	s_or_b32 exec_lo, exec_lo, s1
	v_add_nc_u32_e32 v12, 32, v0
	v_cmp_gt_u32_e64 s0, s14, v12
	s_and_saveexec_b32 s2, s0
	s_cbranch_execz .LBB146_14
; %bb.13:
	v_add_nc_u32_e32 v35, v12, v34
	v_mov_b32_e32 v36, 0
	v_lshlrev_b64 v[35:36], 1, v[35:36]
	s_waitcnt lgkmcnt(0)
	v_add_co_u32 v35, s1, s12, v35
	v_add_co_ci_u32_e64 v36, null, s13, v36, s1
	global_store_short v[35:36], v13, off
.LBB146_14:
	s_or_b32 exec_lo, exec_lo, s2
	v_add_nc_u32_e32 v13, 64, v0
	v_cmp_gt_u32_e64 s1, s14, v13
	s_and_saveexec_b32 s3, s1
	;; [unrolled: 14-line block ×3, first 2 shown]
	s_cbranch_execz .LBB146_18
; %bb.17:
	v_add_nc_u32_e32 v34, v14, v34
	v_mov_b32_e32 v35, 0
	v_lshlrev_b64 v[34:35], 1, v[34:35]
	s_waitcnt lgkmcnt(0)
	v_add_co_u32 v34, s3, s12, v34
	v_add_co_ci_u32_e64 v35, null, s13, v35, s3
	global_store_short v[34:35], v33, off
.LBB146_18:
	s_or_b32 exec_lo, exec_lo, s4
	v_add3_u32 v33, v1, s7, 8
	v_cmp_gt_u32_e64 s3, s10, v33
	s_and_b32 exec_lo, exec_lo, s3
	s_cbranch_execz .LBB146_60
; %bb.19:
	v_mul_lo_u32 v33, v33, s14
	s_and_saveexec_b32 s4, vcc_lo
	s_cbranch_execnz .LBB146_61
; %bb.20:
	s_or_b32 exec_lo, exec_lo, s4
	s_and_saveexec_b32 s4, s0
	s_cbranch_execnz .LBB146_62
.LBB146_21:
	s_or_b32 exec_lo, exec_lo, s4
	s_and_saveexec_b32 s4, s1
	s_cbranch_execnz .LBB146_63
.LBB146_22:
	s_or_b32 exec_lo, exec_lo, s4
	s_and_saveexec_b32 s4, s2
	s_cbranch_execz .LBB146_24
.LBB146_23:
	v_add_nc_u32_e32 v30, v33, v14
	v_mov_b32_e32 v31, 0
	v_lshlrev_b64 v[30:31], 1, v[30:31]
	s_waitcnt lgkmcnt(0)
	v_add_co_u32 v30, s3, s12, v30
	v_add_co_ci_u32_e64 v31, null, s13, v31, s3
	global_store_short v[30:31], v29, off
.LBB146_24:
	s_or_b32 exec_lo, exec_lo, s4
	v_add3_u32 v29, v1, s7, 16
	v_cmp_gt_u32_e64 s3, s10, v29
	s_and_b32 exec_lo, exec_lo, s3
	s_cbranch_execz .LBB146_60
; %bb.25:
	v_mul_lo_u32 v29, v29, s14
	s_and_saveexec_b32 s4, vcc_lo
	s_cbranch_execnz .LBB146_64
; %bb.26:
	s_or_b32 exec_lo, exec_lo, s4
	s_and_saveexec_b32 s4, s0
	s_cbranch_execnz .LBB146_65
.LBB146_27:
	s_or_b32 exec_lo, exec_lo, s4
	s_and_saveexec_b32 s4, s1
	s_cbranch_execnz .LBB146_66
.LBB146_28:
	s_or_b32 exec_lo, exec_lo, s4
	s_and_saveexec_b32 s4, s2
	s_cbranch_execz .LBB146_30
.LBB146_29:
	v_add_nc_u32_e32 v26, v29, v14
	v_mov_b32_e32 v27, 0
	v_lshlrev_b64 v[26:27], 1, v[26:27]
	s_waitcnt lgkmcnt(0)
	v_add_co_u32 v26, s3, s12, v26
	v_add_co_ci_u32_e64 v27, null, s13, v27, s3
	global_store_short v[26:27], v25, off
.LBB146_30:
	s_or_b32 exec_lo, exec_lo, s4
	v_add3_u32 v25, v1, s7, 24
	v_cmp_gt_u32_e64 s3, s10, v25
	s_and_b32 exec_lo, exec_lo, s3
	s_cbranch_execz .LBB146_60
; %bb.31:
	v_mul_lo_u32 v25, v25, s14
	s_and_saveexec_b32 s4, vcc_lo
	s_cbranch_execnz .LBB146_67
; %bb.32:
	s_or_b32 exec_lo, exec_lo, s4
	s_and_saveexec_b32 s4, s0
	s_cbranch_execnz .LBB146_68
.LBB146_33:
	s_or_b32 exec_lo, exec_lo, s4
	s_and_saveexec_b32 s4, s1
	s_cbranch_execnz .LBB146_69
.LBB146_34:
	s_or_b32 exec_lo, exec_lo, s4
	s_and_saveexec_b32 s4, s2
	s_cbranch_execz .LBB146_36
.LBB146_35:
	v_add_nc_u32_e32 v22, v25, v14
	v_mov_b32_e32 v23, 0
	v_lshlrev_b64 v[22:23], 1, v[22:23]
	s_waitcnt lgkmcnt(0)
	v_add_co_u32 v22, s3, s12, v22
	v_add_co_ci_u32_e64 v23, null, s13, v23, s3
	global_store_short v[22:23], v21, off
.LBB146_36:
	s_or_b32 exec_lo, exec_lo, s4
	v_add3_u32 v21, v1, s7, 32
	v_cmp_gt_u32_e64 s3, s10, v21
	s_and_b32 exec_lo, exec_lo, s3
	s_cbranch_execz .LBB146_60
; %bb.37:
	v_mul_lo_u32 v21, v21, s14
	s_and_saveexec_b32 s4, vcc_lo
	s_cbranch_execnz .LBB146_70
; %bb.38:
	s_or_b32 exec_lo, exec_lo, s4
	s_and_saveexec_b32 s4, s0
	s_cbranch_execnz .LBB146_71
.LBB146_39:
	s_or_b32 exec_lo, exec_lo, s4
	s_and_saveexec_b32 s4, s1
	s_cbranch_execnz .LBB146_72
.LBB146_40:
	s_or_b32 exec_lo, exec_lo, s4
	s_and_saveexec_b32 s4, s2
	s_cbranch_execz .LBB146_42
.LBB146_41:
	v_add_nc_u32_e32 v18, v21, v14
	v_mov_b32_e32 v19, 0
	v_lshlrev_b64 v[18:19], 1, v[18:19]
	s_waitcnt lgkmcnt(0)
	v_add_co_u32 v18, s3, s12, v18
	v_add_co_ci_u32_e64 v19, null, s13, v19, s3
	global_store_short v[18:19], v17, off
.LBB146_42:
	s_or_b32 exec_lo, exec_lo, s4
	v_add3_u32 v17, v1, s7, 40
	v_cmp_gt_u32_e64 s3, s10, v17
	s_and_b32 exec_lo, exec_lo, s3
	s_cbranch_execz .LBB146_60
; %bb.43:
	v_mul_lo_u32 v17, v17, s14
	s_and_saveexec_b32 s4, vcc_lo
	s_cbranch_execnz .LBB146_73
; %bb.44:
	s_or_b32 exec_lo, exec_lo, s4
	s_and_saveexec_b32 s4, s0
	s_cbranch_execnz .LBB146_74
.LBB146_45:
	s_or_b32 exec_lo, exec_lo, s4
	s_and_saveexec_b32 s4, s1
	s_cbranch_execnz .LBB146_75
.LBB146_46:
	s_or_b32 exec_lo, exec_lo, s4
	s_and_saveexec_b32 s4, s2
	s_cbranch_execz .LBB146_48
.LBB146_47:
	v_add_nc_u32_e32 v15, v17, v14
	v_mov_b32_e32 v16, 0
	v_lshlrev_b64 v[15:16], 1, v[15:16]
	s_waitcnt lgkmcnt(0)
	v_add_co_u32 v15, s3, s12, v15
	v_add_co_ci_u32_e64 v16, null, s13, v16, s3
	global_store_short v[15:16], v10, off
.LBB146_48:
	s_or_b32 exec_lo, exec_lo, s4
	v_add3_u32 v10, v1, s7, 48
	v_cmp_gt_u32_e64 s3, s10, v10
	s_and_b32 exec_lo, exec_lo, s3
	s_cbranch_execz .LBB146_60
; %bb.49:
	v_mul_lo_u32 v10, v10, s14
	s_and_saveexec_b32 s4, vcc_lo
	s_cbranch_execnz .LBB146_76
; %bb.50:
	s_or_b32 exec_lo, exec_lo, s4
	s_and_saveexec_b32 s4, s0
	s_cbranch_execnz .LBB146_77
.LBB146_51:
	s_or_b32 exec_lo, exec_lo, s4
	s_and_saveexec_b32 s4, s1
	s_cbranch_execnz .LBB146_78
.LBB146_52:
	s_or_b32 exec_lo, exec_lo, s4
	s_and_saveexec_b32 s4, s2
	s_cbranch_execz .LBB146_54
.LBB146_53:
	v_add_nc_u32_e32 v7, v10, v14
	v_mov_b32_e32 v8, 0
	v_lshlrev_b64 v[7:8], 1, v[7:8]
	s_waitcnt lgkmcnt(0)
	v_add_co_u32 v7, s3, s12, v7
	v_add_co_ci_u32_e64 v8, null, s13, v8, s3
	global_store_short v[7:8], v6, off
.LBB146_54:
	s_or_b32 exec_lo, exec_lo, s4
	v_add3_u32 v1, v1, s7, 56
	v_cmp_gt_u32_e64 s3, s10, v1
	s_and_b32 exec_lo, exec_lo, s3
	s_cbranch_execz .LBB146_60
; %bb.55:
	v_mul_lo_u32 v1, v1, s14
	s_and_saveexec_b32 s3, vcc_lo
	s_cbranch_execnz .LBB146_79
; %bb.56:
	s_or_b32 exec_lo, exec_lo, s3
	s_and_saveexec_b32 s3, s0
	s_cbranch_execnz .LBB146_80
.LBB146_57:
	s_or_b32 exec_lo, exec_lo, s3
	s_and_saveexec_b32 s0, s1
	s_cbranch_execnz .LBB146_81
.LBB146_58:
	s_or_b32 exec_lo, exec_lo, s0
	s_and_b32 exec_lo, exec_lo, s2
	s_cbranch_execz .LBB146_60
.LBB146_59:
	v_add_nc_u32_e32 v0, v1, v14
	v_mov_b32_e32 v1, 0
	v_lshlrev_b64 v[0:1], 1, v[0:1]
	s_waitcnt lgkmcnt(0)
	v_add_co_u32 v0, vcc_lo, s12, v0
	v_add_co_ci_u32_e64 v1, null, s13, v1, vcc_lo
	global_store_short v[0:1], v2, off
.LBB146_60:
	s_endpgm
.LBB146_61:
	v_add_nc_u32_e32 v34, v33, v0
	v_mov_b32_e32 v35, 0
	v_lshlrev_b64 v[34:35], 1, v[34:35]
	s_waitcnt lgkmcnt(0)
	v_add_co_u32 v34, s3, s12, v34
	v_add_co_ci_u32_e64 v35, null, s13, v35, s3
	global_store_short v[34:35], v32, off
	s_or_b32 exec_lo, exec_lo, s4
	s_and_saveexec_b32 s4, s0
	s_cbranch_execz .LBB146_21
.LBB146_62:
	v_add_nc_u32_e32 v34, v33, v12
	v_mov_b32_e32 v35, 0
	v_lshlrev_b64 v[34:35], 1, v[34:35]
	s_waitcnt lgkmcnt(0)
	v_add_co_u32 v34, s3, s12, v34
	v_add_co_ci_u32_e64 v35, null, s13, v35, s3
	global_store_short v[34:35], v31, off
	s_or_b32 exec_lo, exec_lo, s4
	s_and_saveexec_b32 s4, s1
	s_cbranch_execz .LBB146_22
.LBB146_63:
	v_add_nc_u32_e32 v31, v33, v13
	v_mov_b32_e32 v32, 0
	v_lshlrev_b64 v[31:32], 1, v[31:32]
	s_waitcnt lgkmcnt(0)
	v_add_co_u32 v31, s3, s12, v31
	v_add_co_ci_u32_e64 v32, null, s13, v32, s3
	global_store_short v[31:32], v30, off
	s_or_b32 exec_lo, exec_lo, s4
	s_and_saveexec_b32 s4, s2
	s_cbranch_execnz .LBB146_23
	s_branch .LBB146_24
.LBB146_64:
	v_add_nc_u32_e32 v30, v29, v0
	v_mov_b32_e32 v31, 0
	v_lshlrev_b64 v[30:31], 1, v[30:31]
	s_waitcnt lgkmcnt(0)
	v_add_co_u32 v30, s3, s12, v30
	v_add_co_ci_u32_e64 v31, null, s13, v31, s3
	global_store_short v[30:31], v28, off
	s_or_b32 exec_lo, exec_lo, s4
	s_and_saveexec_b32 s4, s0
	s_cbranch_execz .LBB146_27
.LBB146_65:
	v_add_nc_u32_e32 v30, v29, v12
	v_mov_b32_e32 v31, 0
	v_lshlrev_b64 v[30:31], 1, v[30:31]
	s_waitcnt lgkmcnt(0)
	v_add_co_u32 v30, s3, s12, v30
	v_add_co_ci_u32_e64 v31, null, s13, v31, s3
	global_store_short v[30:31], v27, off
	s_or_b32 exec_lo, exec_lo, s4
	s_and_saveexec_b32 s4, s1
	s_cbranch_execz .LBB146_28
.LBB146_66:
	v_add_nc_u32_e32 v27, v29, v13
	v_mov_b32_e32 v28, 0
	v_lshlrev_b64 v[27:28], 1, v[27:28]
	s_waitcnt lgkmcnt(0)
	v_add_co_u32 v27, s3, s12, v27
	v_add_co_ci_u32_e64 v28, null, s13, v28, s3
	global_store_short v[27:28], v26, off
	s_or_b32 exec_lo, exec_lo, s4
	s_and_saveexec_b32 s4, s2
	s_cbranch_execnz .LBB146_29
	s_branch .LBB146_30
.LBB146_67:
	v_add_nc_u32_e32 v26, v25, v0
	v_mov_b32_e32 v27, 0
	v_lshlrev_b64 v[26:27], 1, v[26:27]
	s_waitcnt lgkmcnt(0)
	v_add_co_u32 v26, s3, s12, v26
	v_add_co_ci_u32_e64 v27, null, s13, v27, s3
	global_store_short v[26:27], v24, off
	s_or_b32 exec_lo, exec_lo, s4
	s_and_saveexec_b32 s4, s0
	s_cbranch_execz .LBB146_33
.LBB146_68:
	v_add_nc_u32_e32 v26, v25, v12
	v_mov_b32_e32 v27, 0
	v_lshlrev_b64 v[26:27], 1, v[26:27]
	s_waitcnt lgkmcnt(0)
	v_add_co_u32 v26, s3, s12, v26
	v_add_co_ci_u32_e64 v27, null, s13, v27, s3
	global_store_short v[26:27], v23, off
	s_or_b32 exec_lo, exec_lo, s4
	s_and_saveexec_b32 s4, s1
	s_cbranch_execz .LBB146_34
.LBB146_69:
	v_add_nc_u32_e32 v23, v25, v13
	v_mov_b32_e32 v24, 0
	v_lshlrev_b64 v[23:24], 1, v[23:24]
	s_waitcnt lgkmcnt(0)
	v_add_co_u32 v23, s3, s12, v23
	v_add_co_ci_u32_e64 v24, null, s13, v24, s3
	global_store_short v[23:24], v22, off
	s_or_b32 exec_lo, exec_lo, s4
	s_and_saveexec_b32 s4, s2
	s_cbranch_execnz .LBB146_35
	s_branch .LBB146_36
.LBB146_70:
	v_add_nc_u32_e32 v22, v21, v0
	v_mov_b32_e32 v23, 0
	v_lshlrev_b64 v[22:23], 1, v[22:23]
	s_waitcnt lgkmcnt(0)
	v_add_co_u32 v22, s3, s12, v22
	v_add_co_ci_u32_e64 v23, null, s13, v23, s3
	global_store_short v[22:23], v20, off
	s_or_b32 exec_lo, exec_lo, s4
	s_and_saveexec_b32 s4, s0
	s_cbranch_execz .LBB146_39
.LBB146_71:
	v_add_nc_u32_e32 v22, v21, v12
	v_mov_b32_e32 v23, 0
	v_lshlrev_b64 v[22:23], 1, v[22:23]
	s_waitcnt lgkmcnt(0)
	v_add_co_u32 v22, s3, s12, v22
	v_add_co_ci_u32_e64 v23, null, s13, v23, s3
	global_store_short v[22:23], v19, off
	s_or_b32 exec_lo, exec_lo, s4
	s_and_saveexec_b32 s4, s1
	s_cbranch_execz .LBB146_40
.LBB146_72:
	v_add_nc_u32_e32 v19, v21, v13
	v_mov_b32_e32 v20, 0
	v_lshlrev_b64 v[19:20], 1, v[19:20]
	s_waitcnt lgkmcnt(0)
	v_add_co_u32 v19, s3, s12, v19
	v_add_co_ci_u32_e64 v20, null, s13, v20, s3
	global_store_short v[19:20], v18, off
	s_or_b32 exec_lo, exec_lo, s4
	s_and_saveexec_b32 s4, s2
	s_cbranch_execnz .LBB146_41
	s_branch .LBB146_42
.LBB146_73:
	v_add_nc_u32_e32 v18, v17, v0
	v_mov_b32_e32 v19, 0
	v_lshlrev_b64 v[18:19], 1, v[18:19]
	s_waitcnt lgkmcnt(0)
	v_add_co_u32 v18, s3, s12, v18
	v_add_co_ci_u32_e64 v19, null, s13, v19, s3
	global_store_short v[18:19], v16, off
	s_or_b32 exec_lo, exec_lo, s4
	s_and_saveexec_b32 s4, s0
	s_cbranch_execz .LBB146_45
.LBB146_74:
	v_add_nc_u32_e32 v18, v17, v12
	v_mov_b32_e32 v19, 0
	v_lshlrev_b64 v[18:19], 1, v[18:19]
	s_waitcnt lgkmcnt(0)
	v_add_co_u32 v18, s3, s12, v18
	v_add_co_ci_u32_e64 v19, null, s13, v19, s3
	global_store_short v[18:19], v15, off
	s_or_b32 exec_lo, exec_lo, s4
	s_and_saveexec_b32 s4, s1
	s_cbranch_execz .LBB146_46
.LBB146_75:
	v_add_nc_u32_e32 v15, v17, v13
	v_mov_b32_e32 v16, 0
	v_lshlrev_b64 v[15:16], 1, v[15:16]
	s_waitcnt lgkmcnt(0)
	v_add_co_u32 v15, s3, s12, v15
	v_add_co_ci_u32_e64 v16, null, s13, v16, s3
	global_store_short v[15:16], v11, off
	s_or_b32 exec_lo, exec_lo, s4
	s_and_saveexec_b32 s4, s2
	s_cbranch_execnz .LBB146_47
	s_branch .LBB146_48
.LBB146_76:
	v_add_nc_u32_e32 v15, v10, v0
	v_mov_b32_e32 v16, 0
	v_lshlrev_b64 v[15:16], 1, v[15:16]
	s_waitcnt lgkmcnt(0)
	v_add_co_u32 v15, s3, s12, v15
	v_add_co_ci_u32_e64 v16, null, s13, v16, s3
	global_store_short v[15:16], v9, off
	s_or_b32 exec_lo, exec_lo, s4
	s_and_saveexec_b32 s4, s0
	s_cbranch_execz .LBB146_51
.LBB146_77:
	v_add_nc_u32_e32 v15, v10, v12
	v_mov_b32_e32 v16, 0
	v_lshlrev_b64 v[15:16], 1, v[15:16]
	s_waitcnt lgkmcnt(0)
	v_add_co_u32 v15, s3, s12, v15
	v_add_co_ci_u32_e64 v16, null, s13, v16, s3
	global_store_short v[15:16], v8, off
	s_or_b32 exec_lo, exec_lo, s4
	s_and_saveexec_b32 s4, s1
	s_cbranch_execz .LBB146_52
.LBB146_78:
	v_add_nc_u32_e32 v8, v10, v13
	v_mov_b32_e32 v9, 0
	v_lshlrev_b64 v[8:9], 1, v[8:9]
	s_waitcnt lgkmcnt(0)
	v_add_co_u32 v8, s3, s12, v8
	v_add_co_ci_u32_e64 v9, null, s13, v9, s3
	global_store_short v[8:9], v7, off
	s_or_b32 exec_lo, exec_lo, s4
	s_and_saveexec_b32 s4, s2
	s_cbranch_execnz .LBB146_53
	s_branch .LBB146_54
.LBB146_79:
	v_add_nc_u32_e32 v6, v1, v0
	v_mov_b32_e32 v7, 0
	v_lshlrev_b64 v[6:7], 1, v[6:7]
	s_waitcnt lgkmcnt(0)
	v_add_co_u32 v6, vcc_lo, s12, v6
	v_add_co_ci_u32_e64 v7, null, s13, v7, vcc_lo
	global_store_short v[6:7], v5, off
	s_or_b32 exec_lo, exec_lo, s3
	s_and_saveexec_b32 s3, s0
	s_cbranch_execz .LBB146_57
.LBB146_80:
	v_add_nc_u32_e32 v5, v1, v12
	v_mov_b32_e32 v6, 0
	v_lshlrev_b64 v[5:6], 1, v[5:6]
	s_waitcnt lgkmcnt(0)
	v_add_co_u32 v5, vcc_lo, s12, v5
	v_add_co_ci_u32_e64 v6, null, s13, v6, vcc_lo
	global_store_short v[5:6], v4, off
	s_or_b32 exec_lo, exec_lo, s3
	s_and_saveexec_b32 s0, s1
	s_cbranch_execz .LBB146_58
.LBB146_81:
	v_add_nc_u32_e32 v4, v1, v13
	v_mov_b32_e32 v5, 0
	v_lshlrev_b64 v[4:5], 1, v[4:5]
	s_waitcnt lgkmcnt(0)
	v_add_co_u32 v4, vcc_lo, s12, v4
	v_add_co_ci_u32_e64 v5, null, s13, v5, vcc_lo
	global_store_short v[4:5], v3, off
	s_or_b32 exec_lo, exec_lo, s0
	s_and_b32 exec_lo, exec_lo, s2
	s_cbranch_execnz .LBB146_59
	s_branch .LBB146_60
	.section	.rodata,"a",@progbits
	.p2align	6, 0x0
	.amdhsa_kernel _ZL12mul_mat_q8_0IN3c104HalfELb1EEvPKvS3_PT_iiiii
		.amdhsa_group_segment_fixed_size 28224
		.amdhsa_private_segment_fixed_size 0
		.amdhsa_kernarg_size 44
		.amdhsa_user_sgpr_count 6
		.amdhsa_user_sgpr_private_segment_buffer 1
		.amdhsa_user_sgpr_dispatch_ptr 0
		.amdhsa_user_sgpr_queue_ptr 0
		.amdhsa_user_sgpr_kernarg_segment_ptr 1
		.amdhsa_user_sgpr_dispatch_id 0
		.amdhsa_user_sgpr_flat_scratch_init 0
		.amdhsa_user_sgpr_private_segment_size 0
		.amdhsa_wavefront_size32 1
		.amdhsa_uses_dynamic_stack 0
		.amdhsa_system_sgpr_private_segment_wavefront_offset 0
		.amdhsa_system_sgpr_workgroup_id_x 1
		.amdhsa_system_sgpr_workgroup_id_y 1
		.amdhsa_system_sgpr_workgroup_id_z 0
		.amdhsa_system_sgpr_workgroup_info 0
		.amdhsa_system_vgpr_workitem_id 1
		.amdhsa_next_free_vgpr 156
		.amdhsa_next_free_sgpr 15
		.amdhsa_reserve_vcc 1
		.amdhsa_reserve_flat_scratch 0
		.amdhsa_float_round_mode_32 0
		.amdhsa_float_round_mode_16_64 0
		.amdhsa_float_denorm_mode_32 3
		.amdhsa_float_denorm_mode_16_64 3
		.amdhsa_dx10_clamp 1
		.amdhsa_ieee_mode 1
		.amdhsa_fp16_overflow 0
		.amdhsa_workgroup_processor_mode 1
		.amdhsa_memory_ordered 1
		.amdhsa_forward_progress 1
		.amdhsa_shared_vgpr_count 0
		.amdhsa_exception_fp_ieee_invalid_op 0
		.amdhsa_exception_fp_denorm_src 0
		.amdhsa_exception_fp_ieee_div_zero 0
		.amdhsa_exception_fp_ieee_overflow 0
		.amdhsa_exception_fp_ieee_underflow 0
		.amdhsa_exception_fp_ieee_inexact 0
		.amdhsa_exception_int_div_zero 0
	.end_amdhsa_kernel
	.section	.text._ZL12mul_mat_q8_0IN3c104HalfELb1EEvPKvS3_PT_iiiii,"axG",@progbits,_ZL12mul_mat_q8_0IN3c104HalfELb1EEvPKvS3_PT_iiiii,comdat
.Lfunc_end146:
	.size	_ZL12mul_mat_q8_0IN3c104HalfELb1EEvPKvS3_PT_iiiii, .Lfunc_end146-_ZL12mul_mat_q8_0IN3c104HalfELb1EEvPKvS3_PT_iiiii
                                        ; -- End function
	.set _ZL12mul_mat_q8_0IN3c104HalfELb1EEvPKvS3_PT_iiiii.num_vgpr, 156
	.set _ZL12mul_mat_q8_0IN3c104HalfELb1EEvPKvS3_PT_iiiii.num_agpr, 0
	.set _ZL12mul_mat_q8_0IN3c104HalfELb1EEvPKvS3_PT_iiiii.numbered_sgpr, 15
	.set _ZL12mul_mat_q8_0IN3c104HalfELb1EEvPKvS3_PT_iiiii.num_named_barrier, 0
	.set _ZL12mul_mat_q8_0IN3c104HalfELb1EEvPKvS3_PT_iiiii.private_seg_size, 0
	.set _ZL12mul_mat_q8_0IN3c104HalfELb1EEvPKvS3_PT_iiiii.uses_vcc, 1
	.set _ZL12mul_mat_q8_0IN3c104HalfELb1EEvPKvS3_PT_iiiii.uses_flat_scratch, 0
	.set _ZL12mul_mat_q8_0IN3c104HalfELb1EEvPKvS3_PT_iiiii.has_dyn_sized_stack, 0
	.set _ZL12mul_mat_q8_0IN3c104HalfELb1EEvPKvS3_PT_iiiii.has_recursion, 0
	.set _ZL12mul_mat_q8_0IN3c104HalfELb1EEvPKvS3_PT_iiiii.has_indirect_call, 0
	.section	.AMDGPU.csdata,"",@progbits
; Kernel info:
; codeLenInByte = 7304
; TotalNumSgprs: 17
; NumVgprs: 156
; ScratchSize: 0
; MemoryBound: 0
; FloatMode: 240
; IeeeMode: 1
; LDSByteSize: 28224 bytes/workgroup (compile time only)
; SGPRBlocks: 0
; VGPRBlocks: 19
; NumSGPRsForWavesPerEU: 17
; NumVGPRsForWavesPerEU: 156
; Occupancy: 6
; WaveLimiterHint : 0
; COMPUTE_PGM_RSRC2:SCRATCH_EN: 0
; COMPUTE_PGM_RSRC2:USER_SGPR: 6
; COMPUTE_PGM_RSRC2:TRAP_HANDLER: 0
; COMPUTE_PGM_RSRC2:TGID_X_EN: 1
; COMPUTE_PGM_RSRC2:TGID_Y_EN: 1
; COMPUTE_PGM_RSRC2:TGID_Z_EN: 0
; COMPUTE_PGM_RSRC2:TIDIG_COMP_CNT: 1
	.section	.text._ZL12mul_mat_q2_KIN3c104HalfELb0EEvPKvS3_PT_iiiii,"axG",@progbits,_ZL12mul_mat_q2_KIN3c104HalfELb0EEvPKvS3_PT_iiiii,comdat
	.globl	_ZL12mul_mat_q2_KIN3c104HalfELb0EEvPKvS3_PT_iiiii ; -- Begin function _ZL12mul_mat_q2_KIN3c104HalfELb0EEvPKvS3_PT_iiiii
	.p2align	8
	.type	_ZL12mul_mat_q2_KIN3c104HalfELb0EEvPKvS3_PT_iiiii,@function
_ZL12mul_mat_q2_KIN3c104HalfELb0EEvPKvS3_PT_iiiii: ; @_ZL12mul_mat_q2_KIN3c104HalfELb0EEvPKvS3_PT_iiiii
; %bb.0:
	s_mov_b64 s[18:19], s[2:3]
	s_mov_b64 s[16:17], s[0:1]
	s_add_u32 s16, s16, s8
	s_clause 0x1
	s_load_dword s14, s[4:5], 0x18
	s_load_dwordx4 s[8:11], s[4:5], 0x20
	s_addc_u32 s17, s17, 0
	s_lshl_b32 s7, s7, 6
	v_add_nc_u32_e32 v22, s7, v1
	s_waitcnt lgkmcnt(0)
	s_cmpk_gt_i32 s14, 0xff
	s_cbranch_scc1 .LBB147_2
; %bb.1:
	v_add_nc_u32_e32 v6, s7, v1
	s_mov_b32 s0, 0
	s_branch .LBB147_3
.LBB147_2:
	s_mov_b32 s0, -1
                                        ; implicit-def: $vgpr6
.LBB147_3:
	s_load_dwordx2 s[12:13], s[4:5], 0x10
	v_mov_b32_e32 v2, 0
	v_mov_b32_e32 v9, 0
	v_mov_b32_e32 v13, 0
	v_mov_b32_e32 v17, 0
	v_mov_b32_e32 v3, 0
	v_mov_b32_e32 v10, 0
	v_mov_b32_e32 v14, 0
	v_mov_b32_e32 v18, 0
	v_mov_b32_e32 v4, 0
	v_mov_b32_e32 v11, 0
	v_mov_b32_e32 v15, 0
	v_mov_b32_e32 v19, 0
	v_mov_b32_e32 v5, 0
	v_mov_b32_e32 v12, 0
	v_mov_b32_e32 v16, 0
	v_mov_b32_e32 v20, 0
	s_lshl_b32 s6, s6, 7
	s_andn2_b32 vcc_lo, exec_lo, s0
	s_mov_b32 s11, 0
	s_cbranch_vccnz .LBB147_17
; %bb.4:
	s_load_dwordx4 s[0:3], s[4:5], 0x0
	s_ashr_i32 s4, s14, 31
	s_ashr_i32 s5, s9, 31
	s_lshr_b32 s4, s4, 24
	s_lshr_b32 s5, s5, 27
	s_add_i32 s14, s14, s4
	s_add_i32 s5, s9, s5
	s_ashr_i32 s4, s14, 8
	v_lshlrev_b32_e32 v23, 4, v1
	s_mul_i32 s9, s4, s6
	v_lshrrev_b32_e32 v4, 1, v0
	s_ashr_i32 s14, s5, 5
	s_mul_i32 s5, s9, 0x54
	v_and_b32_e32 v5, 7, v0
	v_add_nc_u32_e32 v6, 8, v22
	v_add_nc_u32_e32 v7, 16, v22
	;; [unrolled: 1-line block ×6, first 2 shown]
	s_mul_hi_i32 s9, s9, 0x54
	s_waitcnt lgkmcnt(0)
	s_add_u32 s5, s0, s5
	s_addc_u32 s9, s1, s9
	s_add_i32 s1, s8, -1
	s_lshl_b32 s0, s4, 3
	v_cvt_f64_u32_e32 v[2:3], v22
	buffer_store_dword v22, off, s[16:19], 0 offset:4 ; 4-byte Folded Spill
	v_add_nc_u32_e32 v16, 56, v22
	v_add_nc_u32_e32 v22, v4, v23
	v_cmp_lt_u32_e32 vcc_lo, 3, v5
	v_lshlrev_b32_e32 v26, 2, v5
	v_cvt_f64_u32_e32 v[4:5], v6
	v_cvt_f64_u32_e32 v[6:7], v7
	;; [unrolled: 1-line block ×6, first 2 shown]
	v_cvt_f64_i32_e32 v[19:20], s1
	v_mad_i32_i24 v73, s4, v1, s0
	v_cvt_f64_u32_e32 v[16:17], v16
	v_and_b32_e32 v71, 1, v0
	v_lshrrev_b32_e32 v72, 3, v0
	v_and_b32_e32 v27, 0x7f, v22
	v_add_nc_u32_e32 v74, s0, v73
	v_lshrrev_b32_e32 v22, 2, v22
	v_lshlrev_b32_e32 v24, 2, v71
	v_lshl_add_u32 v25, v1, 2, v72
	s_lshl_b32 s15, s4, 5
	v_add_nc_u32_e32 v75, s0, v74
	v_and_b32_e32 v22, 28, v22
	v_lshl_or_b32 v24, v27, 3, v24
	v_and_b32_e32 v28, 0x7fc, v25
	v_add_nc_u32_e32 v30, 32, v25
	v_add_nc_u32_e32 v78, s0, v75
	v_mul_i32_i24_e32 v105, s4, v25
	v_lshlrev_b32_e32 v29, 5, v25
	v_mul_i32_i24_e32 v107, s4, v27
	v_add3_u32 v27, v28, v26, 0x6200
	v_add_nc_u32_e32 v81, s0, v78
	v_min_f64 v[2:3], v[2:3], v[19:20]
	v_min_f64 v[6:7], v[6:7], v[19:20]
	;; [unrolled: 1-line block ×6, first 2 shown]
	v_add_nc_u32_e32 v82, s0, v81
	v_min_f64 v[4:5], v[4:5], v[19:20]
	v_min_f64 v[16:17], v[16:17], v[19:20]
	v_lshrrev_b32_e32 v19, 2, v0
	v_and_b32_e32 v28, 0xffc, v30
	v_add_nc_u32_e32 v83, s0, v82
	v_add3_u32 v109, v24, v22, 0x7280
	v_mad_i32_i24 v110, s4, v25, s15
	v_lshl_add_u32 v19, v1, 3, v19
	v_add_nc_u32_e32 v22, 64, v25
	v_add_nc_u32_e32 v88, s0, v83
	;; [unrolled: 1-line block ×3, first 2 shown]
	v_lshlrev_b32_e32 v21, 2, v0
	v_add3_u32 v24, v28, v26, 0x6200
	v_lshlrev_b32_e32 v28, 5, v30
	v_add_nc_u32_e32 v93, s0, v88
	v_cvt_i32_f64_e32 v3, v[2:3]
	v_cvt_i32_f64_e32 v6, v[6:7]
	;; [unrolled: 1-line block ×6, first 2 shown]
	v_add_nc_u32_e32 v98, s0, v93
	v_cvt_i32_f64_e32 v4, v[4:5]
	v_and_b32_e32 v5, 63, v19
	v_cvt_i32_f64_e32 v15, v[16:17]
	v_and_b32_e32 v30, 0xffc, v22
	v_add_nc_u32_e32 v101, s0, v98
	v_and_b32_e32 v20, 0xffc, v25
	v_or_b32_e32 v10, s7, v5
	v_and_b32_e32 v2, 3, v0
	v_and_b32_e32 v76, 60, v21
	v_add_nc_u32_e32 v104, s0, v101
	v_mad_u32_u24 v77, 0x84, v1, v21
	v_min_i32_e32 v10, s1, v10
	v_and_b32_e32 v80, 12, v21
	v_add3_u32 v30, v30, v26, 0x6200
	v_add_nc_u32_e32 v106, s0, v104
	v_add3_u32 v26, v20, v26, 0x6200
	v_lshlrev_b32_e32 v12, 2, v2
	v_and_b32_e32 v14, 28, v21
	v_mad_u64_u32 v[20:21], null, v10, s14, v[2:3]
	v_add_nc_u32_e32 v108, s0, v106
	v_mul_lo_u32 v120, s14, v11
	v_mul_lo_u32 v121, s14, v13
	v_add_nc_u32_e32 v10, 32, v0
	v_mul_u32_u24_e32 v11, 33, v0
	v_add_nc_u32_e32 v13, 64, v0
	v_add_nc_u32_e32 v16, 0x60, v0
	v_mov_b32_e32 v18, 0
	v_add_nc_u32_e32 v111, s0, v108
	v_and_b32_e32 v8, 31, v0
	v_lshl_or_b32 v5, v5, 4, v12
	v_lshlrev_b32_e32 v12, 7, v1
	v_lshlrev_b32_e32 v17, 1, v10
	v_lshrrev_b32_e32 v32, 4, v10
	v_lshlrev_b32_e32 v33, 1, v13
	v_lshrrev_b32_e32 v34, 4, v13
	;; [unrolled: 2-line block ×3, first 2 shown]
	v_lshrrev_b32_e32 v123, 3, v10
	v_lshrrev_b32_e32 v124, 3, v13
	;; [unrolled: 1-line block ×3, first 2 shown]
	v_add_co_u32 v21, s0, s2, v14
	v_lshlrev_b32_e32 v126, 2, v11
	v_lshlrev_b32_e32 v11, 5, v0
	v_and_b32_e32 v14, 0xfc, v0
	v_and_b32_e32 v10, 0x1fc, v10
	;; [unrolled: 1-line block ×4, first 2 shown]
	v_lshlrev_b32_e32 v31, 5, v22
	v_lshlrev_b32_e32 v25, 5, v25
	v_mov_b32_e32 v19, v18
	v_lshrrev_b32_e32 v70, 4, v0
	v_add_nc_u32_e32 v112, s15, v110
	v_lshl_or_b32 v8, v8, 2, 0x4200
	v_add_nc_u32_e32 v114, 0x76a0, v5
	v_mul_lo_u32 v115, s14, v3
	v_mul_lo_u32 v116, s14, v4
	v_add_nc_u32_e32 v2, 0x400, v12
	v_mul_lo_u32 v117, s14, v6
	v_add_nc_u32_e32 v3, 0x800, v12
	;; [unrolled: 2-line block ×4, first 2 shown]
	v_add_nc_u32_e32 v6, 0x1400, v12
	v_add_nc_u32_e32 v7, 0x1800, v12
	v_mul_lo_u32 v122, s14, v15
	v_add_nc_u32_e32 v9, 0x1c00, v12
	v_lshlrev_b32_e32 v15, 1, v0
	v_add_nc_u32_e32 v128, v11, v14
	v_add_nc_u32_e32 v129, v11, v10
	;; [unrolled: 1-line block ×9, first 2 shown]
	v_lshlrev_b32_e32 v151, 2, v32
	v_lshlrev_b32_e32 v153, 2, v34
	;; [unrolled: 1-line block ×5, first 2 shown]
	v_mov_b32_e32 v44, v19
	v_mov_b32_e32 v34, v19
	;; [unrolled: 1-line block ×15, first 2 shown]
	v_cndmask_b32_e64 v79, 0, 1, vcc_lo
	v_mul_i32_i24_e32 v84, s4, v1
	v_add_nc_u32_e32 v95, 0x2520, v77
	v_add_nc_u32_e32 v96, 0x2940, v77
	;; [unrolled: 1-line block ×8, first 2 shown]
	v_add_co_ci_u32_e64 v22, null, s3, 0, s0
	v_add_nc_u32_e32 v132, 0x4200, v12
	v_add_nc_u32_e32 v133, 0x6200, v128
	;; [unrolled: 1-line block ×13, first 2 shown]
	v_lshlrev_b32_e32 v149, 2, v70
	v_lshlrev_b32_e32 v150, 2, v15
	;; [unrolled: 1-line block ×3, first 2 shown]
	v_mov_b32_e32 v157, 0xffff
	v_mov_b32_e32 v158, 15
	;; [unrolled: 1-line block ×17, first 2 shown]
	buffer_store_dword v1, off, s[16:19], 0 ; 4-byte Folded Spill
	s_branch .LBB147_6
.LBB147_5:                              ;   in Loop: Header=BB147_6 Depth=1
	s_add_i32 s11, s11, 2
	s_cmp_ge_i32 s11, s4
	s_cbranch_scc1 .LBB147_16
.LBB147_6:                              ; =>This Loop Header: Depth=1
                                        ;     Child Loop BB147_7 Depth 2
                                        ;     Child Loop BB147_9 Depth 2
	;; [unrolled: 1-line block ×4, first 2 shown]
	s_mul_i32 s0, s11, 0x54
	s_mul_hi_u32 s1, s11, 0x54
	s_add_u32 s0, s5, s0
	s_addc_u32 s1, s9, s1
	v_add_nc_u32_e32 v1, 0x420, v77
	v_mad_u64_u32 v[2:3], null, 0x54, v70, s[0:1]
	v_mov_b32_e32 v160, v132
	v_mov_b32_e32 v161, v127
	v_mad_u64_u32 v[4:5], null, 0x54, v84, v[2:3]
	v_add_co_u32 v4, vcc_lo, v4, v76
	v_add_co_ci_u32_e64 v5, null, 0, v5, vcc_lo
	global_load_dword v4, v[4:5], off offset:16
	s_waitcnt vmcnt(0)
	ds_write_b32 v77, v4
	v_mad_u64_u32 v[4:5], null, 0x54, v73, v[2:3]
	v_add_co_u32 v4, vcc_lo, v4, v76
	v_add_co_ci_u32_e64 v5, null, 0, v5, vcc_lo
	global_load_dword v4, v[4:5], off offset:16
	s_waitcnt vmcnt(0)
	ds_write_b32 v1, v4
	v_mad_u64_u32 v[4:5], null, 0x54, v74, v[2:3]
	v_add_nc_u32_e32 v1, 0x840, v77
	v_add_co_u32 v4, vcc_lo, v4, v76
	v_add_co_ci_u32_e64 v5, null, 0, v5, vcc_lo
	global_load_dword v4, v[4:5], off offset:16
	s_waitcnt vmcnt(0)
	ds_write_b32 v1, v4
	v_mad_u64_u32 v[4:5], null, 0x54, v75, v[2:3]
	v_add_nc_u32_e32 v1, 0xc60, v77
	;; [unrolled: 7-line block ×7, first 2 shown]
	v_add_co_u32 v4, vcc_lo, v4, v76
	v_add_co_ci_u32_e64 v5, null, 0, v5, vcc_lo
	global_load_dword v4, v[4:5], off offset:16
	s_waitcnt vmcnt(0)
	ds_write_b32 v1, v4
	v_mad_u64_u32 v[4:5], null, 0x54, v93, v[2:3]
	v_add_co_u32 v4, vcc_lo, v4, v76
	v_add_co_ci_u32_e64 v5, null, 0, v5, vcc_lo
	global_load_dword v4, v[4:5], off offset:16
	s_waitcnt vmcnt(0)
	ds_write_b32 v95, v4
	v_mad_u64_u32 v[4:5], null, 0x54, v98, v[2:3]
	;; [unrolled: 6-line block ×6, first 2 shown]
	v_mad_u64_u32 v[2:3], null, 0x54, v111, v[2:3]
	v_add_co_u32 v4, vcc_lo, v4, v76
	v_add_co_ci_u32_e64 v5, null, 0, v5, vcc_lo
	v_add_co_u32 v2, vcc_lo, v2, v76
	v_add_co_ci_u32_e64 v3, null, 0, v3, vcc_lo
	s_clause 0x1
	global_load_dword v4, v[4:5], off offset:16
	global_load_dword v2, v[2:3], off offset:16
	s_waitcnt vmcnt(1)
	ds_write_b32 v102, v4
	s_waitcnt vmcnt(0)
	ds_write_b32 v103, v2
	v_mad_u64_u32 v[2:3], null, 0x54, v107, s[0:1]
	v_mad_u64_u32 v[2:3], null, 0x54, v71, v[2:3]
	global_load_dword v2, v[2:3], off offset:80
	s_waitcnt vmcnt(0)
	ds_write_b32 v109, v2
	v_mad_u64_u32 v[2:3], null, 0x54, v79, s[0:1]
	s_lshl_b32 s0, s11, 3
	s_mov_b32 s1, 0
	v_add_nc_u32_e32 v159, s0, v20
	v_add_co_u32 v2, vcc_lo, v2, v80
	v_add_co_ci_u32_e64 v3, null, 0, v3, vcc_lo
	v_mad_u64_u32 v[4:5], null, 0x54, v105, v[2:3]
	global_load_dword v4, v[4:5], off
	s_waitcnt vmcnt(0)
	ds_write_b32 v137, v4
	v_mad_u64_u32 v[4:5], null, 0x54, v110, v[2:3]
	global_load_dword v4, v[4:5], off
	s_waitcnt vmcnt(0)
	ds_write_b32 v138, v4
	v_mad_u64_u32 v[4:5], null, 0x54, v112, v[2:3]
	v_mad_u64_u32 v[2:3], null, 0x54, v113, v[2:3]
	s_clause 0x1
	global_load_dword v4, v[4:5], off
	global_load_dword v2, v[2:3], off
	s_waitcnt vmcnt(1)
	ds_write_b32 v139, v4
	v_add_nc_u32_e32 v4, s0, v72
	s_waitcnt vmcnt(0)
	ds_write_b32 v140, v2
	v_add_nc_u32_e32 v2, v4, v115
	v_mad_i64_i32 v[2:3], null, v2, 36, v[21:22]
	global_load_dword v2, v[2:3], off offset:4
	s_waitcnt vmcnt(0)
	ds_write_b32 v141, v2
	v_add_nc_u32_e32 v2, v4, v116
	v_mad_i64_i32 v[2:3], null, v2, 36, v[21:22]
	global_load_dword v2, v[2:3], off offset:4
	;; [unrolled: 5-line block ×8, first 2 shown]
	s_waitcnt vmcnt(0)
	ds_write_b32 v148, v2
	v_mad_u64_u32 v[2:3], null, v159, 36, s[2:3]
	global_load_dword v2, v[2:3], off
	s_waitcnt vmcnt(0)
	v_cvt_f32_f16_e32 v2, v2
	ds_write_b32 v114, v2
	s_waitcnt lgkmcnt(0)
	s_waitcnt_vscnt null, 0x0
	s_barrier
	buffer_gl0_inv
.LBB147_7:                              ;   Parent Loop BB147_6 Depth=1
                                        ; =>  This Inner Loop Header: Depth=2
	s_and_b32 s15, s1, 0x3ffffff8
	s_and_b32 s14, s1, -16
	v_lshl_add_u32 v230, s15, 2, v126
	ds_read_b128 v[2:5], v160
	ds_read_b128 v[206:209], v160 offset:16
	ds_read_b128 v[177:180], v160 offset:1024
	;; [unrolled: 1-line block ×7, first 2 shown]
	v_add_nc_u32_e32 v191, 0x1080, v230
	v_add_nc_u32_e32 v193, 0x1088, v230
	s_add_i32 s14, s1, s14
	ds_read2_b32 v[175:176], v230 offset1:1
	ds_read2_b32 v[189:190], v230 offset0:2 offset1:3
	ds_read2_b32 v[222:223], v230 offset0:4 offset1:5
	;; [unrolled: 1-line block ×3, first 2 shown]
	v_add_nc_u32_e32 v195, 0x2100, v230
	v_add_nc_u32_e32 v198, 0x2108, v230
	;; [unrolled: 1-line block ×10, first 2 shown]
	ds_read2_b32 v[191:192], v191 offset1:1
	ds_read2_b32 v[193:194], v193 offset1:1
	;; [unrolled: 1-line block ×6, first 2 shown]
	ds_read_u16 v198, v63
	ds_read_u16 v65, v65
	ds_read2_b32 v[201:202], v203 offset1:1
	ds_read2_b32 v[203:204], v204 offset1:1
	ds_read_u16 v63, v68
	ds_read_u16 v68, v197
	v_mov_b32_e32 v60, 0
	v_mov_b32_e32 v53, 0
	;; [unrolled: 1-line block ×5, first 2 shown]
	s_waitcnt lgkmcnt(15)
	v_ashrrev_i32_e32 v175, s1, v175
	v_ashrrev_i32_e32 v176, s1, v176
	s_waitcnt lgkmcnt(14)
	v_ashrrev_i32_e32 v189, s1, v189
	v_mov_b32_e32 v163, 0
	v_mov_b32_e32 v165, 0
	v_and_b32_e32 v231, 0x3030303, v175
	v_and_b32_e32 v232, 0x3030303, v176
	;; [unrolled: 1-line block ×3, first 2 shown]
	s_waitcnt lgkmcnt(11)
	v_ashrrev_i32_e32 v175, s1, v191
	v_ashrrev_i32_e32 v176, s1, v192
	s_waitcnt lgkmcnt(10)
	v_ashrrev_i32_e32 v189, s1, v193
	v_ashrrev_i32_e32 v191, s1, v194
	;; [unrolled: 3-line block ×6, first 2 shown]
	v_bfe_u32 v201, v198, 4, 4
	v_bfe_u32 v202, v65, 4, 4
	s_waitcnt lgkmcnt(1)
	v_bfe_u32 v203, v63, 4, 4
	s_waitcnt lgkmcnt(0)
	v_bfe_u32 v204, v68, 4, 4
	v_mov_b32_e32 v167, 0
	v_mul_lo_u32 v243, 0x1010101, v201
	v_mul_lo_u32 v244, 0x1010101, v202
	;; [unrolled: 1-line block ×4, first 2 shown]
	v_and_b32_e32 v234, 0x3030303, v175
	v_and_b32_e32 v192, 0x3030303, v192
	;; [unrolled: 1-line block ×3, first 2 shown]
	v_dot4c_i32_i8 v60, v231, v2
	v_and_b32_e32 v235, 0x3030303, v176
	v_and_b32_e32 v193, 0x3030303, v193
	;; [unrolled: 1-line block ×3, first 2 shown]
	v_dot4c_i32_i8 v53, v234, v2
	v_dot4c_i32_i8 v55, v192, v2
	;; [unrolled: 1-line block ×7, first 2 shown]
	v_ashrrev_i32_e32 v190, s1, v190
	v_and_b32_e32 v236, 0x3030303, v189
	v_and_b32_e32 v237, 0x3030303, v194
	;; [unrolled: 1-line block ×3, first 2 shown]
	v_dot4c_i32_i8 v60, v232, v3
	v_dot4c_i32_i8 v53, v235, v3
	;; [unrolled: 1-line block ×8, first 2 shown]
	v_mov_b32_e32 v61, 0
	v_mov_b32_e32 v162, 0
	;; [unrolled: 1-line block ×8, first 2 shown]
	v_and_b32_e32 v190, 0x3030303, v190
	v_and_b32_e32 v191, 0x3030303, v191
	;; [unrolled: 1-line block ×4, first 2 shown]
	v_dot4c_i32_i8 v60, v233, v4
	v_dot4c_i32_i8 v53, v236, v4
	;; [unrolled: 1-line block ×24, first 2 shown]
	ds_read_b128 v[2:5], v160 offset:4096
	ds_read_b128 v[210:213], v160 offset:4112
	v_dot4c_i32_i8 v61, v232, v178
	v_dot4c_i32_i8 v54, v235, v178
	;; [unrolled: 1-line block ×8, first 2 shown]
	v_mov_b32_e32 v62, 0
	v_mov_b32_e32 v169, 0
	;; [unrolled: 1-line block ×8, first 2 shown]
	v_dot4c_i32_i8 v61, v233, v179
	v_dot4c_i32_i8 v54, v236, v179
	;; [unrolled: 1-line block ×24, first 2 shown]
	v_mov_b32_e32 v204, 0
	v_mov_b32_e32 v247, 0
	;; [unrolled: 1-line block ×8, first 2 shown]
	s_waitcnt lgkmcnt(1)
	v_dot4c_i32_i8 v204, v231, v2
	v_dot4c_i32_i8 v247, v234, v2
	;; [unrolled: 1-line block ×32, first 2 shown]
	ds_read_b128 v[2:5], v160 offset:5120
	ds_read_b128 v[214:217], v160 offset:5136
	v_dot4c_i32_i8 v62, v232, v182
	v_dot4c_i32_i8 v59, v235, v182
	;; [unrolled: 1-line block ×8, first 2 shown]
	v_mov_b32_e32 v64, 0
	v_mov_b32_e32 v173, 0
	;; [unrolled: 1-line block ×8, first 2 shown]
	v_dot4c_i32_i8 v62, v233, v183
	v_dot4c_i32_i8 v59, v236, v183
	;; [unrolled: 1-line block ×24, first 2 shown]
	v_mov_b32_e32 v248, 0
	v_mov_b32_e32 v249, 0
	;; [unrolled: 1-line block ×8, first 2 shown]
	s_waitcnt lgkmcnt(1)
	v_dot4c_i32_i8 v248, v231, v2
	v_dot4c_i32_i8 v249, v234, v2
	;; [unrolled: 1-line block ×32, first 2 shown]
	ds_read_b128 v[2:5], v160 offset:6144
	ds_read_b128 v[218:221], v160 offset:6160
	v_dot4c_i32_i8 v64, v232, v186
	v_dot4c_i32_i8 v201, v235, v186
	;; [unrolled: 1-line block ×24, first 2 shown]
	v_mov_b32_e32 v251, 0
	v_mov_b32_e32 v252, 0
	;; [unrolled: 1-line block ×8, first 2 shown]
	s_waitcnt lgkmcnt(1)
	v_dot4c_i32_i8 v251, v231, v2
	v_dot4c_i32_i8 v252, v234, v2
	;; [unrolled: 1-line block ×32, first 2 shown]
	ds_read_b128 v[194:197], v160 offset:7168
	ds_read_b128 v[2:5], v160 offset:7184
	v_mov_b32_e32 v255, 0
	v_mov_b32_e32 v69, 0
	v_ashrrev_i32_e32 v222, s1, v222
	v_ashrrev_i32_e32 v226, s1, v226
	;; [unrolled: 1-line block ×5, first 2 shown]
	v_and_b32_e32 v222, 0x3030303, v222
	v_and_b32_e32 v226, 0x3030303, v226
	v_ashrrev_i32_e32 v228, s1, v228
	v_and_b32_e32 v223, 0x3030303, v223
	v_and_b32_e32 v227, 0x3030303, v227
	v_ashrrev_i32_e32 v225, s1, v225
	v_ashrrev_i32_e32 v229, s1, v229
	v_and_b32_e32 v224, 0x3030303, v224
	v_and_b32_e32 v228, 0x3030303, v228
	v_mov_b32_e32 v85, 0
	v_and_b32_e32 v225, 0x3030303, v225
	s_waitcnt lgkmcnt(1)
	v_dot4c_i32_i8 v255, v231, v194
	v_mov_b32_e32 v231, 0
	v_dot4c_i32_i8 v69, v239, v194
	v_and_b32_e32 v229, 0x3030303, v229
	v_mov_b32_e32 v1, 0
	v_dot4c_i32_i8 v255, v232, v195
	v_dot4c_i32_i8 v231, v234, v194
	v_mov_b32_e32 v234, 0
	v_dot4c_i32_i8 v69, v240, v195
	v_dot4c_i32_i8 v85, v226, v6
	;; [unrolled: 1-line block ×5, first 2 shown]
	v_mov_b32_e32 v192, 0
	v_dot4c_i32_i8 v69, v241, v196
	v_dot4c_i32_i8 v255, v190, v197
	;; [unrolled: 1-line block ×4, first 2 shown]
	v_mov_b32_e32 v190, 0
	v_mov_b32_e32 v193, 0
	v_dot4c_i32_i8 v192, v245, v194
	v_dot4c_i32_i8 v231, v191, v197
	v_mov_b32_e32 v191, 0
	v_dot4c_i32_i8 v190, v243, v194
	v_dot4c_i32_i8 v193, v246, v194
	;; [unrolled: 1-line block ×8, first 2 shown]
	v_add_nc_u32_e32 v194, 0x1090, v230
	v_dot4c_i32_i8 v191, v244, v195
	v_dot4c_i32_i8 v190, v243, v196
	;; [unrolled: 1-line block ×6, first 2 shown]
	v_add_nc_u32_e32 v196, 0x1098, v230
	v_dot4c_i32_i8 v190, v243, v197
	v_dot4c_i32_i8 v192, v245, v197
	;; [unrolled: 1-line block ×4, first 2 shown]
	ds_read2_b32 v[194:195], v194 offset1:1
	ds_read2_b32 v[196:197], v196 offset1:1
	v_mov_b32_e32 v243, 0
	v_mov_b32_e32 v244, 0
	;; [unrolled: 1-line block ×4, first 2 shown]
	v_dot4c_i32_i8 v85, v227, v7
	v_mov_b32_e32 v86, 0
	v_dot4c_i32_i8 v244, v226, v206
	v_mov_b32_e32 v87, 0
	v_mov_b32_e32 v89, 0
	v_dot4c_i32_i8 v85, v228, v8
	v_dot4c_i32_i8 v86, v226, v210
	;; [unrolled: 1-line block ×3, first 2 shown]
	v_mov_b32_e32 v90, 0
	v_mov_b32_e32 v91, 0
	v_dot4c_i32_i8 v85, v229, v9
	v_dot4c_i32_i8 v86, v227, v211
	;; [unrolled: 1-line block ×4, first 2 shown]
	s_waitcnt lgkmcnt(1)
	v_ashrrev_i32_e32 v232, s1, v194
	v_add_nc_u32_e32 v194, 0x3190, v230
	s_waitcnt lgkmcnt(0)
	v_ashrrev_i32_e32 v235, s1, v196
	v_add_nc_u32_e32 v196, 0x3198, v230
	v_ashrrev_i32_e32 v233, s1, v195
	v_ashrrev_i32_e32 v236, s1, v197
	ds_read2_b32 v[194:195], v194 offset1:1
	ds_read2_b32 v[196:197], v196 offset1:1
	v_mov_b32_e32 v230, 0
	v_and_b32_e32 v232, 0x3030303, v232
	v_and_b32_e32 v233, 0x3030303, v233
	;; [unrolled: 1-line block ×4, first 2 shown]
	v_dot4c_i32_i8 v230, v222, v206
	v_dot4c_i32_i8 v243, v232, v206
	;; [unrolled: 1-line block ×12, first 2 shown]
	v_mov_b32_e32 v92, 0
	s_waitcnt lgkmcnt(1)
	v_ashrrev_i32_e32 v194, s1, v194
	s_waitcnt lgkmcnt(0)
	v_ashrrev_i32_e32 v196, s1, v196
	v_ashrrev_i32_e32 v195, s1, v195
	;; [unrolled: 1-line block ×3, first 2 shown]
	v_dot4c_i32_i8 v230, v225, v209
	v_and_b32_e32 v237, 0x3030303, v194
	v_and_b32_e32 v239, 0x3030303, v196
	v_and_b32_sdwa v196, v157, v63 dst_sel:DWORD dst_unused:UNUSED_PAD src0_sel:DWORD src1_sel:BYTE_1
	v_and_b32_e32 v238, 0x3030303, v195
	v_and_b32_sdwa v194, v157, v198 dst_sel:DWORD dst_unused:UNUSED_PAD src0_sel:DWORD src1_sel:BYTE_1
	v_and_b32_sdwa v195, v157, v65 dst_sel:DWORD dst_unused:UNUSED_PAD src0_sel:DWORD src1_sel:BYTE_1
	v_and_b32_e32 v240, 0x3030303, v197
	v_lshrrev_b32_e32 v241, 4, v196
	v_and_b32_sdwa v196, v157, v68 dst_sel:DWORD dst_unused:UNUSED_PAD src0_sel:DWORD src1_sel:BYTE_1
	v_lshrrev_b32_e32 v194, 4, v194
	v_lshrrev_b32_e32 v195, 4, v195
	v_dot4c_i32_i8 v245, v237, v206
	v_dot4c_i32_i8 v246, v237, v14
	v_lshrrev_b32_e32 v242, 4, v196
	v_mul_lo_u32 v197, 0x1010101, v194
	v_mul_lo_u32 v196, 0x1010101, v195
	;; [unrolled: 1-line block ×3, first 2 shown]
	v_mov_b32_e32 v241, 0
	v_mul_lo_u32 v194, 0x1010101, v242
	v_mov_b32_e32 v242, 0
	v_dot4c_i32_i8 v246, v238, v15
	v_dot4c_i32_i8 v1, v237, v6
	;; [unrolled: 1-line block ×7, first 2 shown]
	v_mov_b32_e32 v206, 0
	v_dot4c_i32_i8 v242, v226, v14
	v_dot4c_i32_i8 v162, v197, v14
	;; [unrolled: 1-line block ×29, first 2 shown]
	v_mov_b32_e32 v14, 0
	v_mov_b32_e32 v15, 0
	v_mov_b32_e32 v16, 0
	v_mov_b32_e32 v17, 0
	v_dot4c_i32_i8 v169, v197, v10
	v_dot4c_i32_i8 v14, v222, v10
	;; [unrolled: 1-line block ×16, first 2 shown]
	v_mov_b32_e32 v10, 0
	v_mov_b32_e32 v11, 0
	v_dot4c_i32_i8 v173, v197, v6
	v_dot4c_i32_i8 v175, v196, v6
	v_dot4c_i32_i8 v176, v195, v6
	v_dot4c_i32_i8 v10, v222, v6
	v_dot4c_i32_i8 v11, v232, v6
	v_dot4c_i32_i8 v177, v194, v6
	v_dot4c_i32_i8 v1, v238, v7
	v_dot4c_i32_i8 v173, v197, v7
	v_dot4c_i32_i8 v10, v223, v7
	v_dot4c_i32_i8 v11, v233, v7
	v_dot4c_i32_i8 v175, v196, v7
	v_dot4c_i32_i8 v176, v195, v7
	v_dot4c_i32_i8 v177, v194, v7
	v_dot4c_i32_i8 v10, v224, v8
	v_dot4c_i32_i8 v11, v235, v8
	v_dot4c_i32_i8 v1, v239, v8
	v_dot4c_i32_i8 v173, v197, v8
	v_dot4c_i32_i8 v175, v196, v8
	v_dot4c_i32_i8 v176, v195, v8
	v_dot4c_i32_i8 v177, v194, v8
	v_dot4c_i32_i8 v14, v224, v12
	v_dot4c_i32_i8 v15, v235, v12
	v_dot4c_i32_i8 v16, v228, v12
	v_dot4c_i32_i8 v17, v239, v12
	v_dot4c_i32_i8 v169, v197, v12
	v_dot4c_i32_i8 v170, v196, v12
	v_dot4c_i32_i8 v171, v195, v12
	v_dot4c_i32_i8 v172, v194, v12
	v_dot4c_i32_i8 v10, v225, v9
	v_dot4c_i32_i8 v11, v236, v9
	v_dot4c_i32_i8 v1, v240, v9
	v_dot4c_i32_i8 v173, v197, v9
	v_dot4c_i32_i8 v175, v196, v9
	v_dot4c_i32_i8 v176, v195, v9
	v_dot4c_i32_i8 v177, v194, v9
	v_mov_b32_e32 v9, 0
	v_mov_b32_e32 v12, 0
	v_dot4c_i32_i8 v87, v237, v210
	v_dot4c_i32_i8 v178, v197, v210
	;; [unrolled: 1-line block ×7, first 2 shown]
	v_and_b32_sdwa v6, v198, v158 dst_sel:DWORD dst_unused:UNUSED_PAD src0_sel:BYTE_1 src1_sel:DWORD
	v_dot4c_i32_i8 v9, v223, v211
	v_dot4c_i32_i8 v12, v233, v211
	;; [unrolled: 1-line block ×7, first 2 shown]
	v_and_b32_e32 v7, 15, v198
	v_and_b32_e32 v198, 0xffff, v6
	v_dot4c_i32_i8 v9, v224, v212
	v_dot4c_i32_i8 v12, v235, v212
	;; [unrolled: 1-line block ×7, first 2 shown]
	v_mul_lo_u32 v6, v206, v198
	v_dot4c_i32_i8 v9, v225, v213
	v_dot4c_i32_i8 v12, v236, v213
	;; [unrolled: 1-line block ×7, first 2 shown]
	v_and_b32_e32 v213, 0xffff, v7
	v_dot4c_i32_i8 v14, v225, v13
	v_dot4c_i32_i8 v15, v236, v13
	;; [unrolled: 1-line block ×4, first 2 shown]
	v_mad_u64_u32 v[6:7], null, v61, v213, v[6:7]
	v_mul_lo_u32 v7, v60, v213
	v_dot4c_i32_i8 v169, v197, v13
	v_dot4c_i32_i8 v170, v196, v13
	;; [unrolled: 1-line block ×4, first 2 shown]
	v_mov_b32_e32 v13, 0
	v_dot4c_i32_i8 v245, v238, v207
	v_dot4c_i32_i8 v174, v197, v207
	v_mad_u64_u32 v[7:8], null, v230, v198, v[7:8]
	v_mul_lo_u32 v8, v62, v213
	v_dot4c_i32_i8 v163, v196, v207
	v_dot4c_i32_i8 v165, v195, v207
	;; [unrolled: 1-line block ×4, first 2 shown]
	v_mov_b32_e32 v211, 0
	v_dot4c_i32_i8 v245, v239, v208
	v_dot4c_i32_i8 v174, v197, v208
	v_mad_u64_u32 v[206:207], null, v14, v198, v[8:9]
	v_mul_lo_u32 v8, v64, v213
	v_dot4c_i32_i8 v163, v196, v208
	v_dot4c_i32_i8 v165, v195, v208
	;; [unrolled: 1-line block ×5, first 2 shown]
	v_mov_b32_e32 v212, 0
	v_dot4c_i32_i8 v243, v236, v209
	v_mad_u64_u32 v[207:208], null, v10, v198, v[8:9]
	v_mul_lo_u32 v8, v204, v213
	v_dot4c_i32_i8 v13, v224, v216
	v_dot4c_i32_i8 v245, v240, v209
	v_dot4c_i32_i8 v174, v197, v209
	v_dot4c_i32_i8 v163, v196, v209
	v_dot4c_i32_i8 v165, v195, v209
	v_dot4c_i32_i8 v167, v194, v209
	v_dot4c_i32_i8 v211, v223, v219
	v_mad_u64_u32 v[208:209], null, v9, v198, v[8:9]
	v_mul_lo_u32 v8, v248, v213
	v_dot4c_i32_i8 v13, v225, v217
	v_dot4c_i32_i8 v212, v222, v2
	;; [unrolled: 1-line block ×3, first 2 shown]
	v_and_b32_e32 v10, 15, v65
	v_dot4c_i32_i8 v91, v237, v214
	v_dot4c_i32_i8 v182, v197, v214
	;; [unrolled: 1-line block ×3, first 2 shown]
	v_mad_u64_u32 v[209:210], null, v13, v198, v[8:9]
	v_mul_lo_u32 v8, v251, v213
	v_dot4c_i32_i8 v211, v225, v221
	v_dot4c_i32_i8 v212, v224, v4
	v_and_b32_e32 v10, 0xffff, v10
	v_dot4c_i32_i8 v183, v196, v214
	v_dot4c_i32_i8 v184, v195, v214
	;; [unrolled: 1-line block ×4, first 2 shown]
	v_mad_u64_u32 v[210:211], null, v211, v198, v[8:9]
	v_mul_lo_u32 v8, v255, v213
	v_dot4c_i32_i8 v91, v238, v215
	v_dot4c_i32_i8 v182, v197, v215
	;; [unrolled: 1-line block ×7, first 2 shown]
	v_mad_u64_u32 v[211:212], null, v212, v198, v[8:9]
	v_mov_b32_e32 v9, 0
	v_and_b32_sdwa v8, v65, v158 dst_sel:DWORD dst_unused:UNUSED_PAD src0_sel:BYTE_1 src1_sel:DWORD
	v_dot4c_i32_i8 v91, v239, v216
	v_dot4c_i32_i8 v182, v197, v216
	;; [unrolled: 1-line block ×4, first 2 shown]
	v_and_b32_e32 v14, 0xffff, v8
	v_dot4c_i32_i8 v184, v195, v216
	v_dot4c_i32_i8 v185, v194, v216
	v_mov_b32_e32 v216, 0
	v_dot4c_i32_i8 v9, v233, v3
	v_mul_lo_u32 v8, v241, v14
	v_dot4c_i32_i8 v89, v236, v217
	v_dot4c_i32_i8 v90, v229, v217
	;; [unrolled: 1-line block ×13, first 2 shown]
	v_mad_u64_u32 v[212:213], null, v54, v10, v[8:9]
	v_mul_lo_u32 v8, v53, v10
	v_dot4c_i32_i8 v92, v227, v219
	v_dot4c_i32_i8 v216, v236, v221
	v_mov_b32_e32 v94, 0
	v_dot4c_i32_i8 v186, v197, v218
	v_dot4c_i32_i8 v187, v196, v218
	;; [unrolled: 1-line block ×4, first 2 shown]
	v_mad_u64_u32 v[213:214], null, v243, v14, v[8:9]
	v_mul_lo_u32 v8, v59, v10
	v_dot4c_i32_i8 v92, v229, v221
	v_dot4c_i32_i8 v94, v237, v218
	;; [unrolled: 1-line block ×3, first 2 shown]
	s_lshr_b32 s14, s1, 2
	v_dot4c_i32_i8 v190, v197, v2
	s_and_b32 s14, s14, 0x3ffffffc
	v_dot4c_i32_i8 v94, v238, v219
	v_mad_u64_u32 v[214:215], null, v15, v14, v[8:9]
	v_mul_lo_u32 v8, v201, v10
	s_addk_i32 s14, 0x7280
	v_dot4c_i32_i8 v94, v239, v220
	v_cvt_f32_i32_e32 v204, v213
	v_dot4c_i32_i8 v191, v196, v2
	v_dot4c_i32_i8 v192, v195, v2
	;; [unrolled: 1-line block ×4, first 2 shown]
	v_mad_u64_u32 v[61:62], null, v11, v14, v[8:9]
	v_mul_lo_u32 v8, v247, v10
	v_and_b32_e32 v11, 15, v63
	v_dot4c_i32_i8 v186, v197, v219
	v_dot4c_i32_i8 v187, v196, v219
	;; [unrolled: 1-line block ×4, first 2 shown]
	v_and_b32_e32 v11, 0xffff, v11
	v_dot4c_i32_i8 v190, v197, v3
	v_mad_u64_u32 v[59:60], null, v12, v14, v[8:9]
	v_mul_lo_u32 v8, v249, v10
	v_dot4c_i32_i8 v191, v196, v3
	v_dot4c_i32_i8 v192, v195, v3
	v_dot4c_i32_i8 v193, v194, v3
	v_dot4c_i32_i8 v186, v197, v220
	v_dot4c_i32_i8 v187, v196, v220
	v_dot4c_i32_i8 v188, v195, v220
	v_dot4c_i32_i8 v189, v194, v220
	v_mad_u64_u32 v[53:54], null, v89, v14, v[8:9]
	v_mul_lo_u32 v8, v252, v10
	v_dot4c_i32_i8 v190, v197, v4
	v_dot4c_i32_i8 v191, v196, v4
	;; [unrolled: 1-line block ×7, first 2 shown]
	v_mad_u64_u32 v[12:13], null, v216, v14, v[8:9]
	v_mul_lo_u32 v8, v231, v10
	v_mov_b32_e32 v10, 0
	v_dot4c_i32_i8 v189, v194, v221
	v_dot4c_i32_i8 v190, v197, v5
	;; [unrolled: 1-line block ×6, first 2 shown]
	v_mad_u64_u32 v[8:9], null, v9, v14, v[8:9]
	v_and_b32_sdwa v9, v63, v158 dst_sel:DWORD dst_unused:UNUSED_PAD src0_sel:BYTE_1 src1_sel:DWORD
	v_dot4c_i32_i8 v10, v227, v3
	v_cvt_f32_i32_e32 v89, v170
	v_cvt_f32_i32_e32 v170, v184
	;; [unrolled: 1-line block ×3, first 2 shown]
	v_and_b32_e32 v15, 0xffff, v9
	v_dot4c_i32_i8 v10, v228, v4
	v_cvt_f32_i32_e32 v12, v12
	v_add_nc_u32_e32 v160, 32, v160
	v_mul_lo_u32 v9, v242, v15
	v_dot4c_i32_i8 v10, v229, v5
	v_mad_u64_u32 v[215:216], null, v56, v11, v[9:10]
	v_mul_lo_u32 v9, v55, v11
	v_mad_u64_u32 v[216:217], null, v244, v15, v[9:10]
	v_mul_lo_u32 v9, v57, v11
	v_cvt_f32_i32_e32 v201, v216
	v_mad_u64_u32 v[64:65], null, v16, v15, v[9:10]
	v_mul_lo_u32 v9, v199, v11
	v_mad_u64_u32 v[62:63], null, v85, v15, v[9:10]
	v_mul_lo_u32 v9, v203, v11
	v_add3_u32 v85, s14, v153, v154
	v_cvt_f32_i32_e32 v203, v215
	v_mad_u64_u32 v[56:57], null, v86, v15, v[9:10]
	v_mul_lo_u32 v9, v250, v11
	v_add3_u32 v86, s14, v155, v156
	v_cvt_f32_i32_e32 v56, v56
	v_mad_u64_u32 v[54:55], null, v90, v15, v[9:10]
	v_mul_lo_u32 v9, v253, v11
	v_cvt_f32_i32_e32 v90, v171
	v_cvt_f32_i32_e32 v171, v185
	;; [unrolled: 1-line block ×3, first 2 shown]
	v_mad_u64_u32 v[13:14], null, v92, v15, v[9:10]
	v_mul_lo_u32 v9, v234, v11
	v_mov_b32_e32 v11, 0
	v_and_b32_e32 v14, 15, v68
	v_cvt_f32_i32_e32 v92, v173
	v_cvt_f32_i32_e32 v173, v187
	v_dot4c_i32_i8 v11, v237, v2
	v_and_b32_e32 v60, 0xffff, v14
	v_mad_u64_u32 v[9:10], null, v10, v15, v[9:10]
	v_and_b32_sdwa v10, v68, v158 dst_sel:DWORD dst_unused:UNUSED_PAD src0_sel:BYTE_1 src1_sel:DWORD
	v_dot4c_i32_i8 v11, v238, v3
	v_cvt_f32_i32_e32 v13, v13
	v_and_b32_e32 v55, 0xffff, v10
	v_dot4c_i32_i8 v11, v239, v4
	v_cvt_f32_i32_e32 v2, v9
	v_cvt_f32_i32_e32 v4, v174
	;; [unrolled: 1-line block ×3, first 2 shown]
	v_mul_lo_u32 v10, v246, v55
	v_dot4c_i32_i8 v11, v240, v5
	v_cvt_f32_i32_e32 v5, v162
	v_cvt_f32_i32_e32 v162, v176
	;; [unrolled: 1-line block ×6, first 2 shown]
	v_mad_u64_u32 v[198:199], null, v66, v60, v[10:11]
	v_mul_lo_u32 v10, v58, v60
	v_mad_u64_u32 v[217:218], null, v245, v55, v[10:11]
	v_mul_lo_u32 v10, v67, v60
	v_cvt_f32_i32_e32 v199, v217
	v_mad_u64_u32 v[67:68], null, v17, v55, v[10:11]
	v_mul_lo_u32 v10, v200, v60
	v_cvt_f32_i32_e32 v68, v207
	v_cvt_f32_i32_e32 v207, v64
	ds_read2_b32 v[63:64], v161 offset0:64 offset1:96
	v_cvt_f32_i32_e32 v200, v198
	v_cvt_f32_i32_e32 v198, v214
	;; [unrolled: 1-line block ×3, first 2 shown]
	v_mad_u64_u32 v[65:66], null, v1, v55, v[10:11]
	v_mul_lo_u32 v10, v202, v60
	v_add3_u32 v1, s14, v149, v150
	v_cvt_f32_i32_e32 v202, v7
	v_cvt_f32_i32_e32 v66, v206
	v_cvt_f32_i32_e32 v206, v212
	v_cvt_f32_i32_e32 v65, v65
	v_mad_u64_u32 v[57:58], null, v87, v55, v[10:11]
	v_mul_lo_u32 v10, v205, v60
	v_cvt_f32_i32_e32 v205, v6
	ds_read2_b32 v[6:7], v161 offset1:32
	v_cvt_f32_i32_e32 v87, v169
	v_cvt_f32_i32_e32 v169, v183
	;; [unrolled: 1-line block ×3, first 2 shown]
	v_mad_u64_u32 v[16:17], null, v91, v55, v[10:11]
	v_mul_lo_u32 v10, v254, v60
	v_cvt_f32_i32_e32 v17, v208
	v_cvt_f32_i32_e32 v208, v62
	v_cvt_f32_i32_e32 v62, v59
	ds_read2_b32 v[58:59], v161 offset0:192 offset1:224
	v_cvt_f32_i32_e32 v91, v172
	v_cvt_f32_i32_e32 v172, v186
	;; [unrolled: 1-line block ×3, first 2 shown]
	v_mad_u64_u32 v[14:15], null, v94, v55, v[10:11]
	v_mul_lo_u32 v10, v69, v60
	v_add3_u32 v69, s14, v151, v152
	v_cvt_f32_i32_e32 v15, v211
	v_cvt_f32_i32_e32 v94, v175
	;; [unrolled: 1-line block ×3, first 2 shown]
	s_add_i32 s14, s1, 2
	v_cvt_f32_i32_e32 v14, v14
	s_cmp_lt_u32 s1, 6
	v_mad_u64_u32 v[10:11], null, v11, v55, v[10:11]
	v_cvt_f32_i32_e32 v55, v209
	v_cvt_f32_i32_e32 v11, v210
	v_cvt_f32_i32_e32 v209, v61
	ds_read2_b32 v[60:61], v161 offset0:128 offset1:160
	ds_read_b32 v211, v1
	ds_read_b32 v210, v69
	;; [unrolled: 1-line block ×4, first 2 shown]
	v_cvt_f32_i32_e32 v1, v8
	v_cvt_f32_i32_e32 v3, v10
	;; [unrolled: 1-line block ×14, first 2 shown]
	v_add_nc_u32_e32 v161, 4, v161
	s_mov_b32 s1, s14
	s_waitcnt lgkmcnt(3)
	v_cvt_f32_f16_sdwa v214, v211 dst_sel:DWORD dst_unused:UNUSED_PAD src0_sel:WORD_1
	s_waitcnt lgkmcnt(2)
	v_cvt_f32_f16_sdwa v215, v210 dst_sel:DWORD dst_unused:UNUSED_PAD src0_sel:WORD_1
	;; [unrolled: 2-line block ×4, first 2 shown]
	v_mul_f32_e32 v4, v214, v4
	v_mul_f32_e32 v5, v214, v5
	;; [unrolled: 1-line block ×32, first 2 shown]
	v_fma_mix_f32 v5, v211, v205, -v5 op_sel_hi:[1,0,0]
	v_fma_mix_f32 v4, v211, v202, -v4 op_sel_hi:[1,0,0]
	;; [unrolled: 1-line block ×32, first 2 shown]
	v_fma_f32 v19, v6, v4, v19
	v_fmac_f32_e32 v18, v7, v5
	v_fma_f32 v48, v6, v8, v48
	v_fmac_f32_e32 v47, v7, v9
	;; [unrolled: 2-line block ×16, first 2 shown]
	s_cbranch_scc1 .LBB147_7
; %bb.8:                                ;   in Loop: Header=BB147_6 Depth=1
	v_add_nc_u32_e32 v1, s0, v123
	v_add_nc_u32_e32 v12, 4, v159
	s_barrier
	buffer_gl0_inv
	v_add_nc_u32_e32 v2, v1, v115
	v_add_nc_u32_e32 v4, v1, v116
	;; [unrolled: 1-line block ×5, first 2 shown]
	v_mad_u64_u32 v[12:13], null, v12, 36, s[2:3]
	v_mad_i64_i32 v[2:3], null, v2, 36, v[21:22]
	v_add_nc_u32_e32 v14, v1, v120
	v_mad_i64_i32 v[4:5], null, v4, 36, v[21:22]
	v_add_nc_u32_e32 v16, v1, v121
	;; [unrolled: 2-line block ×3, first 2 shown]
	v_mad_i64_i32 v[8:9], null, v8, 36, v[21:22]
	v_mad_i64_i32 v[10:11], null, v10, 36, v[21:22]
	;; [unrolled: 1-line block ×5, first 2 shown]
	s_clause 0x8
	global_load_dword v1, v[12:13], off
	global_load_dword v12, v[2:3], off offset:4
	global_load_dword v4, v[4:5], off offset:4
	;; [unrolled: 1-line block ×8, first 2 shown]
	v_mov_b32_e32 v2, v132
	v_mov_b32_e32 v3, v127
	s_mov_b32 s1, 8
	s_waitcnt vmcnt(8)
	v_cvt_f32_f16_e32 v1, v1
	s_waitcnt vmcnt(7)
	ds_write_b32 v141, v12
	s_waitcnt vmcnt(6)
	ds_write_b32 v142, v4
	;; [unrolled: 2-line block ×8, first 2 shown]
	ds_write_b32 v114, v1
	s_waitcnt lgkmcnt(0)
	s_barrier
	buffer_gl0_inv
.LBB147_9:                              ;   Parent Loop BB147_6 Depth=1
                                        ; =>  This Inner Loop Header: Depth=2
	s_and_b32 s15, s1, 0x3ffffff8
	s_add_i32 s14, s1, -8
	v_lshl_add_u32 v1, s15, 2, v126
	s_and_b32 s15, s1, -16
	v_mov_b32_e32 v208, 0
	s_add_i32 s15, s1, s15
	v_mov_b32_e32 v211, 0
	ds_read2_b32 v[4:5], v1 offset1:1
	v_add_nc_u32_e32 v10, s15, v128
	v_mov_b32_e32 v213, 0
	v_mov_b32_e32 v212, 0
	v_mov_b32_e32 v217, 0
	v_mov_b32_e32 v215, 0
	v_mov_b32_e32 v214, 0
	v_mov_b32_e32 v210, 0
	v_mov_b32_e32 v219, 0
	v_mov_b32_e32 v222, 0
	v_mov_b32_e32 v218, 0
	v_mov_b32_e32 v221, 0
	v_mov_b32_e32 v216, 0
	v_mov_b32_e32 v220, 0
	v_mov_b32_e32 v58, 0
	v_mov_b32_e32 v61, 0
	v_mov_b32_e32 v62, 0
	v_mov_b32_e32 v63, 0
	v_mov_b32_e32 v169, 0
	v_mov_b32_e32 v68, 0
	s_waitcnt lgkmcnt(0)
	v_ashrrev_i32_e32 v6, s14, v4
	v_ashrrev_i32_e32 v7, s14, v5
	ds_read2_b32 v[4:5], v1 offset0:2 offset1:3
	v_mov_b32_e32 v168, 0
	v_mov_b32_e32 v67, 0
	v_and_b32_e32 v64, 0x3030303, v6
	v_and_b32_e32 v69, 0x3030303, v7
	v_mov_b32_e32 v7, 0
	v_mov_b32_e32 v170, 0
	;; [unrolled: 1-line block ×15, first 2 shown]
	s_waitcnt lgkmcnt(0)
	v_ashrrev_i32_e32 v8, s14, v4
	v_add_nc_u32_e32 v4, 0x1080, v1
	v_ashrrev_i32_e32 v9, s14, v5
	ds_read_u16 v205, v10 offset:25088
	v_add_nc_u32_e32 v10, s15, v129
	v_and_b32_e32 v85, 0x3030303, v8
	ds_read2_b32 v[4:5], v4 offset1:1
	v_and_b32_e32 v86, 0x3030303, v9
	v_mov_b32_e32 v171, 0
	v_mov_b32_e32 v166, 0
	;; [unrolled: 1-line block ×15, first 2 shown]
	s_waitcnt lgkmcnt(1)
	v_bfe_u32 v6, v205, 4, 4
	v_mov_b32_e32 v198, 0
	v_mov_b32_e32 v195, 0
	s_waitcnt lgkmcnt(0)
	v_ashrrev_i32_e32 v12, s14, v4
	v_add_nc_u32_e32 v4, 0x1088, v1
	v_ashrrev_i32_e32 v13, s14, v5
	ds_read_u16 v206, v10 offset:26112
	v_add_nc_u32_e32 v10, s15, v130
	v_mul_lo_u32 v87, 0x1010101, v6
	ds_read2_b32 v[4:5], v4 offset1:1
	v_and_b32_e32 v92, 0x3030303, v12
	v_and_b32_e32 v13, 0x3030303, v13
	v_mov_b32_e32 v12, 0
	v_mov_b32_e32 v204, 0
	;; [unrolled: 1-line block ×6, first 2 shown]
	ds_read_u16 v207, v10 offset:27136
	v_add_nc_u32_e32 v10, s15, v131
	ds_read_b128 v[173:176], v2 offset:4096
	ds_read_b128 v[180:183], v2 offset:5120
	;; [unrolled: 1-line block ×3, first 2 shown]
	ds_read_u16 v200, v10 offset:28160
	ds_read_b128 v[8:11], v2
	s_waitcnt lgkmcnt(7)
	v_bfe_u32 v6, v206, 4, 4
	s_waitcnt lgkmcnt(6)
	v_ashrrev_i32_e32 v14, s14, v4
	v_add_nc_u32_e32 v4, 0x2100, v1
	v_ashrrev_i32_e32 v15, s14, v5
	v_mul_lo_u32 v89, 0x1010101, v6
	v_and_b32_e32 v14, 0x3030303, v14
	ds_read2_b32 v[4:5], v4 offset1:1
	v_and_b32_e32 v94, 0x3030303, v15
	v_mov_b32_e32 v15, 0
	s_waitcnt lgkmcnt(6)
	v_bfe_u32 v6, v207, 4, 4
	s_waitcnt lgkmcnt(5)
	v_dot4c_i32_i8 v161, v64, v173
	v_dot4c_i32_i8 v60, v87, v173
	;; [unrolled: 1-line block ×3, first 2 shown]
	v_mul_lo_u32 v90, 0x1010101, v6
	s_waitcnt lgkmcnt(2)
	v_bfe_u32 v6, v200, 4, 4
	v_dot4c_i32_i8 v59, v89, v173
	v_dot4c_i32_i8 v161, v69, v174
	;; [unrolled: 1-line block ×4, first 2 shown]
	v_mul_lo_u32 v91, 0x1010101, v6
	v_dot4c_i32_i8 v59, v89, v174
	v_dot4c_i32_i8 v57, v90, v173
	;; [unrolled: 1-line block ×5, first 2 shown]
	s_waitcnt lgkmcnt(0)
	v_ashrrev_i32_e32 v16, s14, v4
	v_add_nc_u32_e32 v4, 0x2108, v1
	v_ashrrev_i32_e32 v17, s14, v5
	v_dot4c_i32_i8 v57, v90, v174
	v_dot4c_i32_i8 v59, v89, v175
	v_and_b32_e32 v160, 0x3030303, v16
	ds_read2_b32 v[4:5], v4 offset1:1
	v_and_b32_e32 v184, 0x3030303, v17
	v_mov_b32_e32 v16, 0
	v_dot4c_i32_i8 v57, v90, v175
	v_dot4c_i32_i8 v164, v160, v173
	;; [unrolled: 1-line block ×11, first 2 shown]
	v_mov_b32_e32 v6, 0
	v_mov_b32_e32 v17, 0
	v_dot4c_i32_i8 v177, v69, v181
	v_dot4c_i32_i8 v178, v184, v181
	;; [unrolled: 1-line block ×3, first 2 shown]
	s_waitcnt lgkmcnt(0)
	v_ashrrev_i32_e32 v53, s14, v4
	v_add_nc_u32_e32 v4, 0x3180, v1
	v_ashrrev_i32_e32 v54, s14, v5
	v_dot4c_i32_i8 v177, v85, v182
	v_dot4c_i32_i8 v171, v91, v182
	v_and_b32_e32 v185, 0x3030303, v53
	ds_read2_b32 v[4:5], v4 offset1:1
	v_and_b32_e32 v186, 0x3030303, v54
	v_dot4c_i32_i8 v177, v86, v183
	v_dot4c_i32_i8 v171, v91, v183
	;; [unrolled: 1-line block ×6, first 2 shown]
	s_waitcnt lgkmcnt(0)
	v_ashrrev_i32_e32 v55, s14, v4
	v_add_nc_u32_e32 v4, 0x3188, v1
	v_ashrrev_i32_e32 v56, s14, v5
	v_and_b32_e32 v187, 0x3030303, v55
	ds_read2_b32 v[4:5], v4 offset1:1
	v_and_b32_e32 v188, 0x3030303, v56
	ds_read_b128 v[53:56], v2 offset:2048
	v_dot4c_i32_i8 v208, v64, v8
	v_dot4c_i32_i8 v211, v92, v8
	;; [unrolled: 1-line block ×17, first 2 shown]
	s_waitcnt lgkmcnt(1)
	v_ashrrev_i32_e32 v4, s14, v4
	v_ashrrev_i32_e32 v5, s14, v5
	v_dot4c_i32_i8 v211, v14, v10
	v_dot4c_i32_i8 v213, v185, v10
	;; [unrolled: 1-line block ×3, first 2 shown]
	v_and_b32_e32 v189, 0x3030303, v4
	v_and_b32_e32 v190, 0x3030303, v5
	v_dot4c_i32_i8 v215, v89, v10
	v_dot4c_i32_i8 v214, v90, v10
	;; [unrolled: 1-line block ×12, first 2 shown]
	ds_read_b128 v[8:11], v2 offset:1024
	s_waitcnt lgkmcnt(1)
	v_dot4c_i32_i8 v58, v64, v53
	v_dot4c_i32_i8 v12, v87, v53
	;; [unrolled: 1-line block ×19, first 2 shown]
	s_waitcnt lgkmcnt(0)
	v_dot4c_i32_i8 v210, v64, v8
	v_dot4c_i32_i8 v219, v87, v8
	;; [unrolled: 1-line block ×32, first 2 shown]
	v_mov_b32_e32 v11, 0
	v_mov_b32_e32 v10, 0
	;; [unrolled: 1-line block ×3, first 2 shown]
	v_dot4c_i32_i8 v63, v190, v56
	v_dot4c_i32_i8 v165, v187, v173
	v_dot4c_i32_i8 v11, v89, v53
	v_dot4c_i32_i8 v10, v90, v53
	v_dot4c_i32_i8 v9, v91, v53
	v_dot4c_i32_i8 v179, v187, v180
	v_dot4c_i32_i8 v165, v188, v174
	v_dot4c_i32_i8 v11, v89, v54
	v_dot4c_i32_i8 v10, v90, v54
	v_dot4c_i32_i8 v9, v91, v54
	v_dot4c_i32_i8 v179, v188, v181
	v_dot4c_i32_i8 v165, v189, v175
	v_dot4c_i32_i8 v11, v89, v55
	v_dot4c_i32_i8 v10, v90, v55
	v_dot4c_i32_i8 v9, v91, v55
	v_dot4c_i32_i8 v179, v189, v182
	v_dot4c_i32_i8 v165, v190, v176
	v_dot4c_i32_i8 v11, v89, v56
	v_dot4c_i32_i8 v10, v90, v56
	v_dot4c_i32_i8 v9, v91, v56
	ds_read_b128 v[53:56], v2 offset:3072
	v_dot4c_i32_i8 v179, v190, v183
	v_mov_b32_e32 v8, 0
	v_mov_b32_e32 v5, 0
	;; [unrolled: 1-line block ×3, first 2 shown]
	s_waitcnt lgkmcnt(0)
	v_dot4c_i32_i8 v169, v64, v53
	v_dot4c_i32_i8 v68, v87, v53
	;; [unrolled: 1-line block ×16, first 2 shown]
	v_mov_b32_e32 v54, 0
	v_dot4c_i32_i8 v169, v85, v55
	v_dot4c_i32_i8 v68, v87, v55
	v_dot4c_i32_i8 v168, v14, v55
	v_dot4c_i32_i8 v67, v89, v55
	v_dot4c_i32_i8 v54, v91, v173
	v_mov_b32_e32 v173, 0
	v_dot4c_i32_i8 v170, v185, v55
	v_dot4c_i32_i8 v66, v90, v55
	v_dot4c_i32_i8 v172, v189, v55
	v_dot4c_i32_i8 v54, v91, v174
	v_mov_b32_e32 v174, 0
	v_dot4c_i32_i8 v173, v90, v180
	v_dot4c_i32_i8 v65, v91, v55
	v_dot4c_i32_i8 v169, v86, v56
	v_dot4c_i32_i8 v54, v91, v175
	;; [unrolled: 5-line block ×4, first 2 shown]
	v_dot4c_i32_i8 v176, v92, v180
	v_dot4c_i32_i8 v175, v87, v181
	;; [unrolled: 1-line block ×14, first 2 shown]
	v_mov_b32_e32 v56, 0
	v_dot4c_i32_i8 v176, v94, v183
	ds_read_b128 v[180:183], v2 offset:6144
	v_mov_b32_e32 v53, 0
	v_mov_b32_e32 v55, 0
	s_waitcnt lgkmcnt(0)
	v_dot4c_i32_i8 v56, v64, v180
	v_dot4c_i32_i8 v8, v87, v180
	;; [unrolled: 1-line block ×32, first 2 shown]
	ds_read_b128 v[180:183], v2 offset:7168
	s_waitcnt lgkmcnt(0)
	v_dot4c_i32_i8 v166, v92, v180
	v_dot4c_i32_i8 v167, v64, v180
	;; [unrolled: 1-line block ×3, first 2 shown]
	v_mov_b32_e32 v160, 0
	v_mov_b32_e32 v64, 0
	v_dot4c_i32_i8 v166, v13, v181
	v_mov_b32_e32 v13, 0
	v_dot4c_i32_i8 v55, v89, v180
	v_dot4c_i32_i8 v160, v187, v180
	v_dot4c_i32_i8 v64, v87, v180
	v_dot4c_i32_i8 v166, v14, v182
	v_mov_b32_e32 v14, 0
	v_dot4c_i32_i8 v13, v91, v180
	v_dot4c_i32_i8 v167, v69, v181
	;; [unrolled: 1-line block ×10, first 2 shown]
	ds_read2_b32 v[180:181], v1 offset0:4 offset1:5
	v_dot4c_i32_i8 v55, v89, v182
	v_dot4c_i32_i8 v64, v87, v182
	;; [unrolled: 1-line block ×6, first 2 shown]
	v_add_nc_u32_e32 v89, 0x1090, v1
	v_dot4c_i32_i8 v64, v87, v183
	v_dot4c_i32_i8 v13, v91, v183
	v_add_nc_u32_e32 v91, 0x1098, v1
	v_dot4c_i32_i8 v14, v90, v183
	v_dot4c_i32_i8 v166, v94, v183
	;; [unrolled: 3-line block ×3, first 2 shown]
	v_dot4c_i32_i8 v162, v186, v183
	s_waitcnt lgkmcnt(0)
	v_ashrrev_i32_e32 v69, s14, v180
	v_ashrrev_i32_e32 v85, s14, v181
	ds_read2_b32 v[180:181], v1 offset0:6 offset1:7
	v_dot4c_i32_i8 v160, v190, v183
	v_and_b32_e32 v69, 0x3030303, v69
	v_and_b32_e32 v85, 0x3030303, v85
	s_waitcnt lgkmcnt(0)
	v_ashrrev_i32_e32 v86, s14, v180
	v_ashrrev_i32_e32 v87, s14, v181
	ds_read2_b32 v[180:181], v89 offset1:1
	v_and_b32_e32 v86, 0x3030303, v86
	v_and_b32_e32 v87, 0x3030303, v87
	s_waitcnt lgkmcnt(0)
	v_ashrrev_i32_e32 v89, s14, v180
	v_ashrrev_i32_e32 v90, s14, v181
	ds_read2_b32 v[180:181], v91 offset1:1
	;; [unrolled: 6-line block ×3, first 2 shown]
	v_and_b32_e32 v91, 0x3030303, v91
	v_and_b32_e32 v92, 0x3030303, v92
	s_waitcnt lgkmcnt(0)
	v_ashrrev_i32_e32 v94, s14, v180
	v_add_nc_u32_e32 v180, 0x2118, v1
	v_ashrrev_i32_e32 v184, s14, v181
	v_and_b32_e32 v94, 0x3030303, v94
	ds_read2_b32 v[180:181], v180 offset1:1
	v_and_b32_e32 v209, 0x3030303, v184
	v_mov_b32_e32 v184, 0
	s_waitcnt lgkmcnt(0)
	v_ashrrev_i32_e32 v185, s14, v180
	v_add_nc_u32_e32 v180, 0x3190, v1
	v_ashrrev_i32_e32 v186, s14, v181
	v_add_nc_u32_e32 v1, 0x3198, v1
	v_and_b32_e32 v228, 0x3030303, v185
	ds_read2_b32 v[180:181], v180 offset1:1
	v_and_b32_e32 v229, 0x3030303, v186
	v_mov_b32_e32 v185, 0
	v_mov_b32_e32 v186, 0
	s_waitcnt lgkmcnt(0)
	v_ashrrev_i32_e32 v187, s14, v180
	v_ashrrev_i32_e32 v188, s14, v181
	ds_read2_b32 v[180:181], v1 offset1:1
	v_and_b32_e32 v230, 0x3030303, v187
	v_and_b32_e32 v231, 0x3030303, v188
	v_mov_b32_e32 v188, 0
	v_mov_b32_e32 v187, 0
	s_waitcnt lgkmcnt(0)
	v_ashrrev_i32_e32 v1, s14, v180
	v_and_b32_sdwa v180, v157, v205 dst_sel:DWORD dst_unused:UNUSED_PAD src0_sel:DWORD src1_sel:BYTE_1
	v_ashrrev_i32_e32 v189, s14, v181
	s_lshr_b32 s14, s1, 2
	v_and_b32_e32 v1, 0x3030303, v1
	v_lshrrev_b32_e32 v190, 4, v180
	v_and_b32_sdwa v180, v157, v206 dst_sel:DWORD dst_unused:UNUSED_PAD src0_sel:DWORD src1_sel:BYTE_1
	v_and_b32_e32 v232, 0x3030303, v189
	v_mov_b32_e32 v189, 0
	s_and_b32 s14, s14, 0x3ffffffc
	v_mul_lo_u32 v233, 0x1010101, v190
	v_lshrrev_b32_e32 v191, 4, v180
	v_and_b32_sdwa v180, v157, v207 dst_sel:DWORD dst_unused:UNUSED_PAD src0_sel:DWORD src1_sel:BYTE_1
	v_mov_b32_e32 v190, 0
	s_addk_i32 s14, 0x7280
	v_mul_lo_u32 v234, 0x1010101, v191
	v_lshrrev_b32_e32 v192, 4, v180
	v_and_b32_sdwa v180, v157, v200 dst_sel:DWORD dst_unused:UNUSED_PAD src0_sel:DWORD src1_sel:BYTE_1
	v_mov_b32_e32 v191, 0
	v_dot4c_i32_i8 v8, v233, v223
	v_mul_lo_u32 v235, 0x1010101, v192
	v_lshrrev_b32_e32 v193, 4, v180
	ds_read_b128 v[180:183], v2 offset:16
	v_mov_b32_e32 v192, 0
	v_dot4c_i32_i8 v6, v234, v223
	v_dot4c_i32_i8 v8, v233, v224
	v_mul_lo_u32 v236, 0x1010101, v193
	v_mov_b32_e32 v193, 0
	v_dot4c_i32_i8 v5, v235, v223
	v_dot4c_i32_i8 v6, v234, v224
	;; [unrolled: 1-line block ×10, first 2 shown]
	s_waitcnt lgkmcnt(0)
	v_dot4c_i32_i8 v227, v69, v180
	v_dot4c_i32_i8 v237, v89, v180
	;; [unrolled: 1-line block ×32, first 2 shown]
	ds_read_b128 v[180:183], v2 offset:1040
	v_dot4c_i32_i8 v4, v236, v225
	v_dot4c_i32_i8 v5, v235, v226
	v_cvt_f32_i32_e32 v6, v6
	v_cvt_f32_i32_e32 v7, v7
	v_dot4c_i32_i8 v4, v236, v226
	v_cvt_f32_i32_e32 v5, v5
	v_cvt_f32_i32_e32 v4, v4
	s_waitcnt lgkmcnt(0)
	v_dot4c_i32_i8 v240, v69, v180
	v_dot4c_i32_i8 v241, v89, v180
	;; [unrolled: 1-line block ×32, first 2 shown]
	ds_read_b128 v[180:183], v2 offset:2064
	s_waitcnt lgkmcnt(0)
	v_dot4c_i32_i8 v188, v69, v180
	v_dot4c_i32_i8 v185, v89, v180
	;; [unrolled: 1-line block ×32, first 2 shown]
	ds_read_b128 v[180:183], v2 offset:3088
	v_cvt_f32_i32_e32 v12, v12
	v_cvt_f32_i32_e32 v11, v11
	;; [unrolled: 1-line block ×4, first 2 shown]
	s_waitcnt lgkmcnt(0)
	v_dot4c_i32_i8 v199, v69, v180
	v_dot4c_i32_i8 v196, v89, v180
	;; [unrolled: 1-line block ×32, first 2 shown]
	ds_read_b128 v[180:183], v2 offset:4112
	v_cvt_f32_i32_e32 v68, v68
	s_waitcnt lgkmcnt(0)
	v_dot4c_i32_i8 v195, v69, v180
	v_dot4c_i32_i8 v191, v89, v180
	;; [unrolled: 1-line block ×32, first 2 shown]
	ds_read_b128 v[180:183], v2 offset:5136
	v_cvt_f32_i32_e32 v60, v60
	s_waitcnt lgkmcnt(0)
	v_dot4c_i32_i8 v204, v69, v180
	v_dot4c_i32_i8 v201, v89, v180
	;; [unrolled: 1-line block ×32, first 2 shown]
	v_mov_b32_e32 v183, 0
	v_mov_b32_e32 v182, 0
	;; [unrolled: 1-line block ×4, first 2 shown]
	v_dot4c_i32_i8 v183, v69, v223
	v_dot4c_i32_i8 v182, v89, v223
	;; [unrolled: 1-line block ×16, first 2 shown]
	ds_read_b128 v[223:226], v2 offset:7184
	v_add_nc_u32_e32 v2, 32, v2
	s_waitcnt lgkmcnt(0)
	v_dot4c_i32_i8 v184, v230, v223
	v_dot4c_i32_i8 v194, v69, v223
	;; [unrolled: 1-line block ×3, first 2 shown]
	v_and_b32_e32 v69, 15, v205
	v_dot4c_i32_i8 v190, v89, v223
	v_dot4c_i32_i8 v184, v231, v224
	;; [unrolled: 1-line block ×4, first 2 shown]
	v_and_b32_e32 v209, 0xffff, v69
	v_dot4c_i32_i8 v55, v234, v223
	v_dot4c_i32_i8 v184, v1, v225
	v_and_b32_sdwa v1, v205, v158 dst_sel:DWORD dst_unused:UNUSED_PAD src0_sel:BYTE_1 src1_sel:DWORD
	v_dot4c_i32_i8 v14, v235, v223
	v_dot4c_i32_i8 v13, v236, v223
	v_mul_lo_u32 v208, v208, v209
	v_dot4c_i32_i8 v194, v85, v224
	v_and_b32_e32 v205, 0xffff, v1
	v_and_b32_sdwa v1, v206, v158 dst_sel:DWORD dst_unused:UNUSED_PAD src0_sel:BYTE_1 src1_sel:DWORD
	v_dot4c_i32_i8 v190, v90, v224
	v_dot4c_i32_i8 v64, v233, v224
	;; [unrolled: 1-line block ×3, first 2 shown]
	v_mul_lo_u32 v223, v240, v205
	v_dot4c_i32_i8 v14, v235, v224
	v_dot4c_i32_i8 v13, v236, v224
	v_and_b32_e32 v69, 15, v206
	v_and_b32_e32 v206, 0xffff, v1
	v_dot4c_i32_i8 v194, v86, v225
	v_dot4c_i32_i8 v190, v91, v225
	;; [unrolled: 1-line block ×3, first 2 shown]
	v_mad_u64_u32 v[223:224], null, v210, v209, v[223:224]
	v_dot4c_i32_i8 v64, v233, v225
	v_dot4c_i32_i8 v55, v234, v225
	;; [unrolled: 1-line block ×4, first 2 shown]
	v_mad_u64_u32 v[224:225], null, v227, v205, v[208:209]
	v_mul_lo_u32 v208, v241, v206
	v_and_b32_e32 v210, 0xffff, v69
	v_and_b32_sdwa v1, v207, v158 dst_sel:DWORD dst_unused:UNUSED_PAD src0_sel:BYTE_1 src1_sel:DWORD
	v_dot4c_i32_i8 v194, v87, v226
	v_dot4c_i32_i8 v190, v92, v226
	;; [unrolled: 1-line block ×8, first 2 shown]
	v_mad_u64_u32 v[226:227], null, v222, v210, v[208:209]
	v_mul_lo_u32 v208, v211, v210
	v_and_b32_e32 v69, 15, v207
	v_and_b32_e32 v207, 0xffff, v1
	;; [unrolled: 1-line block ×3, first 2 shown]
	v_cvt_f32_i32_e32 v225, v223
	v_cvt_f32_i32_e32 v224, v224
	v_and_b32_e32 v211, 0xffff, v69
	v_cvt_f32_i32_e32 v223, v226
	v_mad_u64_u32 v[227:228], null, v237, v206, v[208:209]
	v_mul_lo_u32 v208, v242, v207
	v_and_b32_sdwa v69, v200, v158 dst_sel:DWORD dst_unused:UNUSED_PAD src0_sel:BYTE_1 src1_sel:DWORD
	v_and_b32_e32 v200, 0xffff, v69
	v_mad_u64_u32 v[221:222], null, v221, v211, v[208:209]
	v_mul_lo_u32 v208, v213, v211
	v_cvt_f32_i32_e32 v222, v227
	v_cvt_f32_i32_e32 v221, v221
	v_mad_u64_u32 v[228:229], null, v238, v207, v[208:209]
	v_and_b32_e32 v208, 0xffff, v1
	v_add3_u32 v1, s14, v149, v150
	v_mul_lo_u32 v212, v212, v208
	ds_read_b32 v226, v1
	v_cvt_f32_i32_e32 v1, v219
	v_mad_u64_u32 v[212:213], null, v239, v200, v[212:213]
	v_mul_lo_u32 v213, v243, v200
	v_cvt_f32_i32_e32 v212, v212
	v_mad_u64_u32 v[229:230], null, v220, v208, v[213:214]
	v_cvt_f32_i32_e32 v220, v228
	s_waitcnt lgkmcnt(0)
	v_cvt_f32_f16_sdwa v219, v226 dst_sel:DWORD dst_unused:UNUSED_PAD src0_sel:WORD_1
	v_mul_f32_e32 v1, v219, v1
	v_cvt_f32_i32_e32 v213, v229
	v_mul_f32_e32 v12, v219, v12
	v_mul_f32_e32 v68, v219, v68
	;; [unrolled: 1-line block ×3, first 2 shown]
	v_fma_mix_f32 v225, v226, v225, -v1 op_sel_hi:[1,0,0]
	v_cvt_f32_i32_e32 v1, v217
	v_mul_f32_e32 v1, v219, v1
	v_fma_mix_f32 v224, v226, v224, -v1 op_sel_hi:[1,0,0]
	v_add3_u32 v1, s14, v151, v152
	ds_read_b32 v217, v1
	v_cvt_f32_i32_e32 v1, v218
	s_waitcnt lgkmcnt(0)
	v_cvt_f32_f16_sdwa v218, v217 dst_sel:DWORD dst_unused:UNUSED_PAD src0_sel:WORD_1
	v_mul_f32_e32 v1, v218, v1
	v_mul_f32_e32 v11, v218, v11
	;; [unrolled: 1-line block ×3, first 2 shown]
	v_fma_mix_f32 v223, v217, v223, -v1 op_sel_hi:[1,0,0]
	v_cvt_f32_i32_e32 v1, v215
	v_mul_f32_e32 v1, v218, v1
	v_fma_mix_f32 v222, v217, v222, -v1 op_sel_hi:[1,0,0]
	v_add3_u32 v1, s14, v153, v154
	ds_read_b32 v215, v1
	v_cvt_f32_i32_e32 v1, v216
	s_waitcnt lgkmcnt(0)
	v_cvt_f32_f16_sdwa v216, v215 dst_sel:DWORD dst_unused:UNUSED_PAD src0_sel:WORD_1
	v_mul_f32_e32 v1, v216, v1
	v_mul_f32_e32 v10, v216, v10
	;; [unrolled: 1-line block ×3, first 2 shown]
	v_fma_mix_f32 v221, v215, v221, -v1 op_sel_hi:[1,0,0]
	v_cvt_f32_i32_e32 v1, v214
	v_mul_f32_e32 v1, v216, v1
	v_fma_mix_f32 v220, v215, v220, -v1 op_sel_hi:[1,0,0]
	v_add3_u32 v1, s14, v155, v156
	s_add_i32 s14, s1, 2
	s_cmp_lt_u32 s1, 14
	s_mov_b32 s1, s14
	ds_read_b32 v214, v1
	v_cvt_f32_i32_e32 v1, v16
	s_waitcnt lgkmcnt(0)
	v_cvt_f32_f16_sdwa v69, v214 dst_sel:DWORD dst_unused:UNUSED_PAD src0_sel:WORD_1
	v_mul_f32_e32 v1, v69, v1
	v_mul_f32_e32 v7, v69, v7
	;; [unrolled: 1-line block ×4, first 2 shown]
	v_fma_mix_f32 v1, v214, v213, -v1 op_sel_hi:[1,0,0]
	v_fma_mix_f32 v7, v214, v212, -v7 op_sel_hi:[1,0,0]
	ds_read2_b32 v[212:213], v3 offset1:32
	s_waitcnt lgkmcnt(0)
	v_fma_f32 v52, v212, v7, v52
	v_mul_lo_u32 v7, v58, v209
	v_fma_f32 v19, v212, v224, v19
	v_fmac_f32_e32 v18, v213, v225
	v_fma_f32 v48, v212, v222, v48
	v_fmac_f32_e32 v47, v213, v223
	;; [unrolled: 2-line block ×3, first 2 shown]
	v_fmac_f32_e32 v51, v213, v1
	v_mad_u64_u32 v[212:213], null, v188, v205, v[7:8]
	v_mul_lo_u32 v7, v169, v209
	v_cvt_f32_i32_e32 v1, v212
	v_mad_u64_u32 v[220:221], null, v199, v205, v[7:8]
	v_mul_lo_u32 v7, v61, v210
	v_fma_mix_f32 v1, v226, v1, -v12 op_sel_hi:[1,0,0]
	v_cvt_f32_i32_e32 v12, v67
	v_mul_f32_e32 v12, v218, v12
	v_mad_u64_u32 v[221:222], null, v185, v206, v[7:8]
	v_mul_lo_u32 v7, v62, v211
	v_cvt_f32_i32_e32 v16, v221
	v_mad_u64_u32 v[61:62], null, v186, v207, v[7:8]
	v_mul_lo_u32 v7, v63, v208
	v_fma_mix_f32 v11, v217, v16, -v11 op_sel_hi:[1,0,0]
	v_cvt_f32_i32_e32 v16, v66
	v_cvt_f32_i32_e32 v61, v61
	v_mul_f32_e32 v16, v216, v16
	v_mad_u64_u32 v[62:63], null, v187, v200, v[7:8]
	v_mul_lo_u32 v7, v168, v210
	v_cvt_f32_i32_e32 v62, v62
	v_mad_u64_u32 v[168:169], null, v196, v206, v[7:8]
	v_mul_lo_u32 v7, v170, v211
	v_fma_mix_f32 v62, v214, v62, -v9 op_sel_hi:[1,0,0]
	v_cvt_f32_i32_e32 v58, v168
	v_mad_u64_u32 v[169:170], null, v197, v207, v[7:8]
	v_mul_lo_u32 v7, v172, v208
	v_fma_mix_f32 v12, v217, v58, -v12 op_sel_hi:[1,0,0]
	v_fma_mix_f32 v58, v215, v61, -v10 op_sel_hi:[1,0,0]
	v_cvt_f32_i32_e32 v10, v65
	v_cvt_f32_i32_e32 v63, v169
	v_mad_u64_u32 v[185:186], null, v198, v200, v[7:8]
	v_mul_f32_e32 v10, v69, v10
	v_cvt_f32_i32_e32 v7, v220
	v_fma_mix_f32 v16, v215, v63, -v16 op_sel_hi:[1,0,0]
	v_cvt_f32_i32_e32 v85, v185
	v_fma_mix_f32 v7, v226, v7, -v68 op_sel_hi:[1,0,0]
	v_fma_mix_f32 v61, v214, v85, -v10 op_sel_hi:[1,0,0]
	ds_read2_b32 v[9:10], v3 offset0:64 offset1:96
	s_waitcnt lgkmcnt(0)
	v_fmac_f32_e32 v43, v10, v7
	v_mul_lo_u32 v7, v161, v209
	v_fma_f32 v44, v9, v1, v44
	v_fma_f32 v46, v9, v11, v46
	v_fmac_f32_e32 v45, v10, v12
	v_fma_f32 v40, v9, v58, v40
	v_fmac_f32_e32 v39, v10, v16
	;; [unrolled: 2-line block ×3, first 2 shown]
	v_mad_u64_u32 v[9:10], null, v195, v205, v[7:8]
	v_mul_lo_u32 v7, v177, v209
	v_cvt_f32_i32_e32 v1, v9
	v_mad_u64_u32 v[10:11], null, v204, v205, v[7:8]
	v_mul_lo_u32 v7, v163, v210
	v_fma_mix_f32 v1, v226, v1, -v60 op_sel_hi:[1,0,0]
	v_cvt_f32_i32_e32 v60, v174
	v_mul_f32_e32 v60, v218, v60
	v_mad_u64_u32 v[11:12], null, v191, v206, v[7:8]
	v_mul_lo_u32 v7, v164, v211
	v_cvt_f32_i32_e32 v9, v11
	v_mad_u64_u32 v[61:62], null, v192, v207, v[7:8]
	v_mul_lo_u32 v7, v165, v208
	v_cvt_f32_i32_e32 v11, v61
	v_cvt_f32_i32_e32 v61, v175
	v_mad_u64_u32 v[62:63], null, v193, v200, v[7:8]
	v_mul_lo_u32 v7, v176, v210
	v_mul_f32_e32 v61, v219, v61
	v_cvt_f32_i32_e32 v16, v62
	v_mad_u64_u32 v[65:66], null, v201, v206, v[7:8]
	v_mul_lo_u32 v7, v178, v211
	v_mad_u64_u32 v[66:67], null, v202, v207, v[7:8]
	v_mul_lo_u32 v7, v179, v208
	v_cvt_f32_i32_e32 v12, v66
	v_mad_u64_u32 v[67:68], null, v203, v200, v[7:8]
	v_cvt_f32_i32_e32 v7, v10
	v_cvt_f32_i32_e32 v10, v65
	v_fma_mix_f32 v7, v226, v7, -v61 op_sel_hi:[1,0,0]
	v_fma_mix_f32 v60, v217, v10, -v60 op_sel_hi:[1,0,0]
	v_cvt_f32_i32_e32 v10, v59
	v_cvt_f32_i32_e32 v58, v67
	v_mul_f32_e32 v10, v218, v10
	v_fma_mix_f32 v59, v217, v9, -v10 op_sel_hi:[1,0,0]
	v_cvt_f32_i32_e32 v9, v173
	v_mul_f32_e32 v9, v216, v9
	v_fma_mix_f32 v12, v215, v12, -v9 op_sel_hi:[1,0,0]
	;; [unrolled: 3-line block ×5, first 2 shown]
	ds_read2_b32 v[9:10], v3 offset0:128 offset1:160
	s_waitcnt lgkmcnt(0)
	v_fmac_f32_e32 v33, v10, v7
	v_mul_lo_u32 v7, v56, v209
	v_fma_f32 v34, v9, v1, v34
	v_fma_f32 v36, v9, v59, v36
	v_fmac_f32_e32 v35, v10, v60
	v_fma_f32 v38, v9, v11, v38
	v_fmac_f32_e32 v37, v10, v12
	;; [unrolled: 2-line block ×3, first 2 shown]
	v_mad_u64_u32 v[9:10], null, v183, v205, v[7:8]
	v_mul_lo_u32 v7, v167, v209
	v_cvt_f32_i32_e32 v1, v9
	v_cvt_f32_i32_e32 v9, v64
	v_mad_u64_u32 v[10:11], null, v194, v205, v[7:8]
	v_mul_lo_u32 v7, v53, v210
	v_mul_f32_e32 v9, v219, v9
	v_mad_u64_u32 v[11:12], null, v182, v206, v[7:8]
	v_mul_lo_u32 v7, v166, v210
	v_cvt_f32_i32_e32 v12, v13
	v_mul_f32_e32 v12, v69, v12
	v_mad_u64_u32 v[53:54], null, v190, v206, v[7:8]
	v_mul_lo_u32 v7, v17, v211
	v_mad_u64_u32 v[16:17], null, v181, v207, v[7:8]
	v_mul_lo_u32 v7, v162, v211
	;; [unrolled: 2-line block ×4, first 2 shown]
	v_mad_u64_u32 v[58:59], null, v184, v200, v[7:8]
	v_cvt_f32_i32_e32 v8, v8
	v_cvt_f32_i32_e32 v7, v10
	;; [unrolled: 1-line block ×3, first 2 shown]
	v_mul_f32_e32 v8, v219, v8
	v_fma_mix_f32 v7, v226, v7, -v9 op_sel_hi:[1,0,0]
	v_cvt_f32_i32_e32 v9, v53
	v_mul_f32_e32 v10, v218, v10
	v_fma_mix_f32 v1, v226, v1, -v8 op_sel_hi:[1,0,0]
	v_cvt_f32_i32_e32 v8, v11
	v_cvt_f32_i32_e32 v11, v14
	v_fma_mix_f32 v9, v217, v9, -v10 op_sel_hi:[1,0,0]
	v_cvt_f32_i32_e32 v10, v56
	v_fma_mix_f32 v6, v217, v8, -v6 op_sel_hi:[1,0,0]
	v_cvt_f32_i32_e32 v8, v16
	v_mul_f32_e32 v11, v216, v11
	v_fma_mix_f32 v8, v215, v8, -v5 op_sel_hi:[1,0,0]
	v_fma_mix_f32 v10, v215, v10, -v11 op_sel_hi:[1,0,0]
	v_cvt_f32_i32_e32 v5, v57
	v_cvt_f32_i32_e32 v11, v58
	v_fma_mix_f32 v11, v214, v11, -v12 op_sel_hi:[1,0,0]
	v_fma_mix_f32 v12, v214, v5, -v4 op_sel_hi:[1,0,0]
	ds_read2_b32 v[4:5], v3 offset0:192 offset1:224
	v_add_nc_u32_e32 v3, 4, v3
	s_waitcnt lgkmcnt(0)
	v_fma_f32 v24, v4, v1, v24
	v_fmac_f32_e32 v23, v5, v7
	v_fma_f32 v26, v4, v6, v26
	v_fmac_f32_e32 v25, v5, v9
	;; [unrolled: 2-line block ×4, first 2 shown]
	s_cbranch_scc1 .LBB147_9
; %bb.10:                               ;   in Loop: Header=BB147_6 Depth=1
	s_or_b32 s1, s11, 1
	s_cmp_ge_i32 s1, s4
	s_barrier
	buffer_gl0_inv
	s_cbranch_scc1 .LBB147_5
; %bb.11:                               ;   in Loop: Header=BB147_6 Depth=1
	v_add_nc_u32_e32 v1, s0, v124
	v_add_nc_u32_e32 v12, 8, v159
	s_mov_b32 s1, 16
	v_add_nc_u32_e32 v2, v1, v115
	v_add_nc_u32_e32 v4, v1, v116
	;; [unrolled: 1-line block ×5, first 2 shown]
	v_mad_u64_u32 v[12:13], null, v12, 36, s[2:3]
	v_mad_i64_i32 v[2:3], null, v2, 36, v[21:22]
	v_add_nc_u32_e32 v14, v1, v120
	v_mad_i64_i32 v[4:5], null, v4, 36, v[21:22]
	v_add_nc_u32_e32 v16, v1, v121
	;; [unrolled: 2-line block ×3, first 2 shown]
	v_mad_i64_i32 v[8:9], null, v8, 36, v[21:22]
	v_mad_i64_i32 v[10:11], null, v10, 36, v[21:22]
	;; [unrolled: 1-line block ×5, first 2 shown]
	s_clause 0x8
	global_load_dword v1, v[12:13], off
	global_load_dword v12, v[2:3], off offset:4
	global_load_dword v4, v[4:5], off offset:4
	;; [unrolled: 1-line block ×8, first 2 shown]
	v_mov_b32_e32 v2, v132
	v_mov_b32_e32 v3, v127
	s_waitcnt vmcnt(8)
	v_cvt_f32_f16_e32 v1, v1
	s_waitcnt vmcnt(7)
	ds_write_b32 v141, v12
	s_waitcnt vmcnt(6)
	ds_write_b32 v142, v4
	;; [unrolled: 2-line block ×8, first 2 shown]
	ds_write_b32 v114, v1
	s_waitcnt lgkmcnt(0)
	s_barrier
	buffer_gl0_inv
.LBB147_12:                             ;   Parent Loop BB147_6 Depth=1
                                        ; =>  This Inner Loop Header: Depth=2
	s_and_b32 s15, s1, 0x3ffffff8
	s_add_i32 s14, s1, -16
	v_lshl_add_u32 v1, s15, 2, v126
	s_and_b32 s15, s1, -16
	v_mov_b32_e32 v209, 0
	s_add_i32 s15, s1, s15
	v_mov_b32_e32 v216, 0
	ds_read2_b32 v[4:5], v1 offset1:1
	v_mov_b32_e32 v210, 0
	v_mov_b32_e32 v215, 0
	;; [unrolled: 1-line block ×19, first 2 shown]
	s_waitcnt lgkmcnt(0)
	v_ashrrev_i32_e32 v6, s14, v4
	v_ashrrev_i32_e32 v7, s14, v5
	ds_read2_b32 v[4:5], v1 offset0:2 offset1:3
	v_mov_b32_e32 v57, 0
	v_mov_b32_e32 v61, 0
	v_and_b32_e32 v69, 0x3030303, v6
	v_and_b32_e32 v85, 0x3030303, v7
	v_mov_b32_e32 v62, 0
	v_mov_b32_e32 v63, 0
	;; [unrolled: 1-line block ×15, first 2 shown]
	s_waitcnt lgkmcnt(0)
	v_ashrrev_i32_e32 v8, s14, v4
	v_add_nc_u32_e32 v4, 0x1080, v1
	v_ashrrev_i32_e32 v9, s14, v5
	v_mov_b32_e32 v179, 0
	v_mov_b32_e32 v227, 0
	v_and_b32_e32 v86, 0x3030303, v8
	ds_read2_b32 v[4:5], v4 offset1:1
	v_and_b32_e32 v87, 0x3030303, v9
	v_mov_b32_e32 v9, 0
	v_mov_b32_e32 v241, 0
	;; [unrolled: 1-line block ×16, first 2 shown]
	ds_read_b128 v[196:199], v2 offset:4112
	ds_read_b128 v[175:178], v2 offset:6144
	s_waitcnt lgkmcnt(2)
	v_ashrrev_i32_e32 v10, s14, v4
	v_add_nc_u32_e32 v4, 0x1088, v1
	v_ashrrev_i32_e32 v11, s14, v5
	ds_read_b128 v[180:183], v2 offset:7168
	ds_read_b128 v[223:226], v2 offset:5136
	v_and_b32_e32 v94, 0x3030303, v10
	ds_read2_b32 v[4:5], v4 offset1:1
	v_and_b32_e32 v168, 0x3030303, v11
	v_mov_b32_e32 v11, 0
	v_mov_b32_e32 v10, 0
	s_waitcnt lgkmcnt(3)
	v_dot4c_i32_i8 v165, v69, v175
	v_dot4c_i32_i8 v166, v94, v175
	s_waitcnt lgkmcnt(2)
	v_dot4c_i32_i8 v179, v94, v180
	v_dot4c_i32_i8 v165, v85, v176
	;; [unrolled: 1-line block ×3, first 2 shown]
	s_waitcnt lgkmcnt(0)
	v_ashrrev_i32_e32 v12, s14, v4
	v_add_nc_u32_e32 v4, 0x2100, v1
	v_ashrrev_i32_e32 v13, s14, v5
	v_dot4c_i32_i8 v179, v168, v181
	v_dot4c_i32_i8 v165, v86, v177
	v_and_b32_e32 v169, 0x3030303, v12
	ds_read2_b32 v[4:5], v4 offset1:1
	v_and_b32_e32 v172, 0x3030303, v13
	v_mov_b32_e32 v13, 0
	v_mov_b32_e32 v12, 0
	v_dot4c_i32_i8 v166, v169, v177
	v_dot4c_i32_i8 v179, v169, v182
	;; [unrolled: 1-line block ×5, first 2 shown]
	s_waitcnt lgkmcnt(0)
	v_ashrrev_i32_e32 v14, s14, v4
	v_add_nc_u32_e32 v4, 0x2108, v1
	v_ashrrev_i32_e32 v15, s14, v5
	v_and_b32_e32 v184, 0x3030303, v14
	ds_read2_b32 v[4:5], v4 offset1:1
	v_and_b32_e32 v185, 0x3030303, v15
	v_mov_b32_e32 v14, 0
	v_mov_b32_e32 v15, 0
	v_dot4c_i32_i8 v167, v184, v175
	v_dot4c_i32_i8 v167, v185, v176
	s_waitcnt lgkmcnt(0)
	v_ashrrev_i32_e32 v16, s14, v4
	v_add_nc_u32_e32 v4, 0x3180, v1
	v_ashrrev_i32_e32 v17, s14, v5
	v_and_b32_e32 v186, 0x3030303, v16
	ds_read2_b32 v[4:5], v4 offset1:1
	v_and_b32_e32 v187, 0x3030303, v17
	v_mov_b32_e32 v16, 0
	v_mov_b32_e32 v17, 0
	v_dot4c_i32_i8 v167, v186, v177
	v_dot4c_i32_i8 v167, v187, v178
	s_waitcnt lgkmcnt(0)
	v_ashrrev_i32_e32 v53, s14, v4
	v_add_nc_u32_e32 v4, 0x3188, v1
	v_ashrrev_i32_e32 v54, s14, v5
	v_and_b32_e32 v188, 0x3030303, v53
	ds_read2_b32 v[4:5], v4 offset1:1
	v_and_b32_e32 v189, 0x3030303, v54
	v_dot4c_i32_i8 v65, v188, v175
	v_dot4c_i32_i8 v65, v189, v176
	s_waitcnt lgkmcnt(0)
	v_ashrrev_i32_e32 v55, s14, v5
	v_add_nc_u32_e32 v5, s15, v128
	v_ashrrev_i32_e32 v4, s14, v4
	v_and_b32_e32 v191, 0x3030303, v55
	ds_read_u16 v206, v5 offset:25072
	v_add_nc_u32_e32 v5, s15, v129
	v_and_b32_e32 v190, 0x3030303, v4
	v_mov_b32_e32 v4, 0
	ds_read_b128 v[53:56], v2 offset:2048
	ds_read_u16 v208, v5 offset:26096
	v_add_nc_u32_e32 v5, s15, v130
	v_dot4c_i32_i8 v65, v190, v177
	ds_read_u16 v205, v5 offset:27120
	v_add_nc_u32_e32 v5, s15, v131
	v_dot4c_i32_i8 v65, v191, v178
	ds_read_u16 v204, v5 offset:28144
	s_waitcnt lgkmcnt(4)
	v_bfe_u32 v5, v206, 4, 4
	v_and_b32_sdwa v233, v157, v206 dst_sel:DWORD dst_unused:UNUSED_PAD src0_sel:DWORD src1_sel:BYTE_1
	v_and_b32_e32 v206, 15, v206
	s_waitcnt lgkmcnt(3)
	v_dot4c_i32_i8 v11, v69, v53
	v_mul_lo_u32 v89, 0x1010101, v5
	s_waitcnt lgkmcnt(2)
	v_bfe_u32 v5, v208, 4, 4
	v_dot4c_i32_i8 v13, v94, v53
	v_dot4c_i32_i8 v14, v184, v53
	v_dot4c_i32_i8 v16, v188, v53
	v_dot4c_i32_i8 v11, v85, v54
	v_mul_lo_u32 v90, 0x1010101, v5
	s_waitcnt lgkmcnt(1)
	v_bfe_u32 v5, v205, 4, 4
	v_dot4c_i32_i8 v13, v168, v54
	v_dot4c_i32_i8 v14, v185, v54
	v_dot4c_i32_i8 v16, v189, v54
	;; [unrolled: 7-line block ×3, first 2 shown]
	v_dot4c_i32_i8 v11, v87, v56
	v_mul_lo_u32 v92, 0x1010101, v5
	ds_read_b128 v[5:8], v2
	v_dot4c_i32_i8 v13, v172, v56
	v_dot4c_i32_i8 v14, v187, v56
	;; [unrolled: 1-line block ×3, first 2 shown]
	v_and_b32_sdwa v235, v157, v208 dst_sel:DWORD dst_unused:UNUSED_PAD src0_sel:DWORD src1_sel:BYTE_1
	v_and_b32_sdwa v237, v157, v205 dst_sel:DWORD dst_unused:UNUSED_PAD src0_sel:DWORD src1_sel:BYTE_1
	;; [unrolled: 1-line block ×3, first 2 shown]
	v_and_b32_e32 v208, 15, v208
	v_and_b32_e32 v204, 15, v204
	s_waitcnt lgkmcnt(0)
	v_dot4c_i32_i8 v209, v69, v5
	v_dot4c_i32_i8 v216, v89, v5
	v_dot4c_i32_i8 v210, v94, v5
	v_dot4c_i32_i8 v215, v90, v5
	v_dot4c_i32_i8 v212, v184, v5
	v_dot4c_i32_i8 v214, v91, v5
	v_dot4c_i32_i8 v213, v188, v5
	v_dot4c_i32_i8 v4, v92, v5
	v_dot4c_i32_i8 v209, v85, v6
	v_dot4c_i32_i8 v216, v89, v6
	v_dot4c_i32_i8 v210, v168, v6
	v_dot4c_i32_i8 v215, v90, v6
	v_dot4c_i32_i8 v212, v185, v6
	v_dot4c_i32_i8 v214, v91, v6
	v_dot4c_i32_i8 v213, v189, v6
	v_dot4c_i32_i8 v4, v92, v6
	v_dot4c_i32_i8 v209, v86, v7
	v_dot4c_i32_i8 v216, v89, v7
	v_dot4c_i32_i8 v210, v169, v7
	v_dot4c_i32_i8 v215, v90, v7
	v_dot4c_i32_i8 v212, v186, v7
	v_dot4c_i32_i8 v214, v91, v7
	v_dot4c_i32_i8 v213, v190, v7
	v_dot4c_i32_i8 v4, v92, v7
	v_dot4c_i32_i8 v209, v87, v8
	v_dot4c_i32_i8 v216, v89, v8
	v_dot4c_i32_i8 v210, v172, v8
	v_dot4c_i32_i8 v215, v90, v8
	v_dot4c_i32_i8 v212, v187, v8
	v_dot4c_i32_i8 v214, v91, v8
	v_dot4c_i32_i8 v213, v191, v8
	v_dot4c_i32_i8 v4, v92, v8
	ds_read_b128 v[5:8], v2 offset:1024
	s_waitcnt lgkmcnt(0)
	v_dot4c_i32_i8 v211, v69, v5
	v_dot4c_i32_i8 v219, v89, v5
	;; [unrolled: 1-line block ×32, first 2 shown]
	v_mov_b32_e32 v8, 0
	v_mov_b32_e32 v7, 0
	;; [unrolled: 1-line block ×4, first 2 shown]
	v_mul_lo_u32 v211, v206, v211
	v_dot4c_i32_i8 v8, v89, v53
	v_dot4c_i32_i8 v7, v90, v53
	v_dot4c_i32_i8 v6, v91, v53
	v_dot4c_i32_i8 v5, v92, v53
	v_dot4c_i32_i8 v8, v89, v54
	v_dot4c_i32_i8 v7, v90, v54
	v_dot4c_i32_i8 v6, v91, v54
	v_dot4c_i32_i8 v5, v92, v54
	v_dot4c_i32_i8 v8, v89, v55
	v_dot4c_i32_i8 v7, v90, v55
	v_dot4c_i32_i8 v6, v91, v55
	v_dot4c_i32_i8 v5, v92, v55
	v_dot4c_i32_i8 v8, v89, v56
	v_dot4c_i32_i8 v7, v90, v56
	v_dot4c_i32_i8 v6, v91, v56
	v_dot4c_i32_i8 v5, v92, v56
	ds_read_b128 v[53:56], v2 offset:3072
	s_waitcnt lgkmcnt(0)
	v_dot4c_i32_i8 v67, v69, v53
	v_dot4c_i32_i8 v60, v89, v53
	v_dot4c_i32_i8 v161, v94, v53
	v_dot4c_i32_i8 v59, v90, v53
	v_dot4c_i32_i8 v162, v184, v53
	v_dot4c_i32_i8 v58, v91, v53
	v_dot4c_i32_i8 v68, v188, v53
	v_dot4c_i32_i8 v57, v92, v53
	v_dot4c_i32_i8 v67, v85, v54
	v_dot4c_i32_i8 v60, v89, v54
	v_dot4c_i32_i8 v161, v168, v54
	v_dot4c_i32_i8 v59, v90, v54
	v_dot4c_i32_i8 v162, v185, v54
	v_dot4c_i32_i8 v58, v91, v54
	v_dot4c_i32_i8 v68, v189, v54
	v_dot4c_i32_i8 v57, v92, v54
	v_dot4c_i32_i8 v67, v86, v55
	v_dot4c_i32_i8 v60, v89, v55
	v_dot4c_i32_i8 v161, v169, v55
	v_dot4c_i32_i8 v59, v90, v55
	v_dot4c_i32_i8 v162, v186, v55
	v_dot4c_i32_i8 v58, v91, v55
	v_dot4c_i32_i8 v68, v190, v55
	v_dot4c_i32_i8 v57, v92, v55
	v_dot4c_i32_i8 v67, v87, v56
	v_dot4c_i32_i8 v60, v89, v56
	v_dot4c_i32_i8 v161, v172, v56
	v_dot4c_i32_i8 v59, v90, v56
	v_dot4c_i32_i8 v162, v187, v56
	v_dot4c_i32_i8 v58, v91, v56
	v_dot4c_i32_i8 v68, v191, v56
	v_dot4c_i32_i8 v57, v92, v56
	ds_read_b128 v[53:56], v2 offset:4096
	s_waitcnt lgkmcnt(0)
	v_dot4c_i32_i8 v61, v69, v53
	v_dot4c_i32_i8 v17, v89, v53
	v_dot4c_i32_i8 v62, v94, v53
	v_dot4c_i32_i8 v15, v90, v53
	v_dot4c_i32_i8 v63, v184, v53
	v_dot4c_i32_i8 v12, v91, v53
	v_dot4c_i32_i8 v64, v188, v53
	v_dot4c_i32_i8 v10, v92, v53
	v_dot4c_i32_i8 v61, v85, v54
	v_dot4c_i32_i8 v17, v89, v54
	v_dot4c_i32_i8 v62, v168, v54
	v_dot4c_i32_i8 v15, v90, v54
	v_dot4c_i32_i8 v63, v185, v54
	v_dot4c_i32_i8 v12, v91, v54
	v_dot4c_i32_i8 v64, v189, v54
	v_dot4c_i32_i8 v10, v92, v54
	;; [unrolled: 34-line block ×3, first 2 shown]
	v_dot4c_i32_i8 v170, v86, v55
	v_dot4c_i32_i8 v164, v89, v55
	;; [unrolled: 1-line block ×16, first 2 shown]
	v_mov_b32_e32 v56, 0
	v_mov_b32_e32 v55, 0
	;; [unrolled: 1-line block ×5, first 2 shown]
	v_dot4c_i32_i8 v56, v89, v175
	v_dot4c_i32_i8 v55, v90, v175
	v_dot4c_i32_i8 v54, v91, v175
	v_dot4c_i32_i8 v53, v92, v175
	v_mov_b32_e32 v175, 0
	v_dot4c_i32_i8 v56, v89, v176
	v_dot4c_i32_i8 v55, v90, v176
	v_dot4c_i32_i8 v54, v91, v176
	v_dot4c_i32_i8 v53, v92, v176
	v_mov_b32_e32 v176, 0
	;; [unrolled: 5-line block ×4, first 2 shown]
	v_mov_b32_e32 v169, 0
	v_mov_b32_e32 v168, 0
	v_dot4c_i32_i8 v177, v184, v180
	v_dot4c_i32_i8 v176, v188, v180
	;; [unrolled: 1-line block ×14, first 2 shown]
	ds_read2_b32 v[180:181], v1 offset0:4 offset1:5
	v_dot4c_i32_i8 v175, v89, v182
	v_dot4c_i32_i8 v178, v86, v182
	;; [unrolled: 1-line block ×6, first 2 shown]
	v_add_nc_u32_e32 v89, 0x1090, v1
	v_dot4c_i32_i8 v178, v87, v183
	v_dot4c_i32_i8 v169, v91, v183
	v_add_nc_u32_e32 v91, 0x1098, v1
	v_dot4c_i32_i8 v172, v90, v183
	v_add_nc_u32_e32 v94, 0x2110, v1
	v_dot4c_i32_i8 v168, v92, v183
	v_dot4c_i32_i8 v177, v186, v182
	;; [unrolled: 1-line block ×3, first 2 shown]
	v_mov_b32_e32 v190, 0
	v_dot4c_i32_i8 v177, v187, v183
	s_waitcnt lgkmcnt(0)
	v_ashrrev_i32_e32 v69, s14, v180
	v_ashrrev_i32_e32 v85, s14, v181
	ds_read2_b32 v[180:181], v1 offset0:6 offset1:7
	v_dot4c_i32_i8 v176, v191, v183
	v_mov_b32_e32 v191, 0
	v_and_b32_e32 v69, 0x3030303, v69
	v_and_b32_e32 v85, 0x3030303, v85
	v_dot4c_i32_i8 v200, v69, v223
	v_dot4c_i32_i8 v200, v85, v224
	s_waitcnt lgkmcnt(0)
	v_ashrrev_i32_e32 v86, s14, v180
	v_ashrrev_i32_e32 v87, s14, v181
	ds_read2_b32 v[180:181], v89 offset1:1
	v_and_b32_e32 v86, 0x3030303, v86
	v_and_b32_e32 v87, 0x3030303, v87
	v_dot4c_i32_i8 v200, v86, v225
	v_dot4c_i32_i8 v200, v87, v226
	s_waitcnt lgkmcnt(0)
	v_ashrrev_i32_e32 v89, s14, v180
	v_ashrrev_i32_e32 v90, s14, v181
	ds_read2_b32 v[180:181], v91 offset1:1
	v_and_b32_e32 v89, 0x3030303, v89
	v_and_b32_e32 v90, 0x3030303, v90
	s_waitcnt lgkmcnt(0)
	v_ashrrev_i32_e32 v91, s14, v180
	v_ashrrev_i32_e32 v92, s14, v181
	ds_read2_b32 v[180:181], v94 offset1:1
	v_and_b32_e32 v91, 0x3030303, v91
	v_and_b32_e32 v92, 0x3030303, v92
	s_waitcnt lgkmcnt(0)
	v_ashrrev_i32_e32 v94, s14, v180
	v_add_nc_u32_e32 v180, 0x2118, v1
	v_ashrrev_i32_e32 v184, s14, v181
	v_and_b32_e32 v94, 0x3030303, v94
	ds_read2_b32 v[180:181], v180 offset1:1
	v_and_b32_e32 v207, 0x3030303, v184
	v_lshrrev_b32_e32 v184, 4, v233
	v_mul_lo_u32 v234, 0x1010101, v184
	v_lshrrev_b32_e32 v184, 4, v235
	v_mul_lo_u32 v236, 0x1010101, v184
	v_lshrrev_b32_e32 v184, 4, v237
	v_dot4c_i32_i8 v17, v234, v196
	v_dot4c_i32_i8 v164, v234, v223
	v_mul_lo_u32 v238, 0x1010101, v184
	s_waitcnt lgkmcnt(0)
	v_ashrrev_i32_e32 v185, s14, v180
	v_add_nc_u32_e32 v180, 0x3190, v1
	v_ashrrev_i32_e32 v186, s14, v181
	v_add_nc_u32_e32 v1, 0x3198, v1
	v_lshrrev_b32_e32 v184, 4, v239
	v_and_b32_e32 v228, 0x3030303, v185
	ds_read2_b32 v[180:181], v180 offset1:1
	v_and_b32_e32 v229, 0x3030303, v186
	v_dot4c_i32_i8 v15, v236, v196
	v_mul_lo_u32 v240, 0x1010101, v184
	v_dot4c_i32_i8 v12, v238, v196
	v_dot4c_i32_i8 v17, v234, v197
	;; [unrolled: 1-line block ×16, first 2 shown]
	s_waitcnt lgkmcnt(0)
	v_ashrrev_i32_e32 v187, s14, v180
	v_ashrrev_i32_e32 v188, s14, v181
	ds_read2_b32 v[180:181], v1 offset1:1
	v_dot4c_i32_i8 v10, v240, v198
	v_dot4c_i32_i8 v163, v236, v224
	v_and_b32_e32 v230, 0x3030303, v187
	v_and_b32_e32 v231, 0x3030303, v188
	ds_read_b128 v[184:187], v2 offset:2064
	v_mov_b32_e32 v188, 0
	v_dot4c_i32_i8 v10, v240, v199
	v_dot4c_i32_i8 v160, v238, v224
	;; [unrolled: 1-line block ×13, first 2 shown]
	s_waitcnt lgkmcnt(1)
	v_ashrrev_i32_e32 v1, s14, v180
	v_ashrrev_i32_e32 v189, s14, v181
	ds_read_b128 v[180:183], v2 offset:16
	v_dot4c_i32_i8 v188, v86, v198
	s_lshr_b32 s14, s1, 2
	v_and_b32_e32 v1, 0x3030303, v1
	v_and_b32_e32 v232, 0x3030303, v189
	s_waitcnt lgkmcnt(1)
	v_dot4c_i32_i8 v8, v234, v184
	v_dot4c_i32_i8 v7, v236, v184
	;; [unrolled: 1-line block ×4, first 2 shown]
	v_mov_b32_e32 v189, 0
	v_dot4c_i32_i8 v8, v234, v185
	v_dot4c_i32_i8 v7, v236, v185
	;; [unrolled: 1-line block ×9, first 2 shown]
	s_and_b32 s14, s14, 0x3ffffffc
	s_waitcnt lgkmcnt(0)
	v_dot4c_i32_i8 v227, v69, v180
	v_dot4c_i32_i8 v241, v89, v180
	;; [unrolled: 1-line block ×32, first 2 shown]
	ds_read_b128 v[180:183], v2 offset:1040
	v_dot4c_i32_i8 v8, v234, v187
	v_dot4c_i32_i8 v7, v236, v187
	;; [unrolled: 1-line block ×4, first 2 shown]
	s_addk_i32 s14, 0x7280
	v_cvt_f32_i32_e32 v4, v4
	s_waitcnt lgkmcnt(0)
	v_dot4c_i32_i8 v244, v69, v180
	v_dot4c_i32_i8 v245, v89, v180
	;; [unrolled: 1-line block ×32, first 2 shown]
	v_mov_b32_e32 v183, 0
	v_mov_b32_e32 v182, 0
	;; [unrolled: 1-line block ×4, first 2 shown]
	v_dot4c_i32_i8 v183, v69, v184
	v_dot4c_i32_i8 v182, v89, v184
	;; [unrolled: 1-line block ×16, first 2 shown]
	ds_read_b128 v[184:187], v2 offset:3088
	s_waitcnt lgkmcnt(0)
	v_dot4c_i32_i8 v195, v69, v184
	v_dot4c_i32_i8 v194, v89, v184
	;; [unrolled: 1-line block ×32, first 2 shown]
	v_mov_b32_e32 v187, 0
	v_mov_b32_e32 v185, 0
	;; [unrolled: 1-line block ×4, first 2 shown]
	v_cvt_f32_i32_e32 v60, v60
	v_dot4c_i32_i8 v187, v89, v196
	v_dot4c_i32_i8 v185, v94, v196
	;; [unrolled: 1-line block ×3, first 2 shown]
	v_mov_b32_e32 v196, 0
	v_dot4c_i32_i8 v187, v90, v197
	v_dot4c_i32_i8 v185, v207, v197
	;; [unrolled: 1-line block ×4, first 2 shown]
	v_mov_b32_e32 v197, 0
	v_dot4c_i32_i8 v187, v91, v198
	v_dot4c_i32_i8 v185, v228, v198
	;; [unrolled: 1-line block ×3, first 2 shown]
	v_mov_b32_e32 v198, 0
	v_dot4c_i32_i8 v196, v231, v224
	v_dot4c_i32_i8 v187, v92, v199
	;; [unrolled: 1-line block ×4, first 2 shown]
	v_mov_b32_e32 v199, 0
	v_dot4c_i32_i8 v198, v94, v223
	v_dot4c_i32_i8 v196, v1, v225
	;; [unrolled: 1-line block ×10, first 2 shown]
	ds_read_b128 v[223:226], v2 offset:6160
	s_waitcnt lgkmcnt(0)
	v_dot4c_i32_i8 v192, v69, v223
	v_dot4c_i32_i8 v191, v89, v223
	;; [unrolled: 1-line block ×32, first 2 shown]
	ds_read_b128 v[223:226], v2 offset:7184
	v_add_nc_u32_e32 v2, 32, v2
	s_waitcnt lgkmcnt(0)
	v_dot4c_i32_i8 v201, v94, v223
	v_dot4c_i32_i8 v203, v69, v223
	;; [unrolled: 1-line block ×9, first 2 shown]
	v_and_b32_e32 v207, 15, v233
	v_dot4c_i32_i8 v203, v85, v224
	v_dot4c_i32_i8 v202, v90, v224
	;; [unrolled: 1-line block ×7, first 2 shown]
	v_mad_u64_u32 v[223:224], null, v207, v244, v[211:212]
	v_mul_lo_u32 v211, v207, v227
	v_dot4c_i32_i8 v203, v86, v225
	v_dot4c_i32_i8 v202, v91, v225
	;; [unrolled: 1-line block ×8, first 2 shown]
	v_mad_u64_u32 v[224:225], null, v206, v209, v[211:212]
	v_mul_lo_u32 v211, v208, v222
	v_and_b32_e32 v209, 15, v235
	v_dot4c_i32_i8 v203, v87, v226
	v_dot4c_i32_i8 v202, v92, v226
	;; [unrolled: 1-line block ×8, first 2 shown]
	v_mad_u64_u32 v[226:227], null, v209, v245, v[211:212]
	v_add3_u32 v1, s14, v149, v150
	v_cvt_f32_i32_e32 v225, v223
	v_cvt_f32_i32_e32 v224, v224
	v_mul_lo_u32 v211, v209, v241
	v_cvt_f32_i32_e32 v223, v226
	ds_read_b32 v226, v1
	v_cvt_f32_i32_e32 v1, v219
	v_mad_u64_u32 v[227:228], null, v208, v210, v[211:212]
	v_and_b32_e32 v210, 15, v205
	v_and_b32_e32 v211, 15, v237
	v_mul_lo_u32 v205, v210, v221
	v_mad_u64_u32 v[221:222], null, v211, v246, v[205:206]
	s_waitcnt lgkmcnt(0)
	v_cvt_f32_f16_sdwa v219, v226 dst_sel:DWORD dst_unused:UNUSED_PAD src0_sel:WORD_1
	v_cvt_f32_i32_e32 v222, v227
	v_mul_lo_u32 v205, v211, v242
	v_mul_f32_e32 v1, v219, v1
	v_cvt_f32_i32_e32 v221, v221
	v_mul_f32_e32 v60, v219, v60
	v_fma_mix_f32 v225, v226, v225, -v1 op_sel_hi:[1,0,0]
	v_cvt_f32_i32_e32 v1, v216
	v_mad_u64_u32 v[228:229], null, v210, v212, v[205:206]
	v_and_b32_e32 v205, 15, v239
	v_mul_f32_e32 v1, v219, v1
	v_mul_lo_u32 v212, v205, v243
	v_fma_mix_f32 v224, v226, v224, -v1 op_sel_hi:[1,0,0]
	v_add3_u32 v1, s14, v151, v152
	ds_read_b32 v216, v1
	v_cvt_f32_i32_e32 v1, v218
	v_mad_u64_u32 v[212:213], null, v204, v213, v[212:213]
	v_mul_lo_u32 v213, v204, v220
	v_cvt_f32_i32_e32 v220, v228
	v_cvt_f32_i32_e32 v212, v212
	v_mad_u64_u32 v[229:230], null, v205, v247, v[213:214]
	s_waitcnt lgkmcnt(0)
	v_cvt_f32_f16_sdwa v218, v216 dst_sel:DWORD dst_unused:UNUSED_PAD src0_sel:WORD_1
	v_cvt_f32_i32_e32 v213, v229
	v_mul_f32_e32 v1, v218, v1
	v_fma_mix_f32 v223, v216, v223, -v1 op_sel_hi:[1,0,0]
	v_cvt_f32_i32_e32 v1, v215
	v_mul_f32_e32 v1, v218, v1
	v_fma_mix_f32 v222, v216, v222, -v1 op_sel_hi:[1,0,0]
	v_add3_u32 v1, s14, v153, v154
	ds_read_b32 v215, v1
	v_cvt_f32_i32_e32 v1, v217
	s_waitcnt lgkmcnt(0)
	v_cvt_f32_f16_sdwa v217, v215 dst_sel:DWORD dst_unused:UNUSED_PAD src0_sel:WORD_1
	v_mul_f32_e32 v1, v217, v1
	v_fma_mix_f32 v221, v215, v221, -v1 op_sel_hi:[1,0,0]
	v_cvt_f32_i32_e32 v1, v214
	v_mul_f32_e32 v1, v217, v1
	v_fma_mix_f32 v220, v215, v220, -v1 op_sel_hi:[1,0,0]
	v_add3_u32 v1, s14, v155, v156
	s_add_i32 s14, s1, 2
	s_cmp_lt_u32 s1, 22
	s_mov_b32 s1, s14
	ds_read_b32 v214, v1
	v_cvt_f32_i32_e32 v1, v9
	s_waitcnt lgkmcnt(0)
	v_cvt_f32_f16_sdwa v69, v214 dst_sel:DWORD dst_unused:UNUSED_PAD src0_sel:WORD_1
	v_mul_f32_e32 v1, v69, v1
	v_mul_f32_e32 v4, v69, v4
	v_fma_mix_f32 v1, v214, v213, -v1 op_sel_hi:[1,0,0]
	v_fma_mix_f32 v4, v214, v212, -v4 op_sel_hi:[1,0,0]
	ds_read2_b32 v[212:213], v3 offset1:32
	s_waitcnt lgkmcnt(0)
	v_fma_f32 v52, v212, v4, v52
	v_mul_lo_u32 v4, v67, v206
	v_fma_f32 v19, v212, v224, v19
	v_fmac_f32_e32 v18, v213, v225
	v_fma_f32 v48, v212, v222, v48
	v_fmac_f32_e32 v47, v213, v223
	;; [unrolled: 2-line block ×3, first 2 shown]
	v_fmac_f32_e32 v51, v213, v1
	v_mad_u64_u32 v[212:213], null, v195, v207, v[4:5]
	v_mul_lo_u32 v4, v183, v207
	v_mad_u64_u32 v[220:221], null, v11, v206, v[4:5]
	v_mul_lo_u32 v4, v161, v208
	v_cvt_f32_i32_e32 v1, v220
	v_mad_u64_u32 v[194:195], null, v194, v209, v[4:5]
	v_mul_lo_u32 v4, v182, v209
	v_cvt_f32_i32_e32 v11, v194
	;; [unrolled: 3-line block ×3, first 2 shown]
	v_mad_u64_u32 v[161:162], null, v193, v211, v[4:5]
	v_mul_lo_u32 v4, v180, v211
	v_mad_u64_u32 v[13:14], null, v14, v210, v[4:5]
	v_mul_lo_u32 v4, v181, v205
	v_cvt_f32_i32_e32 v14, v161
	v_cvt_f32_i32_e32 v13, v13
	v_mad_u64_u32 v[180:181], null, v16, v204, v[4:5]
	v_mul_lo_u32 v4, v68, v204
	v_cvt_f32_i32_e32 v16, v180
	v_mad_u64_u32 v[67:68], null, v189, v205, v[4:5]
	v_cvt_f32_i32_e32 v4, v212
	v_fma_mix_f32 v60, v226, v4, -v60 op_sel_hi:[1,0,0]
	v_cvt_f32_i32_e32 v4, v8
	v_cvt_f32_i32_e32 v67, v67
	v_mul_f32_e32 v4, v219, v4
	v_fma_mix_f32 v1, v226, v1, -v4 op_sel_hi:[1,0,0]
	v_cvt_f32_i32_e32 v4, v59
	v_mul_f32_e32 v4, v218, v4
	v_fma_mix_f32 v8, v216, v11, -v4 op_sel_hi:[1,0,0]
	;; [unrolled: 3-line block ×7, first 2 shown]
	ds_read2_b32 v[4:5], v3 offset0:64 offset1:96
	s_waitcnt lgkmcnt(0)
	v_fma_f32 v44, v4, v1, v44
	v_fma_f32 v46, v4, v7, v46
	;; [unrolled: 1-line block ×4, first 2 shown]
	v_mul_lo_u32 v4, v170, v206
	v_fmac_f32_e32 v43, v5, v60
	v_fmac_f32_e32 v45, v5, v8
	;; [unrolled: 1-line block ×4, first 2 shown]
	v_mad_u64_u32 v[4:5], null, v200, v207, v[4:5]
	v_mul_lo_u32 v5, v188, v207
	v_cvt_f32_i32_e32 v4, v4
	v_mad_u64_u32 v[5:6], null, v61, v206, v[5:6]
	v_mul_lo_u32 v6, v173, v208
	v_cvt_f32_i32_e32 v1, v5
	;; [unrolled: 3-line block ×6, first 2 shown]
	v_cvt_f32_i32_e32 v13, v164
	v_mad_u64_u32 v[57:58], null, v64, v204, v[9:10]
	v_mul_lo_u32 v9, v171, v204
	v_mul_f32_e32 v13, v219, v13
	v_fma_mix_f32 v13, v226, v4, -v13 op_sel_hi:[1,0,0]
	v_cvt_f32_i32_e32 v4, v17
	v_mad_u64_u32 v[58:59], null, v196, v205, v[9:10]
	v_cvt_f32_i32_e32 v9, v57
	v_mul_f32_e32 v4, v219, v4
	v_cvt_f32_i32_e32 v11, v58
	v_fma_mix_f32 v1, v226, v1, -v4 op_sel_hi:[1,0,0]
	v_cvt_f32_i32_e32 v4, v163
	v_mul_f32_e32 v4, v218, v4
	v_fma_mix_f32 v6, v216, v6, -v4 op_sel_hi:[1,0,0]
	v_cvt_f32_i32_e32 v4, v15
	v_mul_f32_e32 v4, v218, v4
	;; [unrolled: 3-line block ×6, first 2 shown]
	v_fma_mix_f32 v9, v214, v9, -v4 op_sel_hi:[1,0,0]
	ds_read2_b32 v[4:5], v3 offset0:128 offset1:160
	s_waitcnt lgkmcnt(0)
	v_fma_f32 v34, v4, v1, v34
	v_fma_f32 v36, v4, v14, v36
	;; [unrolled: 1-line block ×4, first 2 shown]
	v_mul_lo_u32 v4, v178, v206
	v_fmac_f32_e32 v33, v5, v13
	v_fmac_f32_e32 v35, v5, v6
	;; [unrolled: 1-line block ×4, first 2 shown]
	v_mad_u64_u32 v[4:5], null, v203, v207, v[4:5]
	v_mul_lo_u32 v5, v192, v207
	v_cvt_f32_i32_e32 v4, v4
	v_mad_u64_u32 v[5:6], null, v165, v206, v[5:6]
	v_mul_lo_u32 v6, v179, v208
	v_cvt_f32_i32_e32 v1, v5
	v_cvt_f32_i32_e32 v5, v175
	v_mad_u64_u32 v[6:7], null, v202, v209, v[6:7]
	v_mul_lo_u32 v7, v191, v209
	v_mul_f32_e32 v5, v219, v5
	v_fma_mix_f32 v13, v226, v4, -v5 op_sel_hi:[1,0,0]
	v_mad_u64_u32 v[7:8], null, v166, v208, v[7:8]
	v_mul_lo_u32 v8, v177, v210
	v_cvt_f32_i32_e32 v5, v6
	v_cvt_f32_i32_e32 v6, v172
	;; [unrolled: 1-line block ×4, first 2 shown]
	v_mad_u64_u32 v[8:9], null, v201, v211, v[8:9]
	v_mul_lo_u32 v9, v190, v211
	v_mul_f32_e32 v6, v218, v6
	v_mul_f32_e32 v7, v218, v7
	v_fma_mix_f32 v6, v216, v5, -v6 op_sel_hi:[1,0,0]
	v_fma_mix_f32 v7, v216, v4, -v7 op_sel_hi:[1,0,0]
	v_mad_u64_u32 v[9:10], null, v167, v210, v[9:10]
	v_mul_lo_u32 v10, v176, v204
	v_cvt_f32_i32_e32 v5, v8
	v_cvt_f32_i32_e32 v8, v169
	;; [unrolled: 1-line block ×4, first 2 shown]
	v_mad_u64_u32 v[10:11], null, v197, v205, v[10:11]
	v_mul_lo_u32 v11, v184, v205
	v_mul_f32_e32 v8, v217, v8
	v_mul_f32_e32 v9, v217, v9
	v_fma_mix_f32 v8, v215, v5, -v8 op_sel_hi:[1,0,0]
	v_fma_mix_f32 v9, v215, v4, -v9 op_sel_hi:[1,0,0]
	v_mad_u64_u32 v[11:12], null, v65, v204, v[11:12]
	v_cvt_f32_i32_e32 v5, v10
	v_cvt_f32_i32_e32 v10, v168
	;; [unrolled: 1-line block ×5, first 2 shown]
	v_mul_f32_e32 v10, v69, v10
	v_mul_f32_e32 v12, v219, v12
	;; [unrolled: 1-line block ×3, first 2 shown]
	v_fma_mix_f32 v10, v214, v5, -v10 op_sel_hi:[1,0,0]
	v_fma_mix_f32 v1, v226, v1, -v12 op_sel_hi:[1,0,0]
	;; [unrolled: 1-line block ×3, first 2 shown]
	ds_read2_b32 v[4:5], v3 offset0:192 offset1:224
	v_add_nc_u32_e32 v3, 4, v3
	s_waitcnt lgkmcnt(0)
	v_fma_f32 v24, v4, v1, v24
	v_fmac_f32_e32 v23, v5, v13
	v_fma_f32 v26, v4, v7, v26
	v_fmac_f32_e32 v25, v5, v6
	v_fma_f32 v28, v4, v9, v28
	v_fmac_f32_e32 v27, v5, v8
	v_fma_f32 v30, v4, v11, v30
	v_fmac_f32_e32 v29, v5, v10
	s_cbranch_scc1 .LBB147_12
; %bb.13:                               ;   in Loop: Header=BB147_6 Depth=1
	v_add_nc_u32_e32 v1, s0, v125
	v_add_nc_u32_e32 v12, 12, v159
	s_barrier
	buffer_gl0_inv
	v_add_nc_u32_e32 v2, v1, v115
	v_add_nc_u32_e32 v4, v1, v116
	;; [unrolled: 1-line block ×5, first 2 shown]
	v_mad_u64_u32 v[12:13], null, v12, 36, s[2:3]
	v_mad_i64_i32 v[2:3], null, v2, 36, v[21:22]
	v_add_nc_u32_e32 v14, v1, v120
	v_mad_i64_i32 v[4:5], null, v4, 36, v[21:22]
	v_add_nc_u32_e32 v16, v1, v121
	;; [unrolled: 2-line block ×3, first 2 shown]
	v_mad_i64_i32 v[8:9], null, v8, 36, v[21:22]
	v_mad_i64_i32 v[10:11], null, v10, 36, v[21:22]
	;; [unrolled: 1-line block ×5, first 2 shown]
	s_clause 0x8
	global_load_dword v1, v[12:13], off
	global_load_dword v12, v[2:3], off offset:4
	global_load_dword v4, v[4:5], off offset:4
	;; [unrolled: 1-line block ×8, first 2 shown]
	v_mov_b32_e32 v2, v132
	v_mov_b32_e32 v3, v127
	s_mov_b32 s0, 24
	s_waitcnt vmcnt(8)
	v_cvt_f32_f16_e32 v1, v1
	s_waitcnt vmcnt(7)
	ds_write_b32 v141, v12
	s_waitcnt vmcnt(6)
	ds_write_b32 v142, v4
	;; [unrolled: 2-line block ×8, first 2 shown]
	ds_write_b32 v114, v1
	s_waitcnt lgkmcnt(0)
	s_barrier
	buffer_gl0_inv
.LBB147_14:                             ;   Parent Loop BB147_6 Depth=1
                                        ; =>  This Inner Loop Header: Depth=2
	s_and_b32 s14, s0, 0x3ffffff8
	s_sub_i32 s1, s0, 24
	v_lshl_add_u32 v1, s14, 2, v126
	s_and_b32 s14, s0, -16
	v_mov_b32_e32 v207, 0
	s_add_i32 s14, s0, s14
	v_mov_b32_e32 v210, 0
	ds_read2_b32 v[4:5], v1 offset1:1
	v_mov_b32_e32 v212, 0
	v_mov_b32_e32 v211, 0
	v_mov_b32_e32 v216, 0
	v_mov_b32_e32 v214, 0
	v_mov_b32_e32 v213, 0
	v_mov_b32_e32 v209, 0
	v_mov_b32_e32 v218, 0
	v_mov_b32_e32 v221, 0
	v_mov_b32_e32 v217, 0
	v_mov_b32_e32 v220, 0
	v_mov_b32_e32 v215, 0
	v_mov_b32_e32 v219, 0
	v_mov_b32_e32 v57, 0
	v_mov_b32_e32 v59, 0
	v_mov_b32_e32 v60, 0
	v_mov_b32_e32 v63, 0
	v_mov_b32_e32 v168, 0
	v_mov_b32_e32 v68, 0
	v_mov_b32_e32 v171, 0
	s_waitcnt lgkmcnt(0)
	v_ashrrev_i32_e32 v6, s1, v4
	v_ashrrev_i32_e32 v7, s1, v5
	ds_read2_b32 v[4:5], v1 offset0:2 offset1:3
	v_mov_b32_e32 v67, 0
	v_mov_b32_e32 v172, 0
	v_and_b32_e32 v62, 0x3030303, v6
	v_and_b32_e32 v69, 0x3030303, v7
	v_mov_b32_e32 v66, 0
	v_mov_b32_e32 v169, 0
	;; [unrolled: 1-line block ×15, first 2 shown]
	s_waitcnt lgkmcnt(0)
	v_ashrrev_i32_e32 v8, s1, v4
	v_add_nc_u32_e32 v4, 0x1080, v1
	v_ashrrev_i32_e32 v9, s1, v5
	v_mov_b32_e32 v170, 0
	v_mov_b32_e32 v176, 0
	v_and_b32_e32 v85, 0x3030303, v8
	ds_read2_b32 v[4:5], v4 offset1:1
	v_mov_b32_e32 v8, 0
	v_and_b32_e32 v86, 0x3030303, v9
	v_mov_b32_e32 v167, 0
	v_mov_b32_e32 v9, 0
	;; [unrolled: 1-line block ×17, first 2 shown]
	s_waitcnt lgkmcnt(0)
	v_ashrrev_i32_e32 v10, s1, v4
	v_add_nc_u32_e32 v4, 0x1088, v1
	v_ashrrev_i32_e32 v11, s1, v5
	v_mov_b32_e32 v193, 0
	v_mov_b32_e32 v204, 0
	v_and_b32_e32 v10, 0x3030303, v10
	ds_read2_b32 v[4:5], v4 offset1:1
	v_and_b32_e32 v92, 0x3030303, v11
	v_mov_b32_e32 v11, 0
	v_mov_b32_e32 v203, 0
	;; [unrolled: 1-line block ×5, first 2 shown]
	ds_read_b128 v[179:182], v2 offset:6144
	ds_read_b128 v[222:225], v2 offset:6160
	s_waitcnt lgkmcnt(2)
	v_ashrrev_i32_e32 v12, s1, v4
	v_add_nc_u32_e32 v4, 0x2100, v1
	v_ashrrev_i32_e32 v13, s1, v5
	v_and_b32_e32 v94, 0x3030303, v12
	ds_read2_b32 v[4:5], v4 offset1:1
	v_and_b32_e32 v183, 0x3030303, v13
	v_mov_b32_e32 v13, 0
	v_mov_b32_e32 v12, 0
	s_waitcnt lgkmcnt(0)
	v_ashrrev_i32_e32 v14, s1, v4
	v_add_nc_u32_e32 v4, 0x2108, v1
	v_ashrrev_i32_e32 v15, s1, v5
	v_and_b32_e32 v159, 0x3030303, v14
	ds_read2_b32 v[4:5], v4 offset1:1
	v_and_b32_e32 v15, 0x3030303, v15
	v_mov_b32_e32 v14, 0
	s_waitcnt lgkmcnt(0)
	v_ashrrev_i32_e32 v16, s1, v4
	v_add_nc_u32_e32 v4, 0x3180, v1
	v_ashrrev_i32_e32 v17, s1, v5
	v_and_b32_e32 v184, 0x3030303, v16
	ds_read2_b32 v[4:5], v4 offset1:1
	v_and_b32_e32 v185, 0x3030303, v17
	v_mov_b32_e32 v16, 0
	v_dot4c_i32_i8 v16, v159, v179
	v_dot4c_i32_i8 v16, v15, v180
	;; [unrolled: 1-line block ×3, first 2 shown]
	s_waitcnt lgkmcnt(0)
	v_ashrrev_i32_e32 v53, s1, v4
	v_add_nc_u32_e32 v4, 0x3188, v1
	v_ashrrev_i32_e32 v54, s1, v5
	v_dot4c_i32_i8 v16, v185, v182
	v_and_b32_e32 v17, 0x3030303, v53
	ds_read2_b32 v[4:5], v4 offset1:1
	v_and_b32_e32 v186, 0x3030303, v54
	v_mov_b32_e32 v53, 0
	v_mov_b32_e32 v54, 0
	v_dot4c_i32_i8 v9, v17, v179
	v_dot4c_i32_i8 v54, v10, v179
	;; [unrolled: 1-line block ×5, first 2 shown]
	s_waitcnt lgkmcnt(0)
	v_ashrrev_i32_e32 v55, s1, v4
	v_add_nc_u32_e32 v4, s14, v128
	v_ashrrev_i32_e32 v56, s1, v5
	v_dot4c_i32_i8 v54, v183, v182
	v_and_b32_e32 v187, 0x3030303, v55
	ds_read_u16 v205, v4 offset:25072
	v_add_nc_u32_e32 v4, s14, v129
	v_and_b32_e32 v188, 0x3030303, v56
	v_mov_b32_e32 v56, 0
	v_mov_b32_e32 v55, 0
	v_dot4c_i32_i8 v9, v187, v181
	ds_read_u16 v206, v4 offset:26096
	v_add_nc_u32_e32 v4, s14, v130
	v_dot4c_i32_i8 v55, v62, v179
	v_dot4c_i32_i8 v9, v188, v182
	ds_read_u16 v199, v4 offset:27120
	v_add_nc_u32_e32 v4, s14, v131
	v_dot4c_i32_i8 v55, v69, v180
	ds_read_u16 v196, v4 offset:28144
	v_dot4c_i32_i8 v55, v85, v181
	s_waitcnt lgkmcnt(3)
	v_bfe_u32 v4, v205, 4, 4
	v_dot4c_i32_i8 v55, v86, v182
	v_mul_lo_u32 v87, 0x1010101, v4
	s_waitcnt lgkmcnt(2)
	v_bfe_u32 v4, v206, 4, 4
	v_mul_lo_u32 v89, 0x1010101, v4
	s_waitcnt lgkmcnt(1)
	v_bfe_u32 v4, v199, 4, 4
	;; [unrolled: 3-line block ×3, first 2 shown]
	v_mul_lo_u32 v91, 0x1010101, v4
	ds_read_b128 v[4:7], v2
	s_waitcnt lgkmcnt(0)
	v_dot4c_i32_i8 v207, v62, v4
	v_dot4c_i32_i8 v210, v10, v4
	v_dot4c_i32_i8 v212, v159, v4
	v_dot4c_i32_i8 v211, v17, v4
	v_dot4c_i32_i8 v216, v87, v4
	v_dot4c_i32_i8 v214, v89, v4
	v_dot4c_i32_i8 v213, v90, v4
	v_dot4c_i32_i8 v8, v91, v4
	v_dot4c_i32_i8 v207, v69, v5
	v_dot4c_i32_i8 v210, v92, v5
	v_dot4c_i32_i8 v212, v15, v5
	v_dot4c_i32_i8 v211, v186, v5
	v_dot4c_i32_i8 v216, v87, v5
	v_dot4c_i32_i8 v214, v89, v5
	v_dot4c_i32_i8 v213, v90, v5
	v_dot4c_i32_i8 v8, v91, v5
	v_dot4c_i32_i8 v207, v85, v6
	v_dot4c_i32_i8 v210, v94, v6
	v_dot4c_i32_i8 v212, v184, v6
	v_dot4c_i32_i8 v211, v187, v6
	v_dot4c_i32_i8 v216, v87, v6
	v_dot4c_i32_i8 v214, v89, v6
	v_dot4c_i32_i8 v213, v90, v6
	v_dot4c_i32_i8 v8, v91, v6
	v_dot4c_i32_i8 v207, v86, v7
	v_dot4c_i32_i8 v210, v183, v7
	v_dot4c_i32_i8 v212, v185, v7
	v_dot4c_i32_i8 v211, v188, v7
	v_dot4c_i32_i8 v216, v87, v7
	v_dot4c_i32_i8 v214, v89, v7
	v_dot4c_i32_i8 v213, v90, v7
	v_dot4c_i32_i8 v8, v91, v7
	ds_read_b128 v[4:7], v2 offset:1024
	s_waitcnt lgkmcnt(0)
	v_dot4c_i32_i8 v209, v62, v4
	v_dot4c_i32_i8 v218, v87, v4
	v_dot4c_i32_i8 v221, v10, v4
	v_dot4c_i32_i8 v217, v89, v4
	v_dot4c_i32_i8 v220, v159, v4
	v_dot4c_i32_i8 v215, v90, v4
	v_dot4c_i32_i8 v219, v17, v4
	v_dot4c_i32_i8 v53, v91, v4
	v_dot4c_i32_i8 v209, v69, v5
	v_dot4c_i32_i8 v218, v87, v5
	v_dot4c_i32_i8 v221, v92, v5
	v_dot4c_i32_i8 v217, v89, v5
	v_dot4c_i32_i8 v220, v15, v5
	v_dot4c_i32_i8 v215, v90, v5
	v_dot4c_i32_i8 v219, v186, v5
	v_dot4c_i32_i8 v53, v91, v5
	v_dot4c_i32_i8 v209, v85, v6
	v_dot4c_i32_i8 v218, v87, v6
	v_dot4c_i32_i8 v221, v94, v6
	v_dot4c_i32_i8 v217, v89, v6
	v_dot4c_i32_i8 v220, v184, v6
	v_dot4c_i32_i8 v215, v90, v6
	v_dot4c_i32_i8 v219, v187, v6
	v_dot4c_i32_i8 v53, v91, v6
	v_dot4c_i32_i8 v209, v86, v7
	v_dot4c_i32_i8 v218, v87, v7
	v_dot4c_i32_i8 v221, v183, v7
	v_dot4c_i32_i8 v217, v89, v7
	v_dot4c_i32_i8 v220, v185, v7
	v_dot4c_i32_i8 v215, v90, v7
	v_dot4c_i32_i8 v219, v188, v7
	v_dot4c_i32_i8 v53, v91, v7
	ds_read_b128 v[4:7], v2 offset:2048
	;; [unrolled: 34-line block ×5, first 2 shown]
	s_waitcnt lgkmcnt(0)
	v_dot4c_i32_i8 v175, v62, v4
	v_dot4c_i32_i8 v174, v87, v4
	;; [unrolled: 1-line block ×32, first 2 shown]
	v_mov_b32_e32 v7, 0
	v_mov_b32_e32 v6, 0
	;; [unrolled: 1-line block ×4, first 2 shown]
	v_dot4c_i32_i8 v7, v87, v179
	v_dot4c_i32_i8 v6, v89, v179
	v_dot4c_i32_i8 v5, v90, v179
	v_dot4c_i32_i8 v4, v91, v179
	v_dot4c_i32_i8 v7, v87, v180
	v_dot4c_i32_i8 v6, v89, v180
	v_dot4c_i32_i8 v5, v90, v180
	v_dot4c_i32_i8 v4, v91, v180
	v_dot4c_i32_i8 v7, v87, v181
	v_dot4c_i32_i8 v6, v89, v181
	v_dot4c_i32_i8 v5, v90, v181
	v_dot4c_i32_i8 v4, v91, v181
	v_dot4c_i32_i8 v7, v87, v182
	v_dot4c_i32_i8 v6, v89, v182
	v_dot4c_i32_i8 v5, v90, v182
	v_dot4c_i32_i8 v4, v91, v182
	ds_read_b128 v[179:182], v2 offset:7168
	s_waitcnt lgkmcnt(0)
	v_dot4c_i32_i8 v164, v159, v179
	v_mov_b32_e32 v159, 0
	v_dot4c_i32_i8 v166, v62, v179
	v_dot4c_i32_i8 v165, v10, v179
	v_mov_b32_e32 v62, 0
	v_dot4c_i32_i8 v164, v15, v180
	v_dot4c_i32_i8 v159, v17, v179
	v_mov_b32_e32 v17, 0
	v_mov_b32_e32 v15, 0
	;; [unrolled: 1-line block ×3, first 2 shown]
	v_dot4c_i32_i8 v62, v87, v179
	v_dot4c_i32_i8 v166, v69, v180
	;; [unrolled: 1-line block ×11, first 2 shown]
	ds_read2_b32 v[179:180], v1 offset0:4 offset1:5
	v_dot4c_i32_i8 v166, v85, v181
	v_dot4c_i32_i8 v17, v89, v181
	;; [unrolled: 1-line block ×7, first 2 shown]
	v_add_nc_u32_e32 v89, 0x1090, v1
	v_dot4c_i32_i8 v62, v87, v182
	v_dot4c_i32_i8 v10, v91, v182
	v_add_nc_u32_e32 v91, 0x1098, v1
	v_dot4c_i32_i8 v15, v90, v182
	v_dot4c_i32_i8 v165, v94, v181
	;; [unrolled: 3-line block ×3, first 2 shown]
	v_dot4c_i32_i8 v165, v183, v182
	s_waitcnt lgkmcnt(0)
	v_ashrrev_i32_e32 v69, s1, v179
	v_ashrrev_i32_e32 v85, s1, v180
	ds_read2_b32 v[179:180], v1 offset0:6 offset1:7
	v_dot4c_i32_i8 v164, v185, v182
	v_dot4c_i32_i8 v159, v188, v182
	v_and_b32_e32 v69, 0x3030303, v69
	v_and_b32_e32 v85, 0x3030303, v85
	s_waitcnt lgkmcnt(0)
	v_ashrrev_i32_e32 v86, s1, v179
	v_ashrrev_i32_e32 v87, s1, v180
	ds_read2_b32 v[179:180], v89 offset1:1
	v_and_b32_e32 v86, 0x3030303, v86
	v_and_b32_e32 v87, 0x3030303, v87
	s_waitcnt lgkmcnt(0)
	v_ashrrev_i32_e32 v89, s1, v179
	v_ashrrev_i32_e32 v90, s1, v180
	ds_read2_b32 v[179:180], v91 offset1:1
	;; [unrolled: 6-line block ×3, first 2 shown]
	v_and_b32_e32 v91, 0x3030303, v91
	v_and_b32_e32 v92, 0x3030303, v92
	s_waitcnt lgkmcnt(0)
	v_ashrrev_i32_e32 v94, s1, v179
	v_add_nc_u32_e32 v179, 0x2118, v1
	v_ashrrev_i32_e32 v183, s1, v180
	v_and_b32_e32 v94, 0x3030303, v94
	ds_read2_b32 v[179:180], v179 offset1:1
	v_and_b32_e32 v208, 0x3030303, v183
	v_mov_b32_e32 v183, 0
	s_waitcnt lgkmcnt(0)
	v_ashrrev_i32_e32 v184, s1, v179
	v_add_nc_u32_e32 v179, 0x3190, v1
	v_ashrrev_i32_e32 v185, s1, v180
	v_add_nc_u32_e32 v1, 0x3198, v1
	v_and_b32_e32 v227, 0x3030303, v184
	ds_read2_b32 v[179:180], v179 offset1:1
	v_and_b32_e32 v228, 0x3030303, v185
	v_mov_b32_e32 v184, 0
	v_mov_b32_e32 v185, 0
	s_waitcnt lgkmcnt(0)
	v_ashrrev_i32_e32 v186, s1, v179
	v_ashrrev_i32_e32 v187, s1, v180
	ds_read2_b32 v[179:180], v1 offset1:1
	v_and_b32_e32 v229, 0x3030303, v186
	v_and_b32_e32 v230, 0x3030303, v187
	v_mov_b32_e32 v187, 0
	v_mov_b32_e32 v186, 0
	s_waitcnt lgkmcnt(0)
	v_ashrrev_i32_e32 v1, s1, v179
	v_and_b32_sdwa v179, v157, v205 dst_sel:DWORD dst_unused:UNUSED_PAD src0_sel:DWORD src1_sel:BYTE_1
	v_ashrrev_i32_e32 v188, s1, v180
	s_lshr_b32 s1, s0, 2
	v_and_b32_e32 v1, 0x3030303, v1
	v_lshrrev_b32_e32 v189, 4, v179
	v_and_b32_sdwa v179, v157, v206 dst_sel:DWORD dst_unused:UNUSED_PAD src0_sel:DWORD src1_sel:BYTE_1
	v_and_b32_e32 v231, 0x3030303, v188
	v_mov_b32_e32 v188, 0
	s_and_b32 s1, s1, 0x3ffffffc
	v_mul_lo_u32 v232, 0x1010101, v189
	v_lshrrev_b32_e32 v190, 4, v179
	v_and_b32_sdwa v179, v157, v199 dst_sel:DWORD dst_unused:UNUSED_PAD src0_sel:DWORD src1_sel:BYTE_1
	v_mov_b32_e32 v189, 0
	s_addk_i32 s1, 0x7280
	v_mul_lo_u32 v233, 0x1010101, v190
	v_lshrrev_b32_e32 v191, 4, v179
	v_and_b32_sdwa v179, v157, v196 dst_sel:DWORD dst_unused:UNUSED_PAD src0_sel:DWORD src1_sel:BYTE_1
	v_mov_b32_e32 v190, 0
	v_dot4c_i32_i8 v7, v232, v222
	v_mul_lo_u32 v234, 0x1010101, v191
	v_lshrrev_b32_e32 v192, 4, v179
	ds_read_b128 v[179:182], v2 offset:16
	v_dot4c_i32_i8 v6, v233, v222
	v_dot4c_i32_i8 v7, v232, v223
	v_mov_b32_e32 v191, 0
	v_mul_lo_u32 v235, 0x1010101, v192
	v_mov_b32_e32 v192, 0
	v_dot4c_i32_i8 v5, v234, v222
	v_dot4c_i32_i8 v6, v233, v223
	;; [unrolled: 1-line block ×10, first 2 shown]
	v_cvt_f32_i32_e32 v7, v7
	s_waitcnt lgkmcnt(0)
	v_dot4c_i32_i8 v226, v69, v179
	v_dot4c_i32_i8 v236, v89, v179
	;; [unrolled: 1-line block ×32, first 2 shown]
	ds_read_b128 v[179:182], v2 offset:1040
	v_dot4c_i32_i8 v4, v235, v224
	v_dot4c_i32_i8 v5, v234, v225
	v_cvt_f32_i32_e32 v6, v6
	v_cvt_f32_i32_e32 v8, v8
	v_dot4c_i32_i8 v4, v235, v225
	v_cvt_f32_i32_e32 v5, v5
	v_cvt_f32_i32_e32 v4, v4
	s_waitcnt lgkmcnt(0)
	v_dot4c_i32_i8 v239, v69, v179
	v_dot4c_i32_i8 v240, v89, v179
	;; [unrolled: 1-line block ×32, first 2 shown]
	ds_read_b128 v[179:182], v2 offset:2064
	s_waitcnt lgkmcnt(0)
	v_dot4c_i32_i8 v187, v69, v179
	v_dot4c_i32_i8 v186, v89, v179
	;; [unrolled: 1-line block ×32, first 2 shown]
	ds_read_b128 v[179:182], v2 offset:3088
	v_cvt_f32_i32_e32 v14, v14
	v_cvt_f32_i32_e32 v13, v13
	;; [unrolled: 1-line block ×4, first 2 shown]
	s_waitcnt lgkmcnt(0)
	v_dot4c_i32_i8 v200, v69, v179
	v_dot4c_i32_i8 v198, v89, v179
	;; [unrolled: 1-line block ×32, first 2 shown]
	ds_read_b128 v[179:182], v2 offset:4112
	v_cvt_f32_i32_e32 v68, v68
	s_waitcnt lgkmcnt(0)
	v_dot4c_i32_i8 v193, v69, v179
	v_dot4c_i32_i8 v192, v89, v179
	;; [unrolled: 1-line block ×32, first 2 shown]
	ds_read_b128 v[179:182], v2 offset:5136
	s_waitcnt lgkmcnt(0)
	v_dot4c_i32_i8 v204, v69, v179
	v_dot4c_i32_i8 v203, v89, v179
	;; [unrolled: 1-line block ×32, first 2 shown]
	v_mov_b32_e32 v182, 0
	v_mov_b32_e32 v181, 0
	;; [unrolled: 1-line block ×4, first 2 shown]
	v_dot4c_i32_i8 v182, v69, v222
	v_dot4c_i32_i8 v181, v89, v222
	;; [unrolled: 1-line block ×16, first 2 shown]
	ds_read_b128 v[222:225], v2 offset:7184
	v_add_nc_u32_e32 v2, 32, v2
	s_waitcnt lgkmcnt(0)
	v_dot4c_i32_i8 v183, v229, v222
	v_dot4c_i32_i8 v194, v69, v222
	v_and_b32_sdwa v69, v205, v158 dst_sel:DWORD dst_unused:UNUSED_PAD src0_sel:BYTE_1 src1_sel:DWORD
	v_dot4c_i32_i8 v188, v94, v222
	v_dot4c_i32_i8 v191, v89, v222
	v_dot4c_i32_i8 v183, v230, v223
	v_dot4c_i32_i8 v62, v232, v222
	v_dot4c_i32_i8 v17, v233, v222
	v_dot4c_i32_i8 v188, v208, v223
	v_dot4c_i32_i8 v15, v234, v222
	v_dot4c_i32_i8 v183, v1, v224
	v_and_b32_e32 v1, 15, v205
	v_dot4c_i32_i8 v10, v235, v222
	v_and_b32_e32 v208, 0xffff, v69
	v_dot4c_i32_i8 v194, v85, v223
	v_dot4c_i32_i8 v191, v90, v223
	v_and_b32_e32 v205, 0xffff, v1
	v_and_b32_e32 v1, 15, v206
	v_dot4c_i32_i8 v62, v232, v223
	v_dot4c_i32_i8 v17, v233, v223
	;; [unrolled: 1-line block ×3, first 2 shown]
	v_mul_lo_u32 v209, v209, v205
	v_dot4c_i32_i8 v10, v235, v223
	v_and_b32_sdwa v69, v206, v158 dst_sel:DWORD dst_unused:UNUSED_PAD src0_sel:BYTE_1 src1_sel:DWORD
	v_and_b32_e32 v206, 0xffff, v1
	v_dot4c_i32_i8 v194, v86, v224
	v_dot4c_i32_i8 v191, v91, v224
	;; [unrolled: 1-line block ×4, first 2 shown]
	v_mad_u64_u32 v[222:223], null, v239, v208, v[209:210]
	v_mul_lo_u32 v209, v226, v208
	v_dot4c_i32_i8 v17, v233, v224
	v_dot4c_i32_i8 v15, v234, v224
	;; [unrolled: 1-line block ×7, first 2 shown]
	v_mad_u64_u32 v[223:224], null, v207, v205, v[209:210]
	v_mul_lo_u32 v207, v221, v206
	v_and_b32_e32 v209, 0xffff, v69
	v_dot4c_i32_i8 v62, v232, v225
	v_dot4c_i32_i8 v17, v233, v225
	;; [unrolled: 1-line block ×4, first 2 shown]
	v_and_b32_e32 v1, 15, v199
	v_and_b32_sdwa v69, v199, v158 dst_sel:DWORD dst_unused:UNUSED_PAD src0_sel:BYTE_1 src1_sel:DWORD
	v_mad_u64_u32 v[225:226], null, v240, v209, v[207:208]
	v_mul_lo_u32 v207, v236, v209
	v_cvt_f32_i32_e32 v224, v222
	v_cvt_f32_i32_e32 v223, v223
	;; [unrolled: 1-line block ×4, first 2 shown]
	v_mad_u64_u32 v[226:227], null, v210, v206, v[207:208]
	v_and_b32_e32 v207, 0xffff, v1
	v_and_b32_e32 v210, 0xffff, v69
	v_and_b32_sdwa v1, v196, v158 dst_sel:DWORD dst_unused:UNUSED_PAD src0_sel:BYTE_1 src1_sel:DWORD
	v_and_b32_e32 v69, 15, v196
	v_mul_lo_u32 v199, v220, v207
	v_and_b32_e32 v196, 0xffff, v69
	v_mad_u64_u32 v[220:221], null, v241, v210, v[199:200]
	v_mul_lo_u32 v199, v237, v210
	v_cvt_f32_i32_e32 v221, v226
	v_cvt_f32_i32_e32 v220, v220
	v_mad_u64_u32 v[227:228], null, v212, v207, v[199:200]
	v_and_b32_e32 v199, 0xffff, v1
	v_add3_u32 v1, s1, v149, v150
	v_mul_lo_u32 v212, v238, v199
	ds_read_b32 v225, v1
	v_cvt_f32_i32_e32 v1, v218
	v_mad_u64_u32 v[211:212], null, v211, v196, v[212:213]
	v_mul_lo_u32 v212, v219, v196
	v_cvt_f32_i32_e32 v219, v227
	v_cvt_f32_i32_e32 v211, v211
	v_mad_u64_u32 v[228:229], null, v242, v199, v[212:213]
	s_waitcnt lgkmcnt(0)
	v_cvt_f32_f16_sdwa v218, v225 dst_sel:DWORD dst_unused:UNUSED_PAD src0_sel:WORD_1
	v_mul_f32_e32 v1, v218, v1
	v_cvt_f32_i32_e32 v212, v228
	v_mul_f32_e32 v14, v218, v14
	v_mul_f32_e32 v68, v218, v68
	;; [unrolled: 1-line block ×3, first 2 shown]
	v_fma_mix_f32 v224, v225, v224, -v1 op_sel_hi:[1,0,0]
	v_cvt_f32_i32_e32 v1, v216
	v_mul_f32_e32 v1, v218, v1
	v_fma_mix_f32 v223, v225, v223, -v1 op_sel_hi:[1,0,0]
	v_add3_u32 v1, s1, v151, v152
	ds_read_b32 v216, v1
	v_cvt_f32_i32_e32 v1, v217
	s_waitcnt lgkmcnt(0)
	v_cvt_f32_f16_sdwa v217, v216 dst_sel:DWORD dst_unused:UNUSED_PAD src0_sel:WORD_1
	v_mul_f32_e32 v1, v217, v1
	v_mul_f32_e32 v13, v217, v13
	;; [unrolled: 1-line block ×3, first 2 shown]
	v_fma_mix_f32 v222, v216, v222, -v1 op_sel_hi:[1,0,0]
	v_cvt_f32_i32_e32 v1, v214
	v_mul_f32_e32 v1, v217, v1
	v_fma_mix_f32 v221, v216, v221, -v1 op_sel_hi:[1,0,0]
	v_add3_u32 v1, s1, v153, v154
	ds_read_b32 v214, v1
	v_cvt_f32_i32_e32 v1, v215
	s_waitcnt lgkmcnt(0)
	v_cvt_f32_f16_sdwa v215, v214 dst_sel:DWORD dst_unused:UNUSED_PAD src0_sel:WORD_1
	v_mul_f32_e32 v1, v215, v1
	v_mul_f32_e32 v12, v215, v12
	;; [unrolled: 1-line block ×3, first 2 shown]
	v_fma_mix_f32 v220, v214, v220, -v1 op_sel_hi:[1,0,0]
	v_cvt_f32_i32_e32 v1, v213
	v_mul_f32_e32 v1, v215, v1
	v_fma_mix_f32 v219, v214, v219, -v1 op_sel_hi:[1,0,0]
	v_add3_u32 v1, s1, v155, v156
	s_add_i32 s1, s0, 2
	s_cmp_lt_u32 s0, 30
	s_mov_b32 s0, s1
	ds_read_b32 v213, v1
	v_cvt_f32_i32_e32 v1, v53
	s_waitcnt lgkmcnt(0)
	v_cvt_f32_f16_sdwa v69, v213 dst_sel:DWORD dst_unused:UNUSED_PAD src0_sel:WORD_1
	v_mul_f32_e32 v1, v69, v1
	v_mul_f32_e32 v8, v69, v8
	;; [unrolled: 1-line block ×5, first 2 shown]
	v_fma_mix_f32 v1, v213, v212, -v1 op_sel_hi:[1,0,0]
	v_fma_mix_f32 v8, v213, v211, -v8 op_sel_hi:[1,0,0]
	ds_read2_b32 v[211:212], v3 offset1:32
	s_waitcnt lgkmcnt(0)
	v_fma_f32 v52, v211, v8, v52
	v_mul_lo_u32 v8, v168, v205
	v_fma_f32 v19, v211, v223, v19
	v_fmac_f32_e32 v18, v212, v224
	v_fma_f32 v48, v211, v221, v48
	v_fmac_f32_e32 v47, v212, v222
	;; [unrolled: 2-line block ×3, first 2 shown]
	v_fmac_f32_e32 v51, v212, v1
	v_mad_u64_u32 v[211:212], null, v200, v208, v[8:9]
	v_mul_lo_u32 v8, v187, v208
	v_mad_u64_u32 v[219:220], null, v57, v205, v[8:9]
	v_mul_lo_u32 v8, v171, v206
	v_cvt_f32_i32_e32 v1, v219
	v_mad_u64_u32 v[220:221], null, v198, v209, v[8:9]
	v_mul_lo_u32 v8, v186, v209
	v_fma_mix_f32 v1, v225, v1, -v14 op_sel_hi:[1,0,0]
	v_cvt_f32_i32_e32 v14, v67
	v_cvt_f32_i32_e32 v57, v220
	v_mul_f32_e32 v14, v217, v14
	v_mad_u64_u32 v[186:187], null, v59, v206, v[8:9]
	v_mul_lo_u32 v8, v172, v207
	v_fma_mix_f32 v14, v216, v57, -v14 op_sel_hi:[1,0,0]
	v_cvt_f32_i32_e32 v53, v186
	v_mad_u64_u32 v[171:172], null, v197, v210, v[8:9]
	v_mul_lo_u32 v8, v184, v210
	v_fma_mix_f32 v13, v216, v53, -v13 op_sel_hi:[1,0,0]
	v_cvt_f32_i32_e32 v53, v66
	v_mul_f32_e32 v53, v215, v53
	v_mad_u64_u32 v[59:60], null, v60, v207, v[8:9]
	v_mul_lo_u32 v8, v185, v199
	v_cvt_f32_i32_e32 v60, v171
	v_cvt_f32_i32_e32 v59, v59
	v_fma_mix_f32 v53, v214, v60, -v53 op_sel_hi:[1,0,0]
	v_mad_u64_u32 v[184:185], null, v63, v196, v[8:9]
	v_mul_lo_u32 v8, v169, v196
	v_fma_mix_f32 v57, v214, v59, -v12 op_sel_hi:[1,0,0]
	v_cvt_f32_i32_e32 v12, v65
	v_cvt_f32_i32_e32 v63, v184
	v_mul_f32_e32 v12, v69, v12
	v_mad_u64_u32 v[168:169], null, v195, v199, v[8:9]
	v_cvt_f32_i32_e32 v8, v211
	v_fma_mix_f32 v60, v213, v63, -v11 op_sel_hi:[1,0,0]
	v_fma_mix_f32 v8, v225, v8, -v68 op_sel_hi:[1,0,0]
	v_cvt_f32_i32_e32 v85, v168
	v_fma_mix_f32 v59, v213, v85, -v12 op_sel_hi:[1,0,0]
	ds_read2_b32 v[11:12], v3 offset0:64 offset1:96
	s_waitcnt lgkmcnt(0)
	v_fmac_f32_e32 v43, v12, v8
	v_mul_lo_u32 v8, v175, v205
	v_fma_f32 v44, v11, v1, v44
	v_fma_f32 v46, v11, v13, v46
	v_fmac_f32_e32 v45, v12, v14
	v_fma_f32 v40, v11, v57, v40
	v_fmac_f32_e32 v39, v12, v53
	;; [unrolled: 2-line block ×3, first 2 shown]
	v_mad_u64_u32 v[11:12], null, v204, v208, v[8:9]
	v_mul_lo_u32 v8, v193, v208
	v_mad_u64_u32 v[12:13], null, v160, v205, v[8:9]
	v_mul_lo_u32 v8, v177, v206
	v_cvt_f32_i32_e32 v1, v12
	v_mad_u64_u32 v[13:14], null, v203, v209, v[8:9]
	v_mul_lo_u32 v8, v192, v209
	v_cvt_f32_i32_e32 v12, v13
	v_mad_u64_u32 v[59:60], null, v161, v206, v[8:9]
	v_mul_lo_u32 v8, v178, v207
	v_mad_u64_u32 v[65:66], null, v202, v210, v[8:9]
	v_mul_lo_u32 v8, v189, v210
	v_cvt_f32_i32_e32 v14, v65
	v_mad_u64_u32 v[66:67], null, v162, v207, v[8:9]
	v_mul_lo_u32 v8, v190, v199
	v_cvt_f32_i32_e32 v13, v66
	;; [unrolled: 3-line block ×3, first 2 shown]
	v_mad_u64_u32 v[160:161], null, v201, v199, v[8:9]
	v_cvt_f32_i32_e32 v8, v11
	v_cvt_f32_i32_e32 v11, v59
	;; [unrolled: 1-line block ×4, first 2 shown]
	v_mul_f32_e32 v59, v218, v59
	v_fma_mix_f32 v8, v225, v8, -v59 op_sel_hi:[1,0,0]
	v_cvt_f32_i32_e32 v59, v64
	v_mul_f32_e32 v59, v218, v59
	v_fma_mix_f32 v1, v225, v1, -v59 op_sel_hi:[1,0,0]
	v_cvt_f32_i32_e32 v59, v173
	;; [unrolled: 3-line block ×7, first 2 shown]
	v_mul_f32_e32 v11, v69, v11
	v_fma_mix_f32 v53, v213, v53, -v11 op_sel_hi:[1,0,0]
	ds_read2_b32 v[11:12], v3 offset0:128 offset1:160
	s_waitcnt lgkmcnt(0)
	v_fmac_f32_e32 v33, v12, v8
	v_mul_lo_u32 v8, v166, v205
	v_fma_f32 v34, v11, v1, v34
	v_fma_f32 v36, v11, v60, v36
	v_fmac_f32_e32 v35, v12, v59
	v_fma_f32 v38, v11, v13, v38
	v_fmac_f32_e32 v37, v12, v14
	;; [unrolled: 2-line block ×3, first 2 shown]
	v_mad_u64_u32 v[11:12], null, v194, v208, v[8:9]
	v_mul_lo_u32 v8, v182, v208
	v_mad_u64_u32 v[12:13], null, v55, v205, v[8:9]
	v_mul_lo_u32 v8, v165, v206
	v_cvt_f32_i32_e32 v1, v12
	v_cvt_f32_i32_e32 v12, v17
	v_mad_u64_u32 v[13:14], null, v191, v209, v[8:9]
	v_mul_lo_u32 v8, v181, v209
	v_fma_mix_f32 v1, v225, v1, -v7 op_sel_hi:[1,0,0]
	v_mul_f32_e32 v12, v217, v12
	v_mad_u64_u32 v[53:54], null, v54, v206, v[8:9]
	v_mul_lo_u32 v8, v164, v207
	v_cvt_f32_i32_e32 v7, v53
	v_mad_u64_u32 v[54:55], null, v188, v210, v[8:9]
	v_mul_lo_u32 v8, v180, v210
	v_fma_mix_f32 v6, v216, v7, -v6 op_sel_hi:[1,0,0]
	v_mad_u64_u32 v[55:56], null, v16, v207, v[8:9]
	v_mul_lo_u32 v8, v159, v196
	v_cvt_f32_i32_e32 v7, v55
	v_mad_u64_u32 v[56:57], null, v183, v199, v[8:9]
	v_mul_lo_u32 v8, v179, v199
	v_fma_mix_f32 v7, v214, v7, -v5 op_sel_hi:[1,0,0]
	v_mad_u64_u32 v[8:9], null, v9, v196, v[8:9]
	v_cvt_f32_i32_e32 v9, v11
	v_cvt_f32_i32_e32 v11, v62
	;; [unrolled: 1-line block ×4, first 2 shown]
	v_mul_f32_e32 v11, v218, v11
	v_fma_mix_f32 v8, v213, v8, -v10 op_sel_hi:[1,0,0]
	v_fma_mix_f32 v10, v213, v5, -v4 op_sel_hi:[1,0,0]
	ds_read2_b32 v[4:5], v3 offset0:192 offset1:224
	v_fma_mix_f32 v9, v225, v9, -v11 op_sel_hi:[1,0,0]
	v_cvt_f32_i32_e32 v11, v13
	v_cvt_f32_i32_e32 v13, v15
	v_add_nc_u32_e32 v3, 4, v3
	v_fma_mix_f32 v11, v216, v11, -v12 op_sel_hi:[1,0,0]
	v_cvt_f32_i32_e32 v12, v54
	v_mul_f32_e32 v13, v215, v13
	v_fma_mix_f32 v12, v214, v12, -v13 op_sel_hi:[1,0,0]
	s_waitcnt lgkmcnt(0)
	v_fma_f32 v24, v4, v1, v24
	v_fmac_f32_e32 v23, v5, v9
	v_fma_f32 v26, v4, v6, v26
	v_fmac_f32_e32 v25, v5, v11
	;; [unrolled: 2-line block ×4, first 2 shown]
	s_cbranch_scc1 .LBB147_14
; %bb.15:                               ;   in Loop: Header=BB147_6 Depth=1
	s_barrier
	buffer_gl0_inv
	s_branch .LBB147_5
.LBB147_16:
	v_cvt_f16_f32_e32 v2, v19
	v_cvt_f16_f32_e32 v3, v18
	;; [unrolled: 1-line block ×6, first 2 shown]
	v_pack_b32_f16 v20, v3, v2
	v_cvt_f16_f32_e32 v2, v49
	v_cvt_f16_f32_e32 v3, v52
	v_pack_b32_f16 v19, v5, v4
	v_cvt_f16_f32_e32 v4, v42
	v_cvt_f16_f32_e32 v5, v41
	v_pack_b32_f16 v18, v2, v6
	v_pack_b32_f16 v17, v7, v3
	v_cvt_f16_f32_e32 v6, v34
	v_cvt_f16_f32_e32 v7, v33
	v_pack_b32_f16 v13, v5, v4
	v_cvt_f16_f32_e32 v4, v24
	v_cvt_f16_f32_e32 v5, v23
	;; [unrolled: 1-line block ×3, first 2 shown]
	v_pack_b32_f16 v12, v7, v6
	v_cvt_f16_f32_e32 v6, v26
	v_cvt_f16_f32_e32 v7, v25
	v_pack_b32_f16 v5, v5, v4
	v_cvt_f16_f32_e32 v9, v43
	v_cvt_f16_f32_e32 v10, v46
	;; [unrolled: 1-line block ×3, first 2 shown]
	v_pack_b32_f16 v4, v7, v6
	s_clause 0x1
	buffer_load_dword v6, off, s[16:19], 0 offset:4
	buffer_load_dword v1, off, s[16:19], 0
	v_pack_b32_f16 v16, v9, v8
	v_cvt_f16_f32_e32 v2, v40
	v_pack_b32_f16 v15, v11, v10
	v_cvt_f16_f32_e32 v3, v39
	v_cvt_f16_f32_e32 v8, v36
	;; [unrolled: 1-line block ×5, first 2 shown]
	v_pack_b32_f16 v14, v3, v2
	v_cvt_f16_f32_e32 v2, v32
	v_pack_b32_f16 v11, v9, v8
	v_cvt_f16_f32_e32 v3, v31
	;; [unrolled: 2-line block ×3, first 2 shown]
	v_cvt_f16_f32_e32 v21, v27
	v_cvt_f16_f32_e32 v22, v30
	;; [unrolled: 1-line block ×3, first 2 shown]
	v_pack_b32_f16 v9, v3, v2
	v_pack_b32_f16 v3, v21, v8
	;; [unrolled: 1-line block ×3, first 2 shown]
.LBB147_17:
	s_mov_b32 s0, exec_lo
	s_waitcnt vmcnt(1)
	v_cmpx_gt_u32_e64 s8, v6
	s_cbranch_execz .LBB147_68
; %bb.18:
	v_add_nc_u32_e32 v0, s6, v0
	v_mul_lo_u32 v21, v6, s10
	v_cmp_gt_u32_e32 vcc_lo, s10, v0
	s_and_saveexec_b32 s1, vcc_lo
	s_cbranch_execz .LBB147_20
; %bb.19:
	v_add_nc_u32_e32 v6, v0, v21
	v_mov_b32_e32 v7, 0
	v_lshlrev_b64 v[6:7], 1, v[6:7]
	s_waitcnt lgkmcnt(0)
	v_add_co_u32 v6, s0, s12, v6
	v_add_co_ci_u32_e64 v7, null, s13, v7, s0
	global_store_short_d16_hi v[6:7], v20, off
.LBB147_20:
	s_or_b32 exec_lo, exec_lo, s1
	v_add_nc_u32_e32 v6, 32, v0
	v_cmp_gt_u32_e64 s0, s10, v6
	s_and_saveexec_b32 s2, s0
	s_cbranch_execz .LBB147_22
; %bb.21:
	v_add_nc_u32_e32 v7, v6, v21
	v_mov_b32_e32 v8, 0
	v_lshlrev_b64 v[7:8], 1, v[7:8]
	s_waitcnt lgkmcnt(0)
	v_add_co_u32 v7, s1, s12, v7
	v_add_co_ci_u32_e64 v8, null, s13, v8, s1
	global_store_short_d16_hi v[7:8], v19, off
.LBB147_22:
	s_or_b32 exec_lo, exec_lo, s2
	v_add_nc_u32_e32 v7, 64, v0
	v_cmp_gt_u32_e64 s1, s10, v7
	s_and_saveexec_b32 s3, s1
	;; [unrolled: 14-line block ×3, first 2 shown]
	s_cbranch_execz .LBB147_26
; %bb.25:
	v_add_nc_u32_e32 v21, v8, v21
	v_mov_b32_e32 v22, 0
	v_lshlrev_b64 v[21:22], 1, v[21:22]
	s_waitcnt lgkmcnt(0)
	v_add_co_u32 v21, s3, s12, v21
	v_add_co_ci_u32_e64 v22, null, s13, v22, s3
	global_store_short_d16_hi v[21:22], v17, off
.LBB147_26:
	s_or_b32 exec_lo, exec_lo, s4
	s_waitcnt vmcnt(0)
	v_add3_u32 v21, v1, s7, 8
	v_cmp_gt_u32_e64 s3, s8, v21
	s_and_b32 exec_lo, exec_lo, s3
	s_cbranch_execz .LBB147_68
; %bb.27:
	v_mul_lo_u32 v21, v21, s10
	s_and_saveexec_b32 s4, vcc_lo
	s_cbranch_execnz .LBB147_69
; %bb.28:
	s_or_b32 exec_lo, exec_lo, s4
	s_and_saveexec_b32 s4, s0
	s_cbranch_execnz .LBB147_70
.LBB147_29:
	s_or_b32 exec_lo, exec_lo, s4
	s_and_saveexec_b32 s4, s1
	s_cbranch_execnz .LBB147_71
.LBB147_30:
	s_or_b32 exec_lo, exec_lo, s4
	s_and_saveexec_b32 s4, s2
	s_cbranch_execz .LBB147_32
.LBB147_31:
	v_add_nc_u32_e32 v18, v21, v8
	v_mov_b32_e32 v19, 0
	v_lshlrev_b64 v[18:19], 1, v[18:19]
	s_waitcnt lgkmcnt(0)
	v_add_co_u32 v18, s3, s12, v18
	v_add_co_ci_u32_e64 v19, null, s13, v19, s3
	global_store_short v[18:19], v17, off
.LBB147_32:
	s_or_b32 exec_lo, exec_lo, s4
	v_add3_u32 v17, v1, s7, 16
	v_cmp_gt_u32_e64 s3, s8, v17
	s_and_b32 exec_lo, exec_lo, s3
	s_cbranch_execz .LBB147_68
; %bb.33:
	v_mul_lo_u32 v17, v17, s10
	s_and_saveexec_b32 s4, vcc_lo
	s_cbranch_execnz .LBB147_72
; %bb.34:
	s_or_b32 exec_lo, exec_lo, s4
	s_and_saveexec_b32 s4, s0
	s_cbranch_execnz .LBB147_73
.LBB147_35:
	s_or_b32 exec_lo, exec_lo, s4
	s_and_saveexec_b32 s4, s1
	s_cbranch_execnz .LBB147_74
.LBB147_36:
	s_or_b32 exec_lo, exec_lo, s4
	s_and_saveexec_b32 s4, s2
	s_cbranch_execz .LBB147_38
.LBB147_37:
	v_add_nc_u32_e32 v17, v17, v8
	v_mov_b32_e32 v18, 0
	v_lshlrev_b64 v[17:18], 1, v[17:18]
	s_waitcnt lgkmcnt(0)
	v_add_co_u32 v17, s3, s12, v17
	v_add_co_ci_u32_e64 v18, null, s13, v18, s3
	global_store_short_d16_hi v[17:18], v13, off
.LBB147_38:
	s_or_b32 exec_lo, exec_lo, s4
	v_add3_u32 v17, v1, s7, 24
	v_cmp_gt_u32_e64 s3, s8, v17
	s_and_b32 exec_lo, exec_lo, s3
	s_cbranch_execz .LBB147_68
; %bb.39:
	v_mul_lo_u32 v17, v17, s10
	s_and_saveexec_b32 s4, vcc_lo
	s_cbranch_execnz .LBB147_75
; %bb.40:
	s_or_b32 exec_lo, exec_lo, s4
	s_and_saveexec_b32 s4, s0
	s_cbranch_execnz .LBB147_76
.LBB147_41:
	s_or_b32 exec_lo, exec_lo, s4
	s_and_saveexec_b32 s4, s1
	s_cbranch_execnz .LBB147_77
.LBB147_42:
	s_or_b32 exec_lo, exec_lo, s4
	s_and_saveexec_b32 s4, s2
	s_cbranch_execz .LBB147_44
.LBB147_43:
	v_add_nc_u32_e32 v14, v17, v8
	v_mov_b32_e32 v15, 0
	v_lshlrev_b64 v[14:15], 1, v[14:15]
	s_waitcnt lgkmcnt(0)
	v_add_co_u32 v14, s3, s12, v14
	v_add_co_ci_u32_e64 v15, null, s13, v15, s3
	global_store_short v[14:15], v13, off
.LBB147_44:
	s_or_b32 exec_lo, exec_lo, s4
	v_add3_u32 v13, v1, s7, 32
	v_cmp_gt_u32_e64 s3, s8, v13
	s_and_b32 exec_lo, exec_lo, s3
	s_cbranch_execz .LBB147_68
; %bb.45:
	v_mul_lo_u32 v13, v13, s10
	s_and_saveexec_b32 s4, vcc_lo
	s_cbranch_execnz .LBB147_78
; %bb.46:
	s_or_b32 exec_lo, exec_lo, s4
	s_and_saveexec_b32 s4, s0
	s_cbranch_execnz .LBB147_79
.LBB147_47:
	s_or_b32 exec_lo, exec_lo, s4
	s_and_saveexec_b32 s4, s1
	s_cbranch_execnz .LBB147_80
.LBB147_48:
	s_or_b32 exec_lo, exec_lo, s4
	s_and_saveexec_b32 s4, s2
	s_cbranch_execz .LBB147_50
.LBB147_49:
	v_add_nc_u32_e32 v13, v13, v8
	v_mov_b32_e32 v14, 0
	v_lshlrev_b64 v[13:14], 1, v[13:14]
	s_waitcnt lgkmcnt(0)
	v_add_co_u32 v13, s3, s12, v13
	v_add_co_ci_u32_e64 v14, null, s13, v14, s3
	global_store_short_d16_hi v[13:14], v9, off
.LBB147_50:
	s_or_b32 exec_lo, exec_lo, s4
	v_add3_u32 v13, v1, s7, 40
	v_cmp_gt_u32_e64 s3, s8, v13
	s_and_b32 exec_lo, exec_lo, s3
	s_cbranch_execz .LBB147_68
; %bb.51:
	v_mul_lo_u32 v13, v13, s10
	s_and_saveexec_b32 s4, vcc_lo
	s_cbranch_execnz .LBB147_81
; %bb.52:
	s_or_b32 exec_lo, exec_lo, s4
	s_and_saveexec_b32 s4, s0
	s_cbranch_execnz .LBB147_82
.LBB147_53:
	s_or_b32 exec_lo, exec_lo, s4
	s_and_saveexec_b32 s4, s1
	s_cbranch_execnz .LBB147_83
.LBB147_54:
	s_or_b32 exec_lo, exec_lo, s4
	s_and_saveexec_b32 s4, s2
	s_cbranch_execz .LBB147_56
.LBB147_55:
	v_add_nc_u32_e32 v10, v13, v8
	v_mov_b32_e32 v11, 0
	v_lshlrev_b64 v[10:11], 1, v[10:11]
	s_waitcnt lgkmcnt(0)
	v_add_co_u32 v10, s3, s12, v10
	v_add_co_ci_u32_e64 v11, null, s13, v11, s3
	global_store_short v[10:11], v9, off
.LBB147_56:
	s_or_b32 exec_lo, exec_lo, s4
	v_add3_u32 v9, v1, s7, 48
	v_cmp_gt_u32_e64 s3, s8, v9
	s_and_b32 exec_lo, exec_lo, s3
	s_cbranch_execz .LBB147_68
; %bb.57:
	v_mul_lo_u32 v9, v9, s10
	s_and_saveexec_b32 s4, vcc_lo
	s_cbranch_execnz .LBB147_84
; %bb.58:
	s_or_b32 exec_lo, exec_lo, s4
	s_and_saveexec_b32 s4, s0
	s_cbranch_execnz .LBB147_85
.LBB147_59:
	s_or_b32 exec_lo, exec_lo, s4
	s_and_saveexec_b32 s4, s1
	s_cbranch_execnz .LBB147_86
.LBB147_60:
	s_or_b32 exec_lo, exec_lo, s4
	s_and_saveexec_b32 s4, s2
	s_cbranch_execz .LBB147_62
.LBB147_61:
	v_add_nc_u32_e32 v9, v9, v8
	v_mov_b32_e32 v10, 0
	v_lshlrev_b64 v[9:10], 1, v[9:10]
	s_waitcnt lgkmcnt(0)
	v_add_co_u32 v9, s3, s12, v9
	v_add_co_ci_u32_e64 v10, null, s13, v10, s3
	global_store_short_d16_hi v[9:10], v2, off
.LBB147_62:
	s_or_b32 exec_lo, exec_lo, s4
	v_add3_u32 v1, v1, s7, 56
	v_cmp_gt_u32_e64 s3, s8, v1
	s_and_b32 exec_lo, exec_lo, s3
	s_cbranch_execz .LBB147_68
; %bb.63:
	v_mul_lo_u32 v1, v1, s10
	s_and_saveexec_b32 s3, vcc_lo
	s_cbranch_execnz .LBB147_87
; %bb.64:
	s_or_b32 exec_lo, exec_lo, s3
	s_and_saveexec_b32 s3, s0
	s_cbranch_execnz .LBB147_88
.LBB147_65:
	s_or_b32 exec_lo, exec_lo, s3
	s_and_saveexec_b32 s0, s1
	s_cbranch_execnz .LBB147_89
.LBB147_66:
	s_or_b32 exec_lo, exec_lo, s0
	s_and_b32 exec_lo, exec_lo, s2
	s_cbranch_execz .LBB147_68
.LBB147_67:
	v_add_nc_u32_e32 v0, v1, v8
	v_mov_b32_e32 v1, 0
	v_lshlrev_b64 v[0:1], 1, v[0:1]
	s_waitcnt lgkmcnt(0)
	v_add_co_u32 v0, vcc_lo, s12, v0
	v_add_co_ci_u32_e64 v1, null, s13, v1, vcc_lo
	global_store_short v[0:1], v2, off
.LBB147_68:
	s_endpgm
.LBB147_69:
	v_add_nc_u32_e32 v22, v21, v0
	v_mov_b32_e32 v23, 0
	v_lshlrev_b64 v[22:23], 1, v[22:23]
	s_waitcnt lgkmcnt(0)
	v_add_co_u32 v22, s3, s12, v22
	v_add_co_ci_u32_e64 v23, null, s13, v23, s3
	global_store_short v[22:23], v20, off
	s_or_b32 exec_lo, exec_lo, s4
	s_and_saveexec_b32 s4, s0
	s_cbranch_execz .LBB147_29
.LBB147_70:
	v_add_nc_u32_e32 v22, v21, v6
	v_mov_b32_e32 v23, 0
	v_lshlrev_b64 v[22:23], 1, v[22:23]
	s_waitcnt lgkmcnt(0)
	v_add_co_u32 v22, s3, s12, v22
	v_add_co_ci_u32_e64 v23, null, s13, v23, s3
	global_store_short v[22:23], v19, off
	s_or_b32 exec_lo, exec_lo, s4
	s_and_saveexec_b32 s4, s1
	s_cbranch_execz .LBB147_30
.LBB147_71:
	v_add_nc_u32_e32 v19, v21, v7
	v_mov_b32_e32 v20, 0
	v_lshlrev_b64 v[19:20], 1, v[19:20]
	s_waitcnt lgkmcnt(0)
	v_add_co_u32 v19, s3, s12, v19
	v_add_co_ci_u32_e64 v20, null, s13, v20, s3
	global_store_short v[19:20], v18, off
	s_or_b32 exec_lo, exec_lo, s4
	s_and_saveexec_b32 s4, s2
	s_cbranch_execnz .LBB147_31
	s_branch .LBB147_32
.LBB147_72:
	v_add_nc_u32_e32 v18, v17, v0
	v_mov_b32_e32 v19, 0
	v_lshlrev_b64 v[18:19], 1, v[18:19]
	s_waitcnt lgkmcnt(0)
	v_add_co_u32 v18, s3, s12, v18
	v_add_co_ci_u32_e64 v19, null, s13, v19, s3
	global_store_short_d16_hi v[18:19], v16, off
	s_or_b32 exec_lo, exec_lo, s4
	s_and_saveexec_b32 s4, s0
	s_cbranch_execz .LBB147_35
.LBB147_73:
	v_add_nc_u32_e32 v18, v17, v6
	v_mov_b32_e32 v19, 0
	v_lshlrev_b64 v[18:19], 1, v[18:19]
	s_waitcnt lgkmcnt(0)
	v_add_co_u32 v18, s3, s12, v18
	v_add_co_ci_u32_e64 v19, null, s13, v19, s3
	global_store_short_d16_hi v[18:19], v15, off
	s_or_b32 exec_lo, exec_lo, s4
	s_and_saveexec_b32 s4, s1
	s_cbranch_execz .LBB147_36
.LBB147_74:
	v_add_nc_u32_e32 v18, v17, v7
	v_mov_b32_e32 v19, 0
	v_lshlrev_b64 v[18:19], 1, v[18:19]
	s_waitcnt lgkmcnt(0)
	v_add_co_u32 v18, s3, s12, v18
	v_add_co_ci_u32_e64 v19, null, s13, v19, s3
	global_store_short_d16_hi v[18:19], v14, off
	s_or_b32 exec_lo, exec_lo, s4
	s_and_saveexec_b32 s4, s2
	s_cbranch_execnz .LBB147_37
	s_branch .LBB147_38
.LBB147_75:
	v_add_nc_u32_e32 v18, v17, v0
	v_mov_b32_e32 v19, 0
	v_lshlrev_b64 v[18:19], 1, v[18:19]
	s_waitcnt lgkmcnt(0)
	v_add_co_u32 v18, s3, s12, v18
	v_add_co_ci_u32_e64 v19, null, s13, v19, s3
	global_store_short v[18:19], v16, off
	s_or_b32 exec_lo, exec_lo, s4
	s_and_saveexec_b32 s4, s0
	s_cbranch_execz .LBB147_41
.LBB147_76:
	v_add_nc_u32_e32 v18, v17, v6
	v_mov_b32_e32 v19, 0
	v_lshlrev_b64 v[18:19], 1, v[18:19]
	s_waitcnt lgkmcnt(0)
	v_add_co_u32 v18, s3, s12, v18
	v_add_co_ci_u32_e64 v19, null, s13, v19, s3
	global_store_short v[18:19], v15, off
	s_or_b32 exec_lo, exec_lo, s4
	s_and_saveexec_b32 s4, s1
	s_cbranch_execz .LBB147_42
.LBB147_77:
	v_add_nc_u32_e32 v15, v17, v7
	v_mov_b32_e32 v16, 0
	v_lshlrev_b64 v[15:16], 1, v[15:16]
	s_waitcnt lgkmcnt(0)
	v_add_co_u32 v15, s3, s12, v15
	v_add_co_ci_u32_e64 v16, null, s13, v16, s3
	global_store_short v[15:16], v14, off
	s_or_b32 exec_lo, exec_lo, s4
	s_and_saveexec_b32 s4, s2
	s_cbranch_execnz .LBB147_43
	s_branch .LBB147_44
.LBB147_78:
	v_add_nc_u32_e32 v14, v13, v0
	v_mov_b32_e32 v15, 0
	v_lshlrev_b64 v[14:15], 1, v[14:15]
	s_waitcnt lgkmcnt(0)
	v_add_co_u32 v14, s3, s12, v14
	v_add_co_ci_u32_e64 v15, null, s13, v15, s3
	global_store_short_d16_hi v[14:15], v12, off
	s_or_b32 exec_lo, exec_lo, s4
	s_and_saveexec_b32 s4, s0
	s_cbranch_execz .LBB147_47
.LBB147_79:
	v_add_nc_u32_e32 v14, v13, v6
	v_mov_b32_e32 v15, 0
	v_lshlrev_b64 v[14:15], 1, v[14:15]
	s_waitcnt lgkmcnt(0)
	v_add_co_u32 v14, s3, s12, v14
	v_add_co_ci_u32_e64 v15, null, s13, v15, s3
	global_store_short_d16_hi v[14:15], v11, off
	s_or_b32 exec_lo, exec_lo, s4
	s_and_saveexec_b32 s4, s1
	s_cbranch_execz .LBB147_48
.LBB147_80:
	v_add_nc_u32_e32 v14, v13, v7
	v_mov_b32_e32 v15, 0
	v_lshlrev_b64 v[14:15], 1, v[14:15]
	s_waitcnt lgkmcnt(0)
	v_add_co_u32 v14, s3, s12, v14
	v_add_co_ci_u32_e64 v15, null, s13, v15, s3
	global_store_short_d16_hi v[14:15], v10, off
	s_or_b32 exec_lo, exec_lo, s4
	s_and_saveexec_b32 s4, s2
	s_cbranch_execnz .LBB147_49
	s_branch .LBB147_50
.LBB147_81:
	v_add_nc_u32_e32 v14, v13, v0
	v_mov_b32_e32 v15, 0
	v_lshlrev_b64 v[14:15], 1, v[14:15]
	s_waitcnt lgkmcnt(0)
	v_add_co_u32 v14, s3, s12, v14
	v_add_co_ci_u32_e64 v15, null, s13, v15, s3
	global_store_short v[14:15], v12, off
	s_or_b32 exec_lo, exec_lo, s4
	s_and_saveexec_b32 s4, s0
	s_cbranch_execz .LBB147_53
.LBB147_82:
	v_add_nc_u32_e32 v14, v13, v6
	v_mov_b32_e32 v15, 0
	v_lshlrev_b64 v[14:15], 1, v[14:15]
	s_waitcnt lgkmcnt(0)
	v_add_co_u32 v14, s3, s12, v14
	v_add_co_ci_u32_e64 v15, null, s13, v15, s3
	global_store_short v[14:15], v11, off
	s_or_b32 exec_lo, exec_lo, s4
	s_and_saveexec_b32 s4, s1
	s_cbranch_execz .LBB147_54
.LBB147_83:
	v_add_nc_u32_e32 v11, v13, v7
	v_mov_b32_e32 v12, 0
	v_lshlrev_b64 v[11:12], 1, v[11:12]
	s_waitcnt lgkmcnt(0)
	v_add_co_u32 v11, s3, s12, v11
	v_add_co_ci_u32_e64 v12, null, s13, v12, s3
	global_store_short v[11:12], v10, off
	s_or_b32 exec_lo, exec_lo, s4
	s_and_saveexec_b32 s4, s2
	s_cbranch_execnz .LBB147_55
	s_branch .LBB147_56
.LBB147_84:
	v_add_nc_u32_e32 v10, v9, v0
	v_mov_b32_e32 v11, 0
	v_lshlrev_b64 v[10:11], 1, v[10:11]
	s_waitcnt lgkmcnt(0)
	v_add_co_u32 v10, s3, s12, v10
	v_add_co_ci_u32_e64 v11, null, s13, v11, s3
	global_store_short_d16_hi v[10:11], v5, off
	s_or_b32 exec_lo, exec_lo, s4
	s_and_saveexec_b32 s4, s0
	s_cbranch_execz .LBB147_59
.LBB147_85:
	v_add_nc_u32_e32 v10, v9, v6
	v_mov_b32_e32 v11, 0
	v_lshlrev_b64 v[10:11], 1, v[10:11]
	s_waitcnt lgkmcnt(0)
	v_add_co_u32 v10, s3, s12, v10
	v_add_co_ci_u32_e64 v11, null, s13, v11, s3
	global_store_short_d16_hi v[10:11], v4, off
	s_or_b32 exec_lo, exec_lo, s4
	s_and_saveexec_b32 s4, s1
	s_cbranch_execz .LBB147_60
.LBB147_86:
	v_add_nc_u32_e32 v10, v9, v7
	v_mov_b32_e32 v11, 0
	v_lshlrev_b64 v[10:11], 1, v[10:11]
	s_waitcnt lgkmcnt(0)
	v_add_co_u32 v10, s3, s12, v10
	v_add_co_ci_u32_e64 v11, null, s13, v11, s3
	global_store_short_d16_hi v[10:11], v3, off
	s_or_b32 exec_lo, exec_lo, s4
	s_and_saveexec_b32 s4, s2
	s_cbranch_execnz .LBB147_61
	s_branch .LBB147_62
.LBB147_87:
	v_add_nc_u32_e32 v9, v1, v0
	v_mov_b32_e32 v10, 0
	v_lshlrev_b64 v[9:10], 1, v[9:10]
	s_waitcnt lgkmcnt(0)
	v_add_co_u32 v9, vcc_lo, s12, v9
	v_add_co_ci_u32_e64 v10, null, s13, v10, vcc_lo
	global_store_short v[9:10], v5, off
	s_or_b32 exec_lo, exec_lo, s3
	s_and_saveexec_b32 s3, s0
	s_cbranch_execz .LBB147_65
.LBB147_88:
	v_add_nc_u32_e32 v5, v1, v6
	v_mov_b32_e32 v6, 0
	v_lshlrev_b64 v[5:6], 1, v[5:6]
	s_waitcnt lgkmcnt(0)
	v_add_co_u32 v5, vcc_lo, s12, v5
	v_add_co_ci_u32_e64 v6, null, s13, v6, vcc_lo
	global_store_short v[5:6], v4, off
	s_or_b32 exec_lo, exec_lo, s3
	s_and_saveexec_b32 s0, s1
	s_cbranch_execz .LBB147_66
.LBB147_89:
	v_add_nc_u32_e32 v4, v1, v7
	v_mov_b32_e32 v5, 0
	v_lshlrev_b64 v[4:5], 1, v[4:5]
	s_waitcnt lgkmcnt(0)
	v_add_co_u32 v4, vcc_lo, s12, v4
	v_add_co_ci_u32_e64 v5, null, s13, v5, vcc_lo
	global_store_short v[4:5], v3, off
	s_or_b32 exec_lo, exec_lo, s0
	s_and_b32 exec_lo, exec_lo, s2
	s_cbranch_execnz .LBB147_67
	s_branch .LBB147_68
	.section	.rodata,"a",@progbits
	.p2align	6, 0x0
	.amdhsa_kernel _ZL12mul_mat_q2_KIN3c104HalfELb0EEvPKvS3_PT_iiiii
		.amdhsa_group_segment_fixed_size 31392
		.amdhsa_private_segment_fixed_size 12
		.amdhsa_kernarg_size 44
		.amdhsa_user_sgpr_count 6
		.amdhsa_user_sgpr_private_segment_buffer 1
		.amdhsa_user_sgpr_dispatch_ptr 0
		.amdhsa_user_sgpr_queue_ptr 0
		.amdhsa_user_sgpr_kernarg_segment_ptr 1
		.amdhsa_user_sgpr_dispatch_id 0
		.amdhsa_user_sgpr_flat_scratch_init 0
		.amdhsa_user_sgpr_private_segment_size 0
		.amdhsa_wavefront_size32 1
		.amdhsa_uses_dynamic_stack 0
		.amdhsa_system_sgpr_private_segment_wavefront_offset 1
		.amdhsa_system_sgpr_workgroup_id_x 1
		.amdhsa_system_sgpr_workgroup_id_y 1
		.amdhsa_system_sgpr_workgroup_id_z 0
		.amdhsa_system_sgpr_workgroup_info 0
		.amdhsa_system_vgpr_workitem_id 1
		.amdhsa_next_free_vgpr 256
		.amdhsa_next_free_sgpr 20
		.amdhsa_reserve_vcc 1
		.amdhsa_reserve_flat_scratch 0
		.amdhsa_float_round_mode_32 0
		.amdhsa_float_round_mode_16_64 0
		.amdhsa_float_denorm_mode_32 3
		.amdhsa_float_denorm_mode_16_64 3
		.amdhsa_dx10_clamp 1
		.amdhsa_ieee_mode 1
		.amdhsa_fp16_overflow 0
		.amdhsa_workgroup_processor_mode 1
		.amdhsa_memory_ordered 1
		.amdhsa_forward_progress 1
		.amdhsa_shared_vgpr_count 0
		.amdhsa_exception_fp_ieee_invalid_op 0
		.amdhsa_exception_fp_denorm_src 0
		.amdhsa_exception_fp_ieee_div_zero 0
		.amdhsa_exception_fp_ieee_overflow 0
		.amdhsa_exception_fp_ieee_underflow 0
		.amdhsa_exception_fp_ieee_inexact 0
		.amdhsa_exception_int_div_zero 0
	.end_amdhsa_kernel
	.section	.text._ZL12mul_mat_q2_KIN3c104HalfELb0EEvPKvS3_PT_iiiii,"axG",@progbits,_ZL12mul_mat_q2_KIN3c104HalfELb0EEvPKvS3_PT_iiiii,comdat
.Lfunc_end147:
	.size	_ZL12mul_mat_q2_KIN3c104HalfELb0EEvPKvS3_PT_iiiii, .Lfunc_end147-_ZL12mul_mat_q2_KIN3c104HalfELb0EEvPKvS3_PT_iiiii
                                        ; -- End function
	.set _ZL12mul_mat_q2_KIN3c104HalfELb0EEvPKvS3_PT_iiiii.num_vgpr, 256
	.set _ZL12mul_mat_q2_KIN3c104HalfELb0EEvPKvS3_PT_iiiii.num_agpr, 0
	.set _ZL12mul_mat_q2_KIN3c104HalfELb0EEvPKvS3_PT_iiiii.numbered_sgpr, 20
	.set _ZL12mul_mat_q2_KIN3c104HalfELb0EEvPKvS3_PT_iiiii.num_named_barrier, 0
	.set _ZL12mul_mat_q2_KIN3c104HalfELb0EEvPKvS3_PT_iiiii.private_seg_size, 12
	.set _ZL12mul_mat_q2_KIN3c104HalfELb0EEvPKvS3_PT_iiiii.uses_vcc, 1
	.set _ZL12mul_mat_q2_KIN3c104HalfELb0EEvPKvS3_PT_iiiii.uses_flat_scratch, 0
	.set _ZL12mul_mat_q2_KIN3c104HalfELb0EEvPKvS3_PT_iiiii.has_dyn_sized_stack, 0
	.set _ZL12mul_mat_q2_KIN3c104HalfELb0EEvPKvS3_PT_iiiii.has_recursion, 0
	.set _ZL12mul_mat_q2_KIN3c104HalfELb0EEvPKvS3_PT_iiiii.has_indirect_call, 0
	.section	.AMDGPU.csdata,"",@progbits
; Kernel info:
; codeLenInByte = 27200
; TotalNumSgprs: 22
; NumVgprs: 256
; ScratchSize: 12
; MemoryBound: 0
; FloatMode: 240
; IeeeMode: 1
; LDSByteSize: 31392 bytes/workgroup (compile time only)
; SGPRBlocks: 0
; VGPRBlocks: 31
; NumSGPRsForWavesPerEU: 22
; NumVGPRsForWavesPerEU: 256
; Occupancy: 4
; WaveLimiterHint : 0
; COMPUTE_PGM_RSRC2:SCRATCH_EN: 1
; COMPUTE_PGM_RSRC2:USER_SGPR: 6
; COMPUTE_PGM_RSRC2:TRAP_HANDLER: 0
; COMPUTE_PGM_RSRC2:TGID_X_EN: 1
; COMPUTE_PGM_RSRC2:TGID_Y_EN: 1
; COMPUTE_PGM_RSRC2:TGID_Z_EN: 0
; COMPUTE_PGM_RSRC2:TIDIG_COMP_CNT: 1
	.section	.text._ZL12mul_mat_q2_KIN3c104HalfELb1EEvPKvS3_PT_iiiii,"axG",@progbits,_ZL12mul_mat_q2_KIN3c104HalfELb1EEvPKvS3_PT_iiiii,comdat
	.globl	_ZL12mul_mat_q2_KIN3c104HalfELb1EEvPKvS3_PT_iiiii ; -- Begin function _ZL12mul_mat_q2_KIN3c104HalfELb1EEvPKvS3_PT_iiiii
	.p2align	8
	.type	_ZL12mul_mat_q2_KIN3c104HalfELb1EEvPKvS3_PT_iiiii,@function
_ZL12mul_mat_q2_KIN3c104HalfELb1EEvPKvS3_PT_iiiii: ; @_ZL12mul_mat_q2_KIN3c104HalfELb1EEvPKvS3_PT_iiiii
; %bb.0:
	s_mov_b64 s[18:19], s[2:3]
	s_mov_b64 s[16:17], s[0:1]
	s_add_u32 s16, s16, s8
	s_clause 0x1
	s_load_dwordx4 s[8:11], s[4:5], 0x18
	s_load_dword s14, s[4:5], 0x28
	s_addc_u32 s17, s17, 0
	s_lshl_b32 s7, s7, 6
	v_add_nc_u32_e32 v39, s7, v1
	s_waitcnt lgkmcnt(0)
	s_cmpk_gt_i32 s8, 0xff
	s_cbranch_scc1 .LBB148_2
; %bb.1:
	v_add_nc_u32_e32 v6, s7, v1
	s_mov_b32 s0, 0
	s_branch .LBB148_3
.LBB148_2:
	s_mov_b32 s0, -1
                                        ; implicit-def: $vgpr6
.LBB148_3:
	s_load_dwordx2 s[12:13], s[4:5], 0x10
	v_mov_b32_e32 v2, 0
	v_mov_b32_e32 v9, 0
	v_mov_b32_e32 v13, 0
	v_mov_b32_e32 v17, 0
	v_mov_b32_e32 v3, 0
	v_mov_b32_e32 v10, 0
	v_mov_b32_e32 v14, 0
	v_mov_b32_e32 v18, 0
	v_mov_b32_e32 v4, 0
	v_mov_b32_e32 v11, 0
	v_mov_b32_e32 v15, 0
	v_mov_b32_e32 v19, 0
	v_mov_b32_e32 v5, 0
	v_mov_b32_e32 v12, 0
	v_mov_b32_e32 v16, 0
	v_mov_b32_e32 v20, 0
	s_lshl_b32 s6, s6, 7
	s_andn2_b32 vcc_lo, exec_lo, s0
	s_mov_b32 s15, 0
	s_cbranch_vccnz .LBB148_17
; %bb.4:
	s_load_dwordx4 s[0:3], s[4:5], 0x0
	s_ashr_i32 s4, s8, 31
	s_ashr_i32 s5, s11, 31
	s_lshr_b32 s4, s4, 24
	s_lshr_b32 s5, s5, 27
	s_add_i32 s4, s8, s4
	s_add_i32 s5, s11, s5
	s_ashr_i32 s4, s4, 8
	s_ashr_i32 s11, s5, 5
	s_mul_i32 s8, s4, s6
	v_add_nc_u32_e32 v17, 8, v1
	s_mul_i32 s5, s8, 0x54
	s_mul_hi_i32 s8, s8, 0x54
	v_lshlrev_b32_e32 v2, 2, v0
	v_add_nc_u32_e32 v19, 16, v1
	v_add_nc_u32_e32 v40, 24, v1
	;; [unrolled: 1-line block ×6, first 2 shown]
	s_waitcnt lgkmcnt(0)
	s_add_u32 s5, s0, s5
	s_addc_u32 s8, s1, s8
	s_not_b32 s0, s6
	v_lshlrev_b32_e32 v45, 4, v1
	s_add_i32 s0, s9, s0
	v_lshrrev_b32_e32 v8, 3, v0
	v_min_i32_e32 v3, s0, v1
	v_min_i32_e32 v4, s0, v17
	v_min_i32_e32 v5, s0, v19
	v_add_nc_u32_e32 v9, 16, v39
	v_lshl_add_u32 v37, v1, 2, v8
	v_mul_lo_u32 v6, v3, s4
	v_mov_b32_e32 v21, v8
	v_and_b32_e32 v8, 7, v0
	v_add_nc_u32_e32 v11, 24, v39
	v_min_i32_e32 v46, s0, v37
	v_add_nc_u32_e32 v13, 32, v39
	v_add_nc_u32_e32 v15, 40, v39
	v_lshlrev_b32_e32 v50, 2, v8
	buffer_store_dword v6, off, s[16:19], 0 ; 4-byte Folded Spill
	v_mad_u64_u32 v[6:7], null, 0x84, v3, v[2:3]
	v_mul_lo_u32 v3, v4, s4
	s_add_i32 s1, s10, -1
	v_cvt_f64_u32_e32 v[9:10], v9
	v_cvt_f64_u32_e32 v[11:12], v11
	buffer_store_dword v6, off, s[16:19], 0 offset:4 ; 4-byte Folded Spill
	buffer_store_dword v7, off, s[16:19], 0 offset:8 ; 4-byte Folded Spill
	v_lshrrev_b32_e32 v6, 1, v0
	buffer_store_dword v3, off, s[16:19], 0 offset:12 ; 4-byte Folded Spill
	v_mad_u64_u32 v[3:4], null, 0x84, v4, v[2:3]
	v_add_nc_u32_e32 v7, 0x78, v1
	buffer_store_dword v3, off, s[16:19], 0 offset:16 ; 4-byte Folded Spill
	buffer_store_dword v4, off, s[16:19], 0 offset:20 ; 4-byte Folded Spill
	v_mul_lo_u32 v4, v5, s4
	v_min_i32_e32 v3, s0, v40
	v_add_nc_u32_e32 v6, v6, v45
	v_cvt_f64_u32_e32 v[13:14], v13
	v_cvt_f64_u32_e32 v[15:16], v15
	buffer_store_dword v39, off, s[16:19], 0 offset:44 ; 4-byte Folded Spill
	v_mad_u64_u32 v[22:23], null, 0x84, v5, v[2:3]
	buffer_store_dword v4, off, s[16:19], 0 offset:24 ; 4-byte Folded Spill
	v_mul_lo_u32 v91, v3, s4
	v_min_i32_e32 v4, s0, v41
	v_mad_u64_u32 v[23:24], null, 0x84, v3, v[2:3]
	v_min_i32_e32 v3, s0, v42
	v_add_nc_u32_e32 v5, 64, v1
	v_mul_lo_u32 v92, v4, s4
	v_add_nc_u32_e32 v53, 0x60, v37
	v_cmp_lt_u32_e32 vcc_lo, 3, v8
	v_mad_u64_u32 v[24:25], null, 0x84, v4, v[2:3]
	v_min_i32_e32 v4, s0, v43
	v_mul_lo_u32 v93, v3, s4
	v_mad_u64_u32 v[25:26], null, 0x84, v3, v[2:3]
	v_min_i32_e32 v3, s0, v44
	v_mul_lo_u32 v94, v4, s4
	v_min_i32_e32 v5, s0, v5
	v_min_i32_e32 v53, s0, v53
	v_and_b32_e32 v87, 60, v2
	v_mad_u64_u32 v[26:27], null, 0x84, v4, v[2:3]
	v_add_nc_u32_e32 v4, 0x48, v1
	v_mul_lo_u32 v95, v3, s4
	v_mad_u64_u32 v[27:28], null, 0x84, v3, v[2:3]
	v_mul_lo_u32 v96, v5, s4
	v_min_i32_e32 v3, s0, v4
	v_add_nc_u32_e32 v4, 0x50, v1
	v_ashrrev_i32_e32 v56, 31, v53
	v_and_b32_e32 v108, 12, v2
	buffer_store_dword v1, off, s[16:19], 0 offset:36 ; 4-byte Folded Spill
	v_mad_u64_u32 v[28:29], null, 0x84, v5, v[2:3]
	v_add_nc_u32_e32 v5, 0x58, v1
	v_mul_lo_u32 v97, v3, s4
	v_min_i32_e32 v4, s0, v4
	v_mad_u64_u32 v[29:30], null, 0x84, v3, v[2:3]
	v_min_i32_e32 v3, s0, v5
	v_add_nc_u32_e32 v5, 0x60, v1
	v_mul_lo_u32 v98, v4, s4
	v_lshrrev_b32_e32 v56, 30, v56
	v_mov_b32_e32 v18, 0
	v_mad_u64_u32 v[30:31], null, 0x84, v4, v[2:3]
	v_min_i32_e32 v4, s0, v5
	v_and_b32_e32 v5, 0x7f, v6
	v_mul_lo_u32 v99, v3, s4
	v_mad_u64_u32 v[31:32], null, 0x84, v3, v[2:3]
	v_add_nc_u32_e32 v6, 0x68, v1
	v_min_i32_e32 v3, s0, v5
	v_mul_lo_u32 v100, v4, s4
	v_add_nc_u32_e32 v56, v53, v56
	v_mul_lo_u32 v109, v46, s4
	v_min_i32_e32 v5, s0, v6
	v_mad_u64_u32 v[32:33], null, 0x84, v4, v[2:3]
	v_ashrrev_i32_e32 v4, 31, v3
	v_add_nc_u32_e32 v6, 0x70, v1
	v_mad_u64_u32 v[33:34], null, 0x84, v5, v[2:3]
	v_mul_lo_u32 v102, v5, s4
	v_lshrrev_b32_e32 v4, 28, v4
	v_min_i32_e32 v6, s0, v6
	v_min_i32_e32 v5, s0, v7
	v_and_b32_e32 v7, 1, v0
	v_mul_lo_u32 v106, v3, s4
	v_add_nc_u32_e32 v4, v3, v4
	v_mul_lo_u32 v103, v6, s4
	v_mad_u64_u32 v[34:35], null, 0x84, v6, v[2:3]
	v_ashrrev_i32_e32 v6, 31, v46
	v_ashrrev_i32_e32 v4, 4, v4
	v_mul_lo_u32 v104, v5, s4
	v_mad_u64_u32 v[35:36], null, 0x84, v5, v[2:3]
	v_mov_b32_e32 v90, v7
	v_lshlrev_b32_e32 v4, 2, v4
	v_lshlrev_b32_e32 v5, 2, v7
	v_lshrrev_b32_e32 v6, 30, v6
	v_add_nc_u32_e32 v7, 32, v37
	v_lshlrev_b32_e32 v48, 3, v3
	v_add_nc_u32_e32 v36, 48, v39
	v_add3_u32 v47, v4, v5, 0x7280
	v_add_nc_u32_e32 v4, v46, v6
	v_min_i32_e32 v49, s0, v7
	v_add_nc_u32_e32 v5, 64, v37
	v_add_nc_u32_e32 v7, 8, v39
	v_cvt_f64_u32_e32 v[36:37], v36
	v_and_b32_e32 v3, -4, v4
	v_ashrrev_i32_e32 v4, 31, v49
	v_min_i32_e32 v52, s0, v5
	v_cvt_f64_u32_e32 v[5:6], v39
	v_add_nc_u32_e32 v39, 56, v39
	v_add3_u32 v51, v3, v50, 0x6200
	v_lshrrev_b32_e32 v38, 30, v4
	v_cvt_f64_i32_e32 v[3:4], s1
	v_cvt_f64_u32_e32 v[7:8], v7
	v_ashrrev_i32_e32 v55, 31, v52
	v_and_b32_e32 v2, 28, v2
	v_add_nc_u32_e32 v54, v49, v38
	v_cvt_f64_u32_e32 v[38:39], v39
	v_lshlrev_b32_e32 v46, 5, v46
	v_lshrrev_b32_e32 v55, 30, v55
	v_mul_lo_u32 v110, v49, s4
	v_and_b32_e32 v54, -4, v54
	v_lshlrev_b32_e32 v49, 5, v49
	v_mul_lo_u32 v111, v52, s4
	v_add_nc_u32_e32 v55, v52, v55
	v_lshlrev_b32_e32 v52, 5, v52
	v_add3_u32 v54, v54, v50, 0x6200
	v_lshrrev_b32_e32 v20, 4, v0
	v_mul_lo_u32 v112, v53, s4
	v_and_b32_e32 v55, -4, v55
	v_add_nc_u32_e32 v126, 0x76a0, v45
	v_add_nc_u32_e32 v136, v47, v48
	v_add_nc_u32_e32 v137, v51, v46
	v_add_nc_u32_e32 v138, v54, v49
	v_min_f64 v[9:10], v[9:10], v[3:4]
	v_min_f64 v[11:12], v[11:12], v[3:4]
	;; [unrolled: 1-line block ×8, first 2 shown]
	v_lshrrev_b32_e32 v38, 2, v0
	v_and_b32_e32 v39, -4, v56
	v_add3_u32 v55, v55, v50, 0x6200
	v_cndmask_b32_e64 v107, 0, 1, vcc_lo
	v_mov_b32_e32 v89, v20
	v_lshl_add_u32 v38, v1, 3, v38
	v_add3_u32 v39, v39, v50, 0x6200
	v_lshlrev_b32_e32 v50, 5, v53
	v_add_nc_u32_e32 v139, v55, v52
	v_lshlrev_b32_e32 v149, 2, v20
	v_mov_b32_e32 v157, 0xffff
	v_mov_b32_e32 v158, 15
	v_add_nc_u32_e32 v140, v39, v50
	buffer_store_dword v0, off, s[16:19], 0 offset:40 ; 4-byte Folded Spill
	v_cvt_i32_f64_e32 v9, v[9:10]
	v_cvt_i32_f64_e32 v10, v[11:12]
	;; [unrolled: 1-line block ×8, first 2 shown]
	v_and_b32_e32 v8, 63, v38
	v_and_b32_e32 v5, 3, v0
	v_and_b32_e32 v11, 31, v0
	v_or_b32_e32 v13, s7, v8
	v_lshlrev_b32_e32 v15, 2, v5
	v_lshl_or_b32 v11, v11, 2, 0x4200
	v_min_i32_e32 v4, s1, v13
	v_lshl_or_b32 v8, v8, 4, v15
	v_mul_u32_u24_e32 v13, 33, v0
	v_lshlrev_b32_e32 v15, 1, v0
	v_mul_lo_u32 v116, s11, v9
	v_mul_lo_u32 v117, s11, v10
	;; [unrolled: 1-line block ×4, first 2 shown]
	v_add_nc_u32_e32 v14, 64, v0
	v_mad_u64_u32 v[36:37], null, v4, s11, v[5:6]
	v_lshlrev_b32_e32 v4, 7, v1
	v_mul_lo_u32 v120, s11, v16
	v_add_nc_u32_e32 v12, 32, v0
	v_add_nc_u32_e32 v16, 0x60, v0
	v_lshrrev_b32_e32 v1, 3, v14
	v_add_nc_u32_e32 v113, 0x76a0, v8
	v_mul_lo_u32 v115, s11, v7
	v_lshlrev_b32_e32 v5, 7, v17
	v_lshlrev_b32_e32 v7, 7, v40
	v_lshlrev_b32_e32 v8, 7, v41
	v_lshlrev_b32_e32 v9, 7, v42
	v_lshlrev_b32_e32 v10, 7, v43
	v_mul_lo_u32 v121, s11, v3
	v_lshlrev_b32_e32 v3, 7, v44
	v_lshlrev_b32_e32 v17, 1, v12
	v_lshrrev_b32_e32 v40, 4, v12
	v_lshlrev_b32_e32 v41, 1, v14
	v_lshrrev_b32_e32 v42, 4, v14
	;; [unrolled: 2-line block ×3, first 2 shown]
	v_lshrrev_b32_e32 v122, 3, v12
	buffer_store_dword v1, off, s[16:19], 0 offset:28 ; 4-byte Folded Spill
	v_lshrrev_b32_e32 v1, 3, v16
	v_add_co_u32 v37, s0, s2, v2
	v_lshlrev_b32_e32 v125, 2, v13
	v_lshlrev_b32_e32 v2, 5, v0
	v_and_b32_e32 v13, 0xfc, v0
	v_and_b32_e32 v12, 0x1fc, v12
	;; [unrolled: 1-line block ×4, first 2 shown]
	v_mul_lo_u32 v114, s11, v6
	v_lshlrev_b32_e32 v6, 7, v19
	v_mov_b32_e32 v19, v18
	v_add_nc_u32_e32 v127, v2, v13
	v_add_nc_u32_e32 v128, v2, v12
	;; [unrolled: 1-line block ×4, first 2 shown]
	v_lshlrev_b32_e32 v151, 2, v40
	v_lshlrev_b32_e32 v153, 2, v42
	;; [unrolled: 1-line block ×5, first 2 shown]
	v_mov_b32_e32 v60, v19
	v_mov_b32_e32 v50, v19
	;; [unrolled: 1-line block ×15, first 2 shown]
	v_add_co_ci_u32_e64 v38, null, s3, 0, s0
	v_add_nc_u32_e32 v131, 0x4200, v4
	v_add_nc_u32_e32 v132, 0x6200, v127
	;; [unrolled: 1-line block ×13, first 2 shown]
	v_lshlrev_b32_e32 v150, 2, v15
	v_lshlrev_b32_e32 v152, 2, v17
	v_mov_b32_e32 v59, v18
	v_mov_b32_e32 v49, v18
	;; [unrolled: 1-line block ×15, first 2 shown]
	buffer_store_dword v1, off, s[16:19], 0 offset:32 ; 4-byte Folded Spill
	s_branch .LBB148_6
.LBB148_5:                              ;   in Loop: Header=BB148_6 Depth=1
	s_add_i32 s15, s15, 2
	s_cmp_ge_i32 s15, s4
	s_cbranch_scc1 .LBB148_16
.LBB148_6:                              ; =>This Loop Header: Depth=1
                                        ;     Child Loop BB148_7 Depth 2
                                        ;     Child Loop BB148_9 Depth 2
	;; [unrolled: 1-line block ×4, first 2 shown]
	buffer_load_dword v0, off, s[16:19], 0  ; 4-byte Folded Reload
	s_mul_i32 s0, s15, 0x54
	s_mul_hi_u32 s1, s15, 0x54
	s_add_u32 s0, s5, s0
	s_addc_u32 s1, s8, s1
	s_lshl_b32 s9, s15, 3
	v_mad_u64_u32 v[2:3], null, 0x54, v89, s[0:1]
	v_add_nc_u32_e32 v160, s9, v21
	v_add_nc_u32_e32 v159, s9, v36
	;; [unrolled: 1-line block ×3, first 2 shown]
	v_mad_i64_i32 v[10:11], null, 0x54, v91, v[2:3]
	v_mad_i64_i32 v[12:13], null, 0x54, v92, v[2:3]
	;; [unrolled: 1-line block ×4, first 2 shown]
	v_add_nc_u32_e32 v75, v160, v115
	v_mad_i64_i32 v[69:70], null, 0x54, v95, v[2:3]
	v_add_nc_u32_e32 v77, v160, v116
	v_add_nc_u32_e32 v79, v160, v117
	;; [unrolled: 1-line block ×3, first 2 shown]
	v_mad_u64_u32 v[83:84], null, v159, 36, s[2:3]
	v_mad_i64_i32 v[73:74], null, v73, 36, v[37:38]
	v_add_nc_u32_e32 v161, v160, v119
	v_mad_i64_i32 v[75:76], null, v75, 36, v[37:38]
	v_add_nc_u32_e32 v162, v160, v120
	;; [unrolled: 2-line block ×3, first 2 shown]
	v_mad_i64_i32 v[79:80], null, v79, 36, v[37:38]
	v_mad_i64_i32 v[81:82], null, v81, 36, v[37:38]
	;; [unrolled: 1-line block ×6, first 2 shown]
	s_waitcnt vmcnt(0)
	v_mad_i64_i32 v[4:5], null, 0x54, v0, v[2:3]
	buffer_load_dword v0, off, s[16:19], 0 offset:12 ; 4-byte Folded Reload
	v_add_co_u32 v4, vcc_lo, v4, v87
	v_add_co_ci_u32_e64 v5, null, 0, v5, vcc_lo
	s_waitcnt vmcnt(0)
	v_mad_i64_i32 v[6:7], null, 0x54, v0, v[2:3]
	buffer_load_dword v0, off, s[16:19], 0 offset:24 ; 4-byte Folded Reload
	v_add_co_u32 v6, vcc_lo, v6, v87
	v_add_co_ci_u32_e64 v7, null, 0, v7, vcc_lo
	s_waitcnt vmcnt(0)
	v_mad_i64_i32 v[8:9], null, 0x54, v0, v[2:3]
	v_add_co_u32 v8, vcc_lo, v8, v87
	v_add_co_ci_u32_e64 v9, null, 0, v9, vcc_lo
	v_add_co_u32 v10, vcc_lo, v10, v87
	v_add_co_ci_u32_e64 v11, null, 0, v11, vcc_lo
	;; [unrolled: 2-line block ×6, first 2 shown]
	s_clause 0x7
	global_load_dword v166, v[4:5], off offset:16
	global_load_dword v167, v[6:7], off offset:16
	global_load_dword v168, v[8:9], off offset:16
	global_load_dword v169, v[10:11], off offset:16
	global_load_dword v170, v[12:13], off offset:16
	global_load_dword v171, v[14:15], off offset:16
	global_load_dword v172, v[16:17], off offset:16
	global_load_dword v173, v[69:70], off offset:16
	s_clause 0x8
	global_load_dword v83, v[83:84], off
	global_load_dword v84, v[73:74], off offset:4
	global_load_dword v174, v[75:76], off offset:4
	;; [unrolled: 1-line block ×8, first 2 shown]
	v_mad_i64_i32 v[4:5], null, 0x54, v97, v[2:3]
	v_mad_i64_i32 v[8:9], null, 0x54, v98, v[2:3]
	;; [unrolled: 1-line block ×3, first 2 shown]
	v_add_co_u32 v6, vcc_lo, v71, v87
	v_mad_i64_i32 v[12:13], null, 0x54, v100, v[2:3]
	v_add_co_ci_u32_e64 v7, null, 0, v72, vcc_lo
	v_add_co_u32 v4, vcc_lo, v4, v87
	v_mad_i64_i32 v[14:15], null, 0x54, v102, v[2:3]
	v_add_co_ci_u32_e64 v5, null, 0, v5, vcc_lo
	;; [unrolled: 3-line block ×4, first 2 shown]
	v_add_co_u32 v12, vcc_lo, v12, v87
	v_mad_u64_u32 v[69:70], null, 0x54, v107, s[0:1]
	v_add_co_ci_u32_e64 v13, null, 0, v13, vcc_lo
	v_add_co_u32 v14, vcc_lo, v14, v87
	v_add_co_ci_u32_e64 v15, null, 0, v15, vcc_lo
	v_add_co_u32 v16, vcc_lo, v16, v87
	;; [unrolled: 2-line block ×3, first 2 shown]
	v_mad_i64_i32 v[71:72], null, 0x54, v106, s[0:1]
	v_add_co_ci_u32_e64 v3, null, 0, v3, vcc_lo
	v_add_co_u32 v69, vcc_lo, v69, v108
	v_add_co_ci_u32_e64 v70, null, 0, v70, vcc_lo
	v_mad_u64_u32 v[71:72], null, 0x54, v90, v[71:72]
	v_mov_b32_e32 v160, v131
	v_mad_i64_i32 v[73:74], null, 0x54, v109, v[69:70]
	v_mad_i64_i32 v[75:76], null, 0x54, v110, v[69:70]
	;; [unrolled: 1-line block ×4, first 2 shown]
	s_clause 0xc
	global_load_dword v6, v[6:7], off offset:16
	global_load_dword v4, v[4:5], off offset:16
	;; [unrolled: 1-line block ×9, first 2 shown]
	global_load_dword v11, v[73:74], off
	global_load_dword v12, v[75:76], off
	;; [unrolled: 1-line block ×4, first 2 shown]
	v_mov_b32_e32 v161, v126
	s_mov_b32 s0, 0
	s_waitcnt vmcnt(21)
	v_cvt_f32_f16_e32 v15, v83
	s_waitcnt vmcnt(20)
	ds_write_b32 v141, v84
	s_waitcnt vmcnt(19)
	ds_write_b32 v142, v174
	;; [unrolled: 2-line block ×8, first 2 shown]
	ds_write_b32 v113, v15
	s_clause 0x1
	buffer_load_dword v0, off, s[16:19], 0 offset:4
	buffer_load_dword v1, off, s[16:19], 0 offset:8
	s_waitcnt vmcnt(1)
	ds_write_b32 v0, v166
	s_clause 0x1
	buffer_load_dword v0, off, s[16:19], 0 offset:16
	buffer_load_dword v1, off, s[16:19], 0 offset:20
	s_waitcnt vmcnt(1)
	ds_write_b32 v0, v167
	ds_write_b32 v22, v168
	;; [unrolled: 1-line block ×20, first 2 shown]
	s_waitcnt vmcnt(0) lgkmcnt(0)
	s_waitcnt_vscnt null, 0x0
	s_barrier
	buffer_gl0_inv
.LBB148_7:                              ;   Parent Loop BB148_6 Depth=1
                                        ; =>  This Inner Loop Header: Depth=2
	s_and_b32 s11, s0, 0x3ffffff8
	s_and_b32 s1, s0, -16
	v_lshl_add_u32 v230, s11, 2, v125
	ds_read_b128 v[2:5], v160
	ds_read_b128 v[206:209], v160 offset:16
	ds_read_b128 v[177:180], v160 offset:1024
	;; [unrolled: 1-line block ×7, first 2 shown]
	v_add_nc_u32_e32 v191, 0x1080, v230
	v_add_nc_u32_e32 v193, 0x1088, v230
	s_add_i32 s1, s0, s1
	ds_read2_b32 v[175:176], v230 offset1:1
	ds_read2_b32 v[189:190], v230 offset0:2 offset1:3
	ds_read2_b32 v[222:223], v230 offset0:4 offset1:5
	;; [unrolled: 1-line block ×3, first 2 shown]
	v_add_nc_u32_e32 v195, 0x2100, v230
	v_add_nc_u32_e32 v198, 0x2108, v230
	;; [unrolled: 1-line block ×10, first 2 shown]
	ds_read2_b32 v[191:192], v191 offset1:1
	ds_read2_b32 v[193:194], v193 offset1:1
	;; [unrolled: 1-line block ×6, first 2 shown]
	ds_read_u16 v198, v79
	ds_read_u16 v81, v81
	ds_read2_b32 v[201:202], v203 offset1:1
	ds_read2_b32 v[203:204], v204 offset1:1
	ds_read_u16 v79, v84
	ds_read_u16 v84, v197
	v_mov_b32_e32 v76, 0
	v_mov_b32_e32 v69, 0
	;; [unrolled: 1-line block ×5, first 2 shown]
	s_waitcnt lgkmcnt(15)
	v_ashrrev_i32_e32 v175, s0, v175
	v_ashrrev_i32_e32 v176, s0, v176
	s_waitcnt lgkmcnt(14)
	v_ashrrev_i32_e32 v189, s0, v189
	v_mov_b32_e32 v163, 0
	v_mov_b32_e32 v165, 0
	v_and_b32_e32 v231, 0x3030303, v175
	v_and_b32_e32 v232, 0x3030303, v176
	;; [unrolled: 1-line block ×3, first 2 shown]
	s_waitcnt lgkmcnt(11)
	v_ashrrev_i32_e32 v175, s0, v191
	v_ashrrev_i32_e32 v176, s0, v192
	s_waitcnt lgkmcnt(10)
	v_ashrrev_i32_e32 v189, s0, v193
	v_ashrrev_i32_e32 v191, s0, v194
	;; [unrolled: 3-line block ×6, first 2 shown]
	v_bfe_u32 v201, v198, 4, 4
	v_bfe_u32 v202, v81, 4, 4
	s_waitcnt lgkmcnt(1)
	v_bfe_u32 v203, v79, 4, 4
	s_waitcnt lgkmcnt(0)
	v_bfe_u32 v204, v84, 4, 4
	v_mov_b32_e32 v167, 0
	v_mul_lo_u32 v243, 0x1010101, v201
	v_mul_lo_u32 v244, 0x1010101, v202
	;; [unrolled: 1-line block ×4, first 2 shown]
	v_and_b32_e32 v234, 0x3030303, v175
	v_and_b32_e32 v192, 0x3030303, v192
	;; [unrolled: 1-line block ×3, first 2 shown]
	v_dot4c_i32_i8 v76, v231, v2
	v_and_b32_e32 v235, 0x3030303, v176
	v_and_b32_e32 v193, 0x3030303, v193
	;; [unrolled: 1-line block ×3, first 2 shown]
	v_dot4c_i32_i8 v69, v234, v2
	v_dot4c_i32_i8 v71, v192, v2
	v_dot4c_i32_i8 v74, v239, v2
	v_dot4c_i32_i8 v174, v243, v2
	v_dot4c_i32_i8 v163, v244, v2
	v_dot4c_i32_i8 v165, v245, v2
	v_dot4c_i32_i8 v167, v246, v2
	v_ashrrev_i32_e32 v190, s0, v190
	v_and_b32_e32 v236, 0x3030303, v189
	v_and_b32_e32 v237, 0x3030303, v194
	;; [unrolled: 1-line block ×3, first 2 shown]
	v_dot4c_i32_i8 v76, v232, v3
	v_dot4c_i32_i8 v69, v235, v3
	;; [unrolled: 1-line block ×8, first 2 shown]
	v_mov_b32_e32 v77, 0
	v_mov_b32_e32 v162, 0
	;; [unrolled: 1-line block ×8, first 2 shown]
	v_and_b32_e32 v190, 0x3030303, v190
	v_and_b32_e32 v191, 0x3030303, v191
	;; [unrolled: 1-line block ×4, first 2 shown]
	v_dot4c_i32_i8 v76, v233, v4
	v_dot4c_i32_i8 v69, v236, v4
	;; [unrolled: 1-line block ×24, first 2 shown]
	ds_read_b128 v[2:5], v160 offset:4096
	ds_read_b128 v[210:213], v160 offset:4112
	v_dot4c_i32_i8 v77, v232, v178
	v_dot4c_i32_i8 v70, v235, v178
	;; [unrolled: 1-line block ×8, first 2 shown]
	v_mov_b32_e32 v78, 0
	v_mov_b32_e32 v169, 0
	;; [unrolled: 1-line block ×8, first 2 shown]
	v_dot4c_i32_i8 v77, v233, v179
	v_dot4c_i32_i8 v70, v236, v179
	;; [unrolled: 1-line block ×24, first 2 shown]
	v_mov_b32_e32 v204, 0
	v_mov_b32_e32 v247, 0
	;; [unrolled: 1-line block ×8, first 2 shown]
	s_waitcnt lgkmcnt(1)
	v_dot4c_i32_i8 v204, v231, v2
	v_dot4c_i32_i8 v247, v234, v2
	;; [unrolled: 1-line block ×32, first 2 shown]
	ds_read_b128 v[2:5], v160 offset:5120
	ds_read_b128 v[214:217], v160 offset:5136
	v_dot4c_i32_i8 v78, v232, v182
	v_dot4c_i32_i8 v75, v235, v182
	;; [unrolled: 1-line block ×8, first 2 shown]
	v_mov_b32_e32 v80, 0
	v_mov_b32_e32 v173, 0
	;; [unrolled: 1-line block ×8, first 2 shown]
	v_dot4c_i32_i8 v78, v233, v183
	v_dot4c_i32_i8 v75, v236, v183
	;; [unrolled: 1-line block ×24, first 2 shown]
	v_mov_b32_e32 v248, 0
	v_mov_b32_e32 v249, 0
	;; [unrolled: 1-line block ×8, first 2 shown]
	s_waitcnt lgkmcnt(1)
	v_dot4c_i32_i8 v248, v231, v2
	v_dot4c_i32_i8 v249, v234, v2
	;; [unrolled: 1-line block ×32, first 2 shown]
	ds_read_b128 v[2:5], v160 offset:6144
	ds_read_b128 v[218:221], v160 offset:6160
	v_dot4c_i32_i8 v80, v232, v186
	v_dot4c_i32_i8 v201, v235, v186
	;; [unrolled: 1-line block ×24, first 2 shown]
	v_mov_b32_e32 v251, 0
	v_mov_b32_e32 v252, 0
	;; [unrolled: 1-line block ×8, first 2 shown]
	s_waitcnt lgkmcnt(1)
	v_dot4c_i32_i8 v251, v231, v2
	v_dot4c_i32_i8 v252, v234, v2
	v_dot4c_i32_i8 v253, v192, v2
	v_dot4c_i32_i8 v254, v239, v2
	v_dot4c_i32_i8 v186, v243, v2
	v_dot4c_i32_i8 v187, v244, v2
	v_dot4c_i32_i8 v188, v245, v2
	v_dot4c_i32_i8 v189, v246, v2
	v_dot4c_i32_i8 v251, v232, v3
	v_dot4c_i32_i8 v252, v235, v3
	v_dot4c_i32_i8 v253, v193, v3
	v_dot4c_i32_i8 v254, v240, v3
	v_dot4c_i32_i8 v186, v243, v3
	v_dot4c_i32_i8 v187, v244, v3
	v_dot4c_i32_i8 v188, v245, v3
	v_dot4c_i32_i8 v189, v246, v3
	v_dot4c_i32_i8 v251, v233, v4
	v_dot4c_i32_i8 v252, v236, v4
	v_dot4c_i32_i8 v253, v237, v4
	v_dot4c_i32_i8 v254, v241, v4
	v_dot4c_i32_i8 v186, v243, v4
	v_dot4c_i32_i8 v187, v244, v4
	v_dot4c_i32_i8 v188, v245, v4
	v_dot4c_i32_i8 v189, v246, v4
	v_dot4c_i32_i8 v251, v190, v5
	v_dot4c_i32_i8 v252, v191, v5
	v_dot4c_i32_i8 v253, v238, v5
	v_dot4c_i32_i8 v254, v242, v5
	v_dot4c_i32_i8 v186, v243, v5
	v_dot4c_i32_i8 v187, v244, v5
	v_dot4c_i32_i8 v188, v245, v5
	v_dot4c_i32_i8 v189, v246, v5
	ds_read_b128 v[194:197], v160 offset:7168
	ds_read_b128 v[2:5], v160 offset:7184
	v_mov_b32_e32 v255, 0
	v_mov_b32_e32 v85, 0
	v_ashrrev_i32_e32 v222, s0, v222
	v_ashrrev_i32_e32 v226, s0, v226
	;; [unrolled: 1-line block ×5, first 2 shown]
	v_and_b32_e32 v222, 0x3030303, v222
	v_and_b32_e32 v226, 0x3030303, v226
	v_ashrrev_i32_e32 v228, s0, v228
	v_and_b32_e32 v223, 0x3030303, v223
	v_and_b32_e32 v227, 0x3030303, v227
	v_ashrrev_i32_e32 v225, s0, v225
	v_ashrrev_i32_e32 v229, s0, v229
	v_and_b32_e32 v224, 0x3030303, v224
	v_and_b32_e32 v228, 0x3030303, v228
	v_mov_b32_e32 v86, 0
	v_and_b32_e32 v225, 0x3030303, v225
	s_waitcnt lgkmcnt(1)
	v_dot4c_i32_i8 v255, v231, v194
	v_mov_b32_e32 v231, 0
	v_dot4c_i32_i8 v85, v239, v194
	v_and_b32_e32 v229, 0x3030303, v229
	v_mov_b32_e32 v101, 0
	v_dot4c_i32_i8 v255, v232, v195
	v_dot4c_i32_i8 v231, v234, v194
	v_mov_b32_e32 v234, 0
	v_dot4c_i32_i8 v85, v240, v195
	v_dot4c_i32_i8 v86, v226, v6
	;; [unrolled: 1-line block ×5, first 2 shown]
	v_mov_b32_e32 v192, 0
	v_dot4c_i32_i8 v85, v241, v196
	v_dot4c_i32_i8 v255, v190, v197
	;; [unrolled: 1-line block ×4, first 2 shown]
	v_mov_b32_e32 v190, 0
	v_mov_b32_e32 v193, 0
	v_dot4c_i32_i8 v192, v245, v194
	v_dot4c_i32_i8 v231, v191, v197
	v_mov_b32_e32 v191, 0
	v_dot4c_i32_i8 v190, v243, v194
	v_dot4c_i32_i8 v193, v246, v194
	;; [unrolled: 1-line block ×8, first 2 shown]
	v_add_nc_u32_e32 v194, 0x1090, v230
	v_dot4c_i32_i8 v191, v244, v195
	v_dot4c_i32_i8 v190, v243, v196
	;; [unrolled: 1-line block ×6, first 2 shown]
	v_add_nc_u32_e32 v196, 0x1098, v230
	v_dot4c_i32_i8 v190, v243, v197
	v_dot4c_i32_i8 v192, v245, v197
	;; [unrolled: 1-line block ×4, first 2 shown]
	ds_read2_b32 v[194:195], v194 offset1:1
	ds_read2_b32 v[196:197], v196 offset1:1
	v_mov_b32_e32 v243, 0
	v_mov_b32_e32 v244, 0
	v_mov_b32_e32 v245, 0
	v_mov_b32_e32 v246, 0
	v_dot4c_i32_i8 v86, v227, v7
	v_mov_b32_e32 v105, 0
	v_dot4c_i32_i8 v244, v226, v206
	v_mov_b32_e32 v123, 0
	v_mov_b32_e32 v124, 0
	v_dot4c_i32_i8 v86, v228, v8
	v_dot4c_i32_i8 v105, v226, v210
	;; [unrolled: 1-line block ×3, first 2 shown]
	v_mov_b32_e32 v88, 0
	v_mov_b32_e32 v0, 0
	v_dot4c_i32_i8 v86, v229, v9
	v_dot4c_i32_i8 v105, v227, v211
	;; [unrolled: 1-line block ×4, first 2 shown]
	s_waitcnt lgkmcnt(1)
	v_ashrrev_i32_e32 v232, s0, v194
	v_add_nc_u32_e32 v194, 0x3190, v230
	s_waitcnt lgkmcnt(0)
	v_ashrrev_i32_e32 v235, s0, v196
	v_add_nc_u32_e32 v196, 0x3198, v230
	v_ashrrev_i32_e32 v233, s0, v195
	v_ashrrev_i32_e32 v236, s0, v197
	ds_read2_b32 v[194:195], v194 offset1:1
	ds_read2_b32 v[196:197], v196 offset1:1
	v_mov_b32_e32 v230, 0
	v_and_b32_e32 v232, 0x3030303, v232
	v_and_b32_e32 v233, 0x3030303, v233
	v_and_b32_e32 v235, 0x3030303, v235
	v_and_b32_e32 v236, 0x3030303, v236
	v_dot4c_i32_i8 v230, v222, v206
	v_dot4c_i32_i8 v243, v232, v206
	;; [unrolled: 1-line block ×12, first 2 shown]
	v_mov_b32_e32 v1, 0
	s_waitcnt lgkmcnt(1)
	v_ashrrev_i32_e32 v194, s0, v194
	s_waitcnt lgkmcnt(0)
	v_ashrrev_i32_e32 v196, s0, v196
	v_ashrrev_i32_e32 v195, s0, v195
	;; [unrolled: 1-line block ×3, first 2 shown]
	v_dot4c_i32_i8 v230, v225, v209
	v_and_b32_e32 v237, 0x3030303, v194
	v_and_b32_e32 v239, 0x3030303, v196
	v_and_b32_sdwa v196, v157, v79 dst_sel:DWORD dst_unused:UNUSED_PAD src0_sel:DWORD src1_sel:BYTE_1
	v_and_b32_e32 v238, 0x3030303, v195
	v_and_b32_sdwa v194, v157, v198 dst_sel:DWORD dst_unused:UNUSED_PAD src0_sel:DWORD src1_sel:BYTE_1
	v_and_b32_sdwa v195, v157, v81 dst_sel:DWORD dst_unused:UNUSED_PAD src0_sel:DWORD src1_sel:BYTE_1
	v_and_b32_e32 v240, 0x3030303, v197
	v_lshrrev_b32_e32 v241, 4, v196
	v_and_b32_sdwa v196, v157, v84 dst_sel:DWORD dst_unused:UNUSED_PAD src0_sel:DWORD src1_sel:BYTE_1
	v_lshrrev_b32_e32 v194, 4, v194
	v_lshrrev_b32_e32 v195, 4, v195
	v_dot4c_i32_i8 v245, v237, v206
	v_dot4c_i32_i8 v246, v237, v14
	v_lshrrev_b32_e32 v242, 4, v196
	v_mul_lo_u32 v197, 0x1010101, v194
	v_mul_lo_u32 v196, 0x1010101, v195
	;; [unrolled: 1-line block ×3, first 2 shown]
	v_mov_b32_e32 v241, 0
	v_mul_lo_u32 v194, 0x1010101, v242
	v_mov_b32_e32 v242, 0
	v_dot4c_i32_i8 v246, v238, v15
	v_dot4c_i32_i8 v101, v237, v6
	;; [unrolled: 1-line block ×7, first 2 shown]
	v_mov_b32_e32 v206, 0
	v_dot4c_i32_i8 v242, v226, v14
	v_dot4c_i32_i8 v162, v197, v14
	v_dot4c_i32_i8 v164, v196, v14
	v_dot4c_i32_i8 v166, v195, v14
	v_dot4c_i32_i8 v206, v222, v14
	v_dot4c_i32_i8 v168, v194, v14
	v_dot4c_i32_i8 v241, v233, v15
	v_dot4c_i32_i8 v242, v227, v15
	v_dot4c_i32_i8 v162, v197, v15
	v_dot4c_i32_i8 v206, v223, v15
	v_dot4c_i32_i8 v164, v196, v15
	v_dot4c_i32_i8 v166, v195, v15
	v_dot4c_i32_i8 v168, v194, v15
	v_dot4c_i32_i8 v241, v235, v16
	v_dot4c_i32_i8 v206, v224, v16
	v_dot4c_i32_i8 v242, v228, v16
	v_dot4c_i32_i8 v246, v239, v16
	v_dot4c_i32_i8 v162, v197, v16
	v_dot4c_i32_i8 v164, v196, v16
	v_dot4c_i32_i8 v166, v195, v16
	v_dot4c_i32_i8 v168, v194, v16
	v_dot4c_i32_i8 v206, v225, v17
	v_dot4c_i32_i8 v241, v236, v17
	v_dot4c_i32_i8 v242, v229, v17
	v_dot4c_i32_i8 v246, v240, v17
	v_dot4c_i32_i8 v162, v197, v17
	v_dot4c_i32_i8 v164, v196, v17
	v_dot4c_i32_i8 v166, v195, v17
	v_dot4c_i32_i8 v168, v194, v17
	v_mov_b32_e32 v14, 0
	v_mov_b32_e32 v15, 0
	;; [unrolled: 1-line block ×4, first 2 shown]
	v_dot4c_i32_i8 v169, v197, v10
	v_dot4c_i32_i8 v14, v222, v10
	;; [unrolled: 1-line block ×16, first 2 shown]
	v_mov_b32_e32 v10, 0
	v_mov_b32_e32 v11, 0
	v_dot4c_i32_i8 v173, v197, v6
	v_dot4c_i32_i8 v175, v196, v6
	;; [unrolled: 1-line block ×35, first 2 shown]
	v_mov_b32_e32 v9, 0
	v_mov_b32_e32 v12, 0
	v_dot4c_i32_i8 v123, v237, v210
	v_dot4c_i32_i8 v178, v197, v210
	;; [unrolled: 1-line block ×7, first 2 shown]
	v_and_b32_sdwa v6, v198, v158 dst_sel:DWORD dst_unused:UNUSED_PAD src0_sel:BYTE_1 src1_sel:DWORD
	v_dot4c_i32_i8 v9, v223, v211
	v_dot4c_i32_i8 v12, v233, v211
	v_dot4c_i32_i8 v123, v238, v211
	v_dot4c_i32_i8 v178, v197, v211
	v_dot4c_i32_i8 v179, v196, v211
	v_dot4c_i32_i8 v180, v195, v211
	v_dot4c_i32_i8 v181, v194, v211
	v_and_b32_e32 v7, 15, v198
	v_and_b32_e32 v198, 0xffff, v6
	v_dot4c_i32_i8 v9, v224, v212
	v_dot4c_i32_i8 v12, v235, v212
	;; [unrolled: 1-line block ×7, first 2 shown]
	v_mul_lo_u32 v6, v206, v198
	v_dot4c_i32_i8 v9, v225, v213
	v_dot4c_i32_i8 v12, v236, v213
	;; [unrolled: 1-line block ×7, first 2 shown]
	v_and_b32_e32 v213, 0xffff, v7
	v_dot4c_i32_i8 v14, v225, v13
	v_dot4c_i32_i8 v15, v236, v13
	;; [unrolled: 1-line block ×4, first 2 shown]
	v_mad_u64_u32 v[6:7], null, v77, v213, v[6:7]
	v_mul_lo_u32 v7, v76, v213
	v_dot4c_i32_i8 v169, v197, v13
	v_dot4c_i32_i8 v170, v196, v13
	;; [unrolled: 1-line block ×4, first 2 shown]
	v_mov_b32_e32 v13, 0
	v_dot4c_i32_i8 v245, v238, v207
	v_dot4c_i32_i8 v174, v197, v207
	v_mad_u64_u32 v[7:8], null, v230, v198, v[7:8]
	v_mul_lo_u32 v8, v78, v213
	v_dot4c_i32_i8 v163, v196, v207
	v_dot4c_i32_i8 v165, v195, v207
	;; [unrolled: 1-line block ×4, first 2 shown]
	v_mov_b32_e32 v211, 0
	v_dot4c_i32_i8 v245, v239, v208
	v_dot4c_i32_i8 v174, v197, v208
	v_mad_u64_u32 v[206:207], null, v14, v198, v[8:9]
	v_mul_lo_u32 v8, v80, v213
	v_dot4c_i32_i8 v163, v196, v208
	v_dot4c_i32_i8 v165, v195, v208
	;; [unrolled: 1-line block ×5, first 2 shown]
	v_mov_b32_e32 v212, 0
	v_dot4c_i32_i8 v243, v236, v209
	v_mad_u64_u32 v[207:208], null, v10, v198, v[8:9]
	v_mul_lo_u32 v8, v204, v213
	v_dot4c_i32_i8 v13, v224, v216
	v_dot4c_i32_i8 v245, v240, v209
	;; [unrolled: 1-line block ×7, first 2 shown]
	v_mad_u64_u32 v[208:209], null, v9, v198, v[8:9]
	v_mul_lo_u32 v8, v248, v213
	v_dot4c_i32_i8 v13, v225, v217
	v_dot4c_i32_i8 v212, v222, v2
	;; [unrolled: 1-line block ×3, first 2 shown]
	v_and_b32_e32 v10, 15, v81
	v_dot4c_i32_i8 v0, v237, v214
	v_dot4c_i32_i8 v182, v197, v214
	;; [unrolled: 1-line block ×3, first 2 shown]
	v_mad_u64_u32 v[209:210], null, v13, v198, v[8:9]
	v_mul_lo_u32 v8, v251, v213
	v_dot4c_i32_i8 v211, v225, v221
	v_dot4c_i32_i8 v212, v224, v4
	v_and_b32_e32 v10, 0xffff, v10
	v_dot4c_i32_i8 v183, v196, v214
	v_dot4c_i32_i8 v184, v195, v214
	;; [unrolled: 1-line block ×4, first 2 shown]
	v_mad_u64_u32 v[210:211], null, v211, v198, v[8:9]
	v_mul_lo_u32 v8, v255, v213
	v_dot4c_i32_i8 v0, v238, v215
	v_dot4c_i32_i8 v182, v197, v215
	v_dot4c_i32_i8 v183, v196, v215
	v_dot4c_i32_i8 v184, v195, v215
	v_dot4c_i32_i8 v185, v194, v215
	v_dot4c_i32_i8 v124, v235, v216
	v_dot4c_i32_i8 v88, v228, v216
	v_mad_u64_u32 v[211:212], null, v212, v198, v[8:9]
	v_mov_b32_e32 v9, 0
	v_and_b32_sdwa v8, v81, v158 dst_sel:DWORD dst_unused:UNUSED_PAD src0_sel:BYTE_1 src1_sel:DWORD
	v_dot4c_i32_i8 v0, v239, v216
	v_dot4c_i32_i8 v182, v197, v216
	;; [unrolled: 1-line block ×4, first 2 shown]
	v_and_b32_e32 v14, 0xffff, v8
	v_dot4c_i32_i8 v184, v195, v216
	v_dot4c_i32_i8 v185, v194, v216
	v_mov_b32_e32 v216, 0
	v_dot4c_i32_i8 v9, v233, v3
	v_mul_lo_u32 v8, v241, v14
	v_dot4c_i32_i8 v124, v236, v217
	v_dot4c_i32_i8 v88, v229, v217
	;; [unrolled: 1-line block ×13, first 2 shown]
	v_mad_u64_u32 v[212:213], null, v70, v10, v[8:9]
	v_mul_lo_u32 v8, v69, v10
	v_dot4c_i32_i8 v1, v227, v219
	v_dot4c_i32_i8 v216, v236, v221
	v_mov_b32_e32 v20, 0
	v_dot4c_i32_i8 v186, v197, v218
	v_dot4c_i32_i8 v187, v196, v218
	;; [unrolled: 1-line block ×4, first 2 shown]
	v_mad_u64_u32 v[213:214], null, v243, v14, v[8:9]
	v_mul_lo_u32 v8, v75, v10
	v_dot4c_i32_i8 v1, v229, v221
	v_dot4c_i32_i8 v20, v237, v218
	;; [unrolled: 1-line block ×3, first 2 shown]
	s_lshr_b32 s1, s0, 2
	v_dot4c_i32_i8 v190, v197, v2
	s_and_b32 s1, s1, 0x3ffffffc
	v_dot4c_i32_i8 v20, v238, v219
	v_mad_u64_u32 v[214:215], null, v15, v14, v[8:9]
	v_mul_lo_u32 v8, v201, v10
	s_addk_i32 s1, 0x7280
	v_dot4c_i32_i8 v20, v239, v220
	v_cvt_f32_i32_e32 v204, v213
	v_dot4c_i32_i8 v191, v196, v2
	v_dot4c_i32_i8 v192, v195, v2
	;; [unrolled: 1-line block ×4, first 2 shown]
	v_mad_u64_u32 v[77:78], null, v11, v14, v[8:9]
	v_mul_lo_u32 v8, v247, v10
	v_and_b32_e32 v11, 15, v79
	v_dot4c_i32_i8 v186, v197, v219
	v_dot4c_i32_i8 v187, v196, v219
	;; [unrolled: 1-line block ×4, first 2 shown]
	v_and_b32_e32 v11, 0xffff, v11
	v_dot4c_i32_i8 v190, v197, v3
	v_mad_u64_u32 v[75:76], null, v12, v14, v[8:9]
	v_mul_lo_u32 v8, v249, v10
	v_dot4c_i32_i8 v191, v196, v3
	v_dot4c_i32_i8 v192, v195, v3
	;; [unrolled: 1-line block ×7, first 2 shown]
	v_mad_u64_u32 v[69:70], null, v124, v14, v[8:9]
	v_mul_lo_u32 v8, v252, v10
	v_dot4c_i32_i8 v190, v197, v4
	v_dot4c_i32_i8 v191, v196, v4
	;; [unrolled: 1-line block ×7, first 2 shown]
	v_mad_u64_u32 v[12:13], null, v216, v14, v[8:9]
	v_mul_lo_u32 v8, v231, v10
	v_mov_b32_e32 v10, 0
	v_dot4c_i32_i8 v189, v194, v221
	v_dot4c_i32_i8 v190, v197, v5
	;; [unrolled: 1-line block ×6, first 2 shown]
	v_mad_u64_u32 v[8:9], null, v9, v14, v[8:9]
	v_and_b32_sdwa v9, v79, v158 dst_sel:DWORD dst_unused:UNUSED_PAD src0_sel:BYTE_1 src1_sel:DWORD
	v_dot4c_i32_i8 v10, v227, v3
	v_cvt_f32_i32_e32 v124, v175
	v_cvt_f32_i32_e32 v175, v189
	;; [unrolled: 1-line block ×3, first 2 shown]
	v_and_b32_e32 v15, 0xffff, v9
	v_dot4c_i32_i8 v10, v228, v4
	v_cvt_f32_i32_e32 v12, v12
	v_add_nc_u32_e32 v160, 32, v160
	v_mul_lo_u32 v9, v242, v15
	v_dot4c_i32_i8 v10, v229, v5
	v_mad_u64_u32 v[215:216], null, v72, v11, v[9:10]
	v_mul_lo_u32 v9, v71, v11
	v_mad_u64_u32 v[216:217], null, v244, v15, v[9:10]
	v_mul_lo_u32 v9, v73, v11
	v_cvt_f32_i32_e32 v201, v216
	v_mad_u64_u32 v[80:81], null, v16, v15, v[9:10]
	v_mul_lo_u32 v9, v199, v11
	v_mad_u64_u32 v[78:79], null, v86, v15, v[9:10]
	v_mul_lo_u32 v9, v203, v11
	v_cvt_f32_i32_e32 v203, v215
	v_cvt_f32_i32_e32 v86, v169
	;; [unrolled: 1-line block ×4, first 2 shown]
	v_mad_u64_u32 v[72:73], null, v105, v15, v[9:10]
	v_mul_lo_u32 v9, v250, v11
	v_cvt_f32_i32_e32 v105, v172
	v_cvt_f32_i32_e32 v172, v186
	;; [unrolled: 1-line block ×3, first 2 shown]
	v_mad_u64_u32 v[70:71], null, v88, v15, v[9:10]
	v_mul_lo_u32 v9, v253, v11
	v_cvt_f32_i32_e32 v88, v170
	v_cvt_f32_i32_e32 v170, v184
	v_cvt_f32_i32_e32 v70, v70
	v_mad_u64_u32 v[13:14], null, v1, v15, v[9:10]
	v_mul_lo_u32 v9, v234, v11
	v_and_b32_e32 v11, 15, v84
	v_mov_b32_e32 v1, 0
	v_and_b32_e32 v11, 0xffff, v11
	v_dot4c_i32_i8 v1, v237, v2
	v_mad_u64_u32 v[9:10], null, v10, v15, v[9:10]
	v_and_b32_sdwa v10, v84, v158 dst_sel:DWORD dst_unused:UNUSED_PAD src0_sel:BYTE_1 src1_sel:DWORD
	v_cvt_f32_i32_e32 v13, v13
	v_dot4c_i32_i8 v1, v238, v3
	v_cvt_f32_i32_e32 v3, v174
	v_cvt_f32_i32_e32 v174, v188
	v_and_b32_e32 v71, 0xffff, v10
	v_dot4c_i32_i8 v1, v239, v4
	v_cvt_f32_i32_e32 v4, v162
	v_cvt_f32_i32_e32 v162, v176
	v_mul_lo_u32 v10, v246, v71
	v_cvt_f32_i32_e32 v176, v190
	v_dot4c_i32_i8 v1, v240, v5
	v_cvt_f32_i32_e32 v5, v163
	v_cvt_f32_i32_e32 v163, v177
	;; [unrolled: 1-line block ×3, first 2 shown]
	v_mad_u64_u32 v[198:199], null, v82, v11, v[10:11]
	v_mul_lo_u32 v10, v74, v11
	v_mad_u64_u32 v[217:218], null, v245, v71, v[10:11]
	v_mul_lo_u32 v10, v83, v11
	v_cvt_f32_i32_e32 v199, v217
	v_mad_u64_u32 v[83:84], null, v17, v71, v[10:11]
	v_mul_lo_u32 v10, v200, v11
	v_cvt_f32_i32_e32 v84, v207
	v_cvt_f32_i32_e32 v207, v80
	ds_read2_b32 v[79:80], v161 offset0:64 offset1:96
	v_cvt_f32_i32_e32 v200, v198
	v_cvt_f32_i32_e32 v198, v214
	;; [unrolled: 1-line block ×3, first 2 shown]
	v_mad_u64_u32 v[81:82], null, v101, v71, v[10:11]
	v_mul_lo_u32 v10, v202, v11
	v_cvt_f32_i32_e32 v202, v7
	v_cvt_f32_i32_e32 v82, v206
	;; [unrolled: 1-line block ×5, first 2 shown]
	v_mad_u64_u32 v[73:74], null, v123, v71, v[10:11]
	v_mul_lo_u32 v10, v205, v11
	v_cvt_f32_i32_e32 v205, v6
	ds_read2_b32 v[6:7], v161 offset1:32
	v_cvt_f32_i32_e32 v123, v173
	v_cvt_f32_i32_e32 v173, v187
	;; [unrolled: 1-line block ×3, first 2 shown]
	v_mad_u64_u32 v[16:17], null, v0, v71, v[10:11]
	v_mul_lo_u32 v10, v254, v11
	v_add3_u32 v0, s1, v149, v150
	v_cvt_f32_i32_e32 v17, v208
	v_cvt_f32_i32_e32 v208, v77
	ds_read2_b32 v[76:77], v161 offset0:128 offset1:160
	v_cvt_f32_i32_e32 v16, v16
	v_mad_u64_u32 v[14:15], null, v20, v71, v[10:11]
	v_mul_lo_u32 v10, v85, v11
	v_add3_u32 v20, s1, v153, v154
	v_add3_u32 v85, s1, v155, v156
	v_cvt_f32_i32_e32 v15, v211
	v_cvt_f32_i32_e32 v14, v14
	v_mad_u64_u32 v[10:11], null, v1, v71, v[10:11]
	v_add3_u32 v1, s1, v151, v152
	v_cvt_f32_i32_e32 v71, v209
	v_cvt_f32_i32_e32 v11, v210
	;; [unrolled: 1-line block ×4, first 2 shown]
	ds_read2_b32 v[74:75], v161 offset0:192 offset1:224
	ds_read_b32 v211, v0
	ds_read_b32 v210, v1
	ds_read_b32 v212, v20
	ds_read_b32 v213, v85
	v_cvt_f32_i32_e32 v0, v8
	v_cvt_f32_i32_e32 v1, v9
	;; [unrolled: 1-line block ×15, first 2 shown]
	v_add_nc_u32_e32 v161, 4, v161
	s_waitcnt lgkmcnt(3)
	v_cvt_f32_f16_sdwa v214, v211 dst_sel:DWORD dst_unused:UNUSED_PAD src0_sel:WORD_1
	s_waitcnt lgkmcnt(2)
	v_cvt_f32_f16_sdwa v215, v210 dst_sel:DWORD dst_unused:UNUSED_PAD src0_sel:WORD_1
	;; [unrolled: 2-line block ×4, first 2 shown]
	s_add_i32 s1, s0, 2
	v_mul_f32_e32 v3, v214, v3
	v_mul_f32_e32 v4, v214, v4
	;; [unrolled: 1-line block ×32, first 2 shown]
	v_fma_mix_f32 v4, v211, v205, -v4 op_sel_hi:[1,0,0]
	v_fma_mix_f32 v3, v211, v202, -v3 op_sel_hi:[1,0,0]
	;; [unrolled: 1-line block ×32, first 2 shown]
	v_fma_f32 v19, v6, v3, v19
	v_fmac_f32_e32 v18, v7, v4
	v_fma_f32 v64, v6, v5, v64
	v_fmac_f32_e32 v63, v7, v8
	;; [unrolled: 2-line block ×16, first 2 shown]
	s_cmp_lt_u32 s0, 6
	s_mov_b32 s0, s1
	s_cbranch_scc1 .LBB148_7
; %bb.8:                                ;   in Loop: Header=BB148_6 Depth=1
	v_add_nc_u32_e32 v0, s9, v122
	s_barrier
	buffer_gl0_inv
	s_mov_b32 s0, 8
	v_add_nc_u32_e32 v1, v0, v114
	v_add_nc_u32_e32 v4, v0, v115
	;; [unrolled: 1-line block ×5, first 2 shown]
	v_mad_i64_i32 v[2:3], null, v1, 36, v[37:38]
	v_add_nc_u32_e32 v1, v0, v117
	v_mad_i64_i32 v[4:5], null, v4, 36, v[37:38]
	v_add_nc_u32_e32 v16, v0, v120
	v_mad_i64_i32 v[6:7], null, v6, 36, v[37:38]
	v_mad_i64_i32 v[8:9], null, v1, 36, v[37:38]
	v_add_nc_u32_e32 v1, 4, v159
	v_add_nc_u32_e32 v0, v0, v121
	v_mad_i64_i32 v[10:11], null, v10, 36, v[37:38]
	v_mad_i64_i32 v[14:15], null, v14, 36, v[37:38]
	v_mad_u64_u32 v[12:13], null, v1, 36, s[2:3]
	v_mad_i64_i32 v[16:17], null, v16, 36, v[37:38]
	v_mad_i64_i32 v[69:70], null, v0, 36, v[37:38]
	s_clause 0x8
	global_load_dword v0, v[12:13], off
	global_load_dword v1, v[2:3], off offset:4
	global_load_dword v4, v[4:5], off offset:4
	;; [unrolled: 1-line block ×8, first 2 shown]
	v_mov_b32_e32 v2, v131
	v_mov_b32_e32 v3, v126
	s_waitcnt vmcnt(8)
	v_cvt_f32_f16_e32 v0, v0
	s_waitcnt vmcnt(7)
	ds_write_b32 v141, v1
	s_waitcnt vmcnt(6)
	ds_write_b32 v142, v4
	;; [unrolled: 2-line block ×8, first 2 shown]
	ds_write_b32 v113, v0
	s_waitcnt lgkmcnt(0)
	s_barrier
	buffer_gl0_inv
.LBB148_9:                              ;   Parent Loop BB148_6 Depth=1
                                        ; =>  This Inner Loop Header: Depth=2
	s_and_b32 s11, s0, 0x3ffffff8
	s_add_i32 s1, s0, -8
	v_lshl_add_u32 v0, s11, 2, v125
	s_and_b32 s11, s0, -16
	v_mov_b32_e32 v208, 0
	s_add_i32 s11, s0, s11
	v_mov_b32_e32 v211, 0
	ds_read2_b32 v[4:5], v0 offset1:1
	v_add_nc_u32_e32 v9, s11, v127
	v_mov_b32_e32 v213, 0
	v_mov_b32_e32 v212, 0
	;; [unrolled: 1-line block ×18, first 2 shown]
	s_waitcnt lgkmcnt(0)
	v_ashrrev_i32_e32 v1, s1, v4
	v_ashrrev_i32_e32 v6, s1, v5
	ds_read2_b32 v[4:5], v0 offset0:2 offset1:3
	v_mov_b32_e32 v168, 0
	v_mov_b32_e32 v83, 0
	v_and_b32_e32 v1, 0x3030303, v1
	v_and_b32_e32 v80, 0x3030303, v6
	v_mov_b32_e32 v170, 0
	v_mov_b32_e32 v82, 0
	;; [unrolled: 1-line block ×15, first 2 shown]
	s_waitcnt lgkmcnt(0)
	v_ashrrev_i32_e32 v7, s1, v4
	v_add_nc_u32_e32 v4, 0x1080, v0
	v_ashrrev_i32_e32 v8, s1, v5
	ds_read_u16 v205, v9 offset:25088
	v_add_nc_u32_e32 v9, s11, v128
	v_and_b32_e32 v85, 0x3030303, v7
	ds_read2_b32 v[4:5], v4 offset1:1
	v_and_b32_e32 v86, 0x3030303, v8
	v_mov_b32_e32 v7, 0
	v_mov_b32_e32 v166, 0
	;; [unrolled: 1-line block ×15, first 2 shown]
	s_waitcnt lgkmcnt(1)
	v_bfe_u32 v6, v205, 4, 4
	v_mov_b32_e32 v198, 0
	v_mov_b32_e32 v195, 0
	s_waitcnt lgkmcnt(0)
	v_ashrrev_i32_e32 v12, s1, v4
	v_add_nc_u32_e32 v4, 0x1088, v0
	v_ashrrev_i32_e32 v13, s1, v5
	ds_read_u16 v206, v9 offset:26112
	v_add_nc_u32_e32 v9, s11, v129
	v_mul_lo_u32 v88, 0x1010101, v6
	ds_read2_b32 v[4:5], v4 offset1:1
	v_and_b32_e32 v124, 0x3030303, v12
	v_and_b32_e32 v13, 0x3030303, v13
	v_mov_b32_e32 v12, 0
	v_mov_b32_e32 v204, 0
	;; [unrolled: 1-line block ×6, first 2 shown]
	ds_read_u16 v207, v9 offset:27136
	v_add_nc_u32_e32 v9, s11, v130
	ds_read_b128 v[173:176], v2 offset:4096
	ds_read_b128 v[180:183], v2 offset:5120
	;; [unrolled: 1-line block ×3, first 2 shown]
	ds_read_u16 v200, v9 offset:28160
	ds_read_b128 v[8:11], v2
	s_waitcnt lgkmcnt(7)
	v_bfe_u32 v6, v206, 4, 4
	s_waitcnt lgkmcnt(6)
	v_ashrrev_i32_e32 v14, s1, v4
	v_add_nc_u32_e32 v4, 0x2100, v0
	v_ashrrev_i32_e32 v15, s1, v5
	v_mul_lo_u32 v101, 0x1010101, v6
	v_and_b32_e32 v14, 0x3030303, v14
	ds_read2_b32 v[4:5], v4 offset1:1
	v_and_b32_e32 v184, 0x3030303, v15
	v_mov_b32_e32 v15, 0
	s_waitcnt lgkmcnt(6)
	v_bfe_u32 v6, v207, 4, 4
	s_waitcnt lgkmcnt(5)
	v_dot4c_i32_i8 v161, v1, v173
	v_dot4c_i32_i8 v76, v88, v173
	;; [unrolled: 1-line block ×3, first 2 shown]
	v_mul_lo_u32 v105, 0x1010101, v6
	s_waitcnt lgkmcnt(2)
	v_bfe_u32 v6, v200, 4, 4
	v_dot4c_i32_i8 v75, v101, v173
	v_dot4c_i32_i8 v161, v80, v174
	;; [unrolled: 1-line block ×4, first 2 shown]
	v_mul_lo_u32 v123, 0x1010101, v6
	v_dot4c_i32_i8 v75, v101, v174
	v_dot4c_i32_i8 v73, v105, v173
	;; [unrolled: 1-line block ×5, first 2 shown]
	s_waitcnt lgkmcnt(0)
	v_ashrrev_i32_e32 v16, s1, v4
	v_add_nc_u32_e32 v4, 0x2108, v0
	v_ashrrev_i32_e32 v17, s1, v5
	v_dot4c_i32_i8 v73, v105, v174
	v_dot4c_i32_i8 v75, v101, v175
	v_and_b32_e32 v160, 0x3030303, v16
	ds_read2_b32 v[4:5], v4 offset1:1
	v_and_b32_e32 v185, 0x3030303, v17
	v_mov_b32_e32 v16, 0
	v_dot4c_i32_i8 v73, v105, v175
	v_dot4c_i32_i8 v164, v160, v173
	;; [unrolled: 1-line block ×11, first 2 shown]
	v_mov_b32_e32 v6, 0
	v_mov_b32_e32 v17, 0
	v_dot4c_i32_i8 v177, v80, v181
	v_dot4c_i32_i8 v178, v185, v181
	;; [unrolled: 1-line block ×3, first 2 shown]
	s_waitcnt lgkmcnt(0)
	v_ashrrev_i32_e32 v20, s1, v4
	v_add_nc_u32_e32 v4, 0x3180, v0
	v_ashrrev_i32_e32 v69, s1, v5
	v_dot4c_i32_i8 v177, v85, v182
	v_dot4c_i32_i8 v171, v123, v182
	v_and_b32_e32 v20, 0x3030303, v20
	ds_read2_b32 v[4:5], v4 offset1:1
	v_and_b32_e32 v186, 0x3030303, v69
	v_dot4c_i32_i8 v177, v86, v183
	v_dot4c_i32_i8 v171, v123, v183
	;; [unrolled: 1-line block ×6, first 2 shown]
	s_waitcnt lgkmcnt(0)
	v_ashrrev_i32_e32 v70, s1, v4
	v_add_nc_u32_e32 v4, 0x3188, v0
	v_ashrrev_i32_e32 v71, s1, v5
	v_and_b32_e32 v187, 0x3030303, v70
	ds_read2_b32 v[4:5], v4 offset1:1
	v_and_b32_e32 v188, 0x3030303, v71
	ds_read_b128 v[69:72], v2 offset:2048
	v_dot4c_i32_i8 v208, v1, v8
	v_dot4c_i32_i8 v211, v124, v8
	;; [unrolled: 1-line block ×17, first 2 shown]
	s_waitcnt lgkmcnt(1)
	v_ashrrev_i32_e32 v4, s1, v4
	v_ashrrev_i32_e32 v5, s1, v5
	v_dot4c_i32_i8 v211, v14, v10
	v_dot4c_i32_i8 v213, v20, v10
	;; [unrolled: 1-line block ×3, first 2 shown]
	v_and_b32_e32 v189, 0x3030303, v4
	v_and_b32_e32 v190, 0x3030303, v5
	v_dot4c_i32_i8 v215, v101, v10
	v_dot4c_i32_i8 v214, v105, v10
	;; [unrolled: 1-line block ×12, first 2 shown]
	ds_read_b128 v[8:11], v2 offset:1024
	s_waitcnt lgkmcnt(1)
	v_dot4c_i32_i8 v74, v1, v69
	v_dot4c_i32_i8 v12, v88, v69
	;; [unrolled: 1-line block ×19, first 2 shown]
	s_waitcnt lgkmcnt(0)
	v_dot4c_i32_i8 v210, v1, v8
	v_dot4c_i32_i8 v219, v88, v8
	;; [unrolled: 1-line block ×32, first 2 shown]
	v_mov_b32_e32 v11, 0
	v_mov_b32_e32 v10, 0
	;; [unrolled: 1-line block ×3, first 2 shown]
	v_dot4c_i32_i8 v79, v190, v72
	v_dot4c_i32_i8 v165, v187, v173
	;; [unrolled: 1-line block ×20, first 2 shown]
	ds_read_b128 v[69:72], v2 offset:3072
	v_dot4c_i32_i8 v179, v190, v183
	v_mov_b32_e32 v8, 0
	v_mov_b32_e32 v5, 0
	;; [unrolled: 1-line block ×3, first 2 shown]
	s_waitcnt lgkmcnt(0)
	v_dot4c_i32_i8 v169, v1, v69
	v_dot4c_i32_i8 v84, v88, v69
	;; [unrolled: 1-line block ×16, first 2 shown]
	v_mov_b32_e32 v70, 0
	v_dot4c_i32_i8 v169, v85, v71
	v_dot4c_i32_i8 v84, v88, v71
	;; [unrolled: 1-line block ×5, first 2 shown]
	v_mov_b32_e32 v173, 0
	v_dot4c_i32_i8 v170, v20, v71
	v_dot4c_i32_i8 v82, v105, v71
	v_dot4c_i32_i8 v172, v189, v71
	v_dot4c_i32_i8 v70, v123, v174
	v_mov_b32_e32 v174, 0
	v_dot4c_i32_i8 v173, v105, v180
	v_dot4c_i32_i8 v81, v123, v71
	v_dot4c_i32_i8 v169, v86, v72
	v_dot4c_i32_i8 v70, v123, v175
	;; [unrolled: 5-line block ×4, first 2 shown]
	v_dot4c_i32_i8 v176, v124, v180
	v_dot4c_i32_i8 v175, v88, v181
	;; [unrolled: 1-line block ×14, first 2 shown]
	v_mov_b32_e32 v72, 0
	v_dot4c_i32_i8 v176, v184, v183
	ds_read_b128 v[180:183], v2 offset:6144
	v_mov_b32_e32 v69, 0
	v_mov_b32_e32 v71, 0
	s_waitcnt lgkmcnt(0)
	v_dot4c_i32_i8 v72, v1, v180
	v_dot4c_i32_i8 v8, v88, v180
	;; [unrolled: 1-line block ×32, first 2 shown]
	ds_read_b128 v[180:183], v2 offset:7168
	s_waitcnt lgkmcnt(0)
	v_dot4c_i32_i8 v166, v124, v180
	v_dot4c_i32_i8 v167, v1, v180
	;; [unrolled: 1-line block ×3, first 2 shown]
	v_mov_b32_e32 v160, 0
	v_dot4c_i32_i8 v71, v101, v180
	v_dot4c_i32_i8 v166, v13, v181
	;; [unrolled: 1-line block ×3, first 2 shown]
	v_mov_b32_e32 v80, 0
	v_mov_b32_e32 v13, 0
	v_dot4c_i32_i8 v160, v187, v180
	v_dot4c_i32_i8 v166, v14, v182
	v_mov_b32_e32 v14, 0
	v_dot4c_i32_i8 v80, v88, v180
	v_dot4c_i32_i8 v13, v123, v180
	v_dot4c_i32_i8 v162, v185, v181
	v_dot4c_i32_i8 v160, v188, v181
	v_dot4c_i32_i8 v14, v105, v180
	v_dot4c_i32_i8 v80, v88, v181
	v_dot4c_i32_i8 v71, v101, v181
	v_dot4c_i32_i8 v13, v123, v181
	v_dot4c_i32_i8 v162, v20, v182
	v_dot4c_i32_i8 v14, v105, v181
	ds_read2_b32 v[180:181], v0 offset0:4 offset1:5
	v_dot4c_i32_i8 v80, v88, v182
	v_dot4c_i32_i8 v167, v85, v182
	;; [unrolled: 1-line block ×6, first 2 shown]
	v_add_nc_u32_e32 v88, 0x1090, v0
	v_dot4c_i32_i8 v167, v86, v183
	v_dot4c_i32_i8 v14, v105, v183
	v_add_nc_u32_e32 v105, 0x1098, v0
	v_dot4c_i32_i8 v71, v101, v183
	v_add_nc_u32_e32 v124, 0x2110, v0
	v_dot4c_i32_i8 v13, v123, v183
	v_dot4c_i32_i8 v166, v184, v183
	;; [unrolled: 1-line block ×4, first 2 shown]
	s_waitcnt lgkmcnt(0)
	v_ashrrev_i32_e32 v1, s1, v180
	v_ashrrev_i32_e32 v20, s1, v181
	ds_read2_b32 v[180:181], v0 offset0:6 offset1:7
	v_dot4c_i32_i8 v160, v190, v183
	v_and_b32_e32 v1, 0x3030303, v1
	v_and_b32_e32 v20, 0x3030303, v20
	s_waitcnt lgkmcnt(0)
	v_ashrrev_i32_e32 v85, s1, v180
	v_ashrrev_i32_e32 v86, s1, v181
	ds_read2_b32 v[180:181], v88 offset1:1
	v_and_b32_e32 v85, 0x3030303, v85
	v_and_b32_e32 v86, 0x3030303, v86
	s_waitcnt lgkmcnt(0)
	v_ashrrev_i32_e32 v88, s1, v180
	v_ashrrev_i32_e32 v101, s1, v181
	ds_read2_b32 v[180:181], v105 offset1:1
	v_and_b32_e32 v88, 0x3030303, v88
	v_and_b32_e32 v101, 0x3030303, v101
	s_waitcnt lgkmcnt(0)
	v_ashrrev_i32_e32 v105, s1, v180
	v_ashrrev_i32_e32 v123, s1, v181
	ds_read2_b32 v[180:181], v124 offset1:1
	v_and_b32_e32 v105, 0x3030303, v105
	v_and_b32_e32 v123, 0x3030303, v123
	s_waitcnt lgkmcnt(0)
	v_ashrrev_i32_e32 v124, s1, v180
	v_add_nc_u32_e32 v180, 0x2118, v0
	v_ashrrev_i32_e32 v184, s1, v181
	v_and_b32_e32 v124, 0x3030303, v124
	ds_read2_b32 v[180:181], v180 offset1:1
	v_and_b32_e32 v209, 0x3030303, v184
	v_mov_b32_e32 v184, 0
	s_waitcnt lgkmcnt(0)
	v_ashrrev_i32_e32 v185, s1, v180
	v_add_nc_u32_e32 v180, 0x3190, v0
	v_ashrrev_i32_e32 v186, s1, v181
	v_add_nc_u32_e32 v0, 0x3198, v0
	v_and_b32_e32 v228, 0x3030303, v185
	ds_read2_b32 v[180:181], v180 offset1:1
	v_and_b32_e32 v229, 0x3030303, v186
	v_mov_b32_e32 v185, 0
	v_mov_b32_e32 v186, 0
	s_waitcnt lgkmcnt(0)
	v_ashrrev_i32_e32 v187, s1, v180
	v_ashrrev_i32_e32 v188, s1, v181
	ds_read2_b32 v[180:181], v0 offset1:1
	v_and_b32_e32 v230, 0x3030303, v187
	v_and_b32_e32 v231, 0x3030303, v188
	v_mov_b32_e32 v188, 0
	v_mov_b32_e32 v187, 0
	s_waitcnt lgkmcnt(0)
	v_ashrrev_i32_e32 v0, s1, v180
	v_and_b32_sdwa v180, v157, v205 dst_sel:DWORD dst_unused:UNUSED_PAD src0_sel:DWORD src1_sel:BYTE_1
	v_ashrrev_i32_e32 v189, s1, v181
	s_lshr_b32 s1, s0, 2
	v_and_b32_e32 v0, 0x3030303, v0
	v_lshrrev_b32_e32 v190, 4, v180
	v_and_b32_sdwa v180, v157, v206 dst_sel:DWORD dst_unused:UNUSED_PAD src0_sel:DWORD src1_sel:BYTE_1
	v_and_b32_e32 v232, 0x3030303, v189
	v_mov_b32_e32 v189, 0
	s_and_b32 s1, s1, 0x3ffffffc
	v_mul_lo_u32 v233, 0x1010101, v190
	v_lshrrev_b32_e32 v191, 4, v180
	v_and_b32_sdwa v180, v157, v207 dst_sel:DWORD dst_unused:UNUSED_PAD src0_sel:DWORD src1_sel:BYTE_1
	v_mov_b32_e32 v190, 0
	s_addk_i32 s1, 0x7280
	v_mul_lo_u32 v234, 0x1010101, v191
	v_lshrrev_b32_e32 v192, 4, v180
	v_and_b32_sdwa v180, v157, v200 dst_sel:DWORD dst_unused:UNUSED_PAD src0_sel:DWORD src1_sel:BYTE_1
	v_mov_b32_e32 v191, 0
	v_dot4c_i32_i8 v8, v233, v223
	v_mul_lo_u32 v235, 0x1010101, v192
	v_lshrrev_b32_e32 v193, 4, v180
	ds_read_b128 v[180:183], v2 offset:16
	v_mov_b32_e32 v192, 0
	v_dot4c_i32_i8 v6, v234, v223
	v_dot4c_i32_i8 v8, v233, v224
	v_mul_lo_u32 v236, 0x1010101, v193
	v_mov_b32_e32 v193, 0
	v_dot4c_i32_i8 v5, v235, v223
	v_dot4c_i32_i8 v6, v234, v224
	;; [unrolled: 1-line block ×10, first 2 shown]
	s_waitcnt lgkmcnt(0)
	v_dot4c_i32_i8 v227, v1, v180
	v_dot4c_i32_i8 v237, v88, v180
	;; [unrolled: 1-line block ×32, first 2 shown]
	ds_read_b128 v[180:183], v2 offset:1040
	v_dot4c_i32_i8 v4, v236, v225
	v_dot4c_i32_i8 v5, v235, v226
	v_cvt_f32_i32_e32 v6, v6
	v_cvt_f32_i32_e32 v7, v7
	v_dot4c_i32_i8 v4, v236, v226
	v_cvt_f32_i32_e32 v5, v5
	v_cvt_f32_i32_e32 v4, v4
	s_waitcnt lgkmcnt(0)
	v_dot4c_i32_i8 v240, v1, v180
	v_dot4c_i32_i8 v241, v88, v180
	v_dot4c_i32_i8 v242, v124, v180
	v_dot4c_i32_i8 v243, v230, v180
	v_dot4c_i32_i8 v219, v233, v180
	v_dot4c_i32_i8 v218, v234, v180
	v_dot4c_i32_i8 v216, v235, v180
	v_dot4c_i32_i8 v16, v236, v180
	v_dot4c_i32_i8 v240, v20, v181
	v_dot4c_i32_i8 v241, v101, v181
	v_dot4c_i32_i8 v242, v209, v181
	v_dot4c_i32_i8 v243, v231, v181
	v_dot4c_i32_i8 v219, v233, v181
	v_dot4c_i32_i8 v218, v234, v181
	v_dot4c_i32_i8 v216, v235, v181
	v_dot4c_i32_i8 v16, v236, v181
	v_dot4c_i32_i8 v240, v85, v182
	v_dot4c_i32_i8 v241, v105, v182
	v_dot4c_i32_i8 v242, v228, v182
	v_dot4c_i32_i8 v243, v0, v182
	v_dot4c_i32_i8 v219, v233, v182
	v_dot4c_i32_i8 v218, v234, v182
	v_dot4c_i32_i8 v216, v235, v182
	v_dot4c_i32_i8 v16, v236, v182
	v_dot4c_i32_i8 v240, v86, v183
	v_dot4c_i32_i8 v241, v123, v183
	v_dot4c_i32_i8 v242, v229, v183
	v_dot4c_i32_i8 v243, v232, v183
	v_dot4c_i32_i8 v219, v233, v183
	v_dot4c_i32_i8 v218, v234, v183
	v_dot4c_i32_i8 v216, v235, v183
	v_dot4c_i32_i8 v16, v236, v183
	ds_read_b128 v[180:183], v2 offset:2064
	s_waitcnt lgkmcnt(0)
	v_dot4c_i32_i8 v188, v1, v180
	v_dot4c_i32_i8 v185, v88, v180
	;; [unrolled: 1-line block ×32, first 2 shown]
	ds_read_b128 v[180:183], v2 offset:3088
	v_cvt_f32_i32_e32 v12, v12
	v_cvt_f32_i32_e32 v11, v11
	;; [unrolled: 1-line block ×4, first 2 shown]
	s_waitcnt lgkmcnt(0)
	v_dot4c_i32_i8 v199, v1, v180
	v_dot4c_i32_i8 v196, v88, v180
	;; [unrolled: 1-line block ×32, first 2 shown]
	ds_read_b128 v[180:183], v2 offset:4112
	v_cvt_f32_i32_e32 v84, v84
	s_waitcnt lgkmcnt(0)
	v_dot4c_i32_i8 v195, v1, v180
	v_dot4c_i32_i8 v191, v88, v180
	;; [unrolled: 1-line block ×32, first 2 shown]
	ds_read_b128 v[180:183], v2 offset:5136
	s_waitcnt lgkmcnt(0)
	v_dot4c_i32_i8 v204, v1, v180
	v_dot4c_i32_i8 v201, v88, v180
	;; [unrolled: 1-line block ×32, first 2 shown]
	v_mov_b32_e32 v183, 0
	v_mov_b32_e32 v182, 0
	;; [unrolled: 1-line block ×4, first 2 shown]
	v_dot4c_i32_i8 v183, v1, v223
	v_dot4c_i32_i8 v182, v88, v223
	v_dot4c_i32_i8 v181, v124, v223
	v_dot4c_i32_i8 v180, v230, v223
	v_dot4c_i32_i8 v183, v20, v224
	v_dot4c_i32_i8 v182, v101, v224
	v_dot4c_i32_i8 v181, v209, v224
	v_dot4c_i32_i8 v180, v231, v224
	v_dot4c_i32_i8 v183, v85, v225
	v_dot4c_i32_i8 v182, v105, v225
	v_dot4c_i32_i8 v181, v228, v225
	v_dot4c_i32_i8 v180, v0, v225
	v_dot4c_i32_i8 v183, v86, v226
	v_dot4c_i32_i8 v182, v123, v226
	v_dot4c_i32_i8 v181, v229, v226
	v_dot4c_i32_i8 v180, v232, v226
	ds_read_b128 v[223:226], v2 offset:7184
	v_add_nc_u32_e32 v2, 32, v2
	s_waitcnt lgkmcnt(0)
	v_dot4c_i32_i8 v184, v230, v223
	v_dot4c_i32_i8 v194, v1, v223
	;; [unrolled: 1-line block ×3, first 2 shown]
	v_and_b32_e32 v1, 15, v205
	v_dot4c_i32_i8 v190, v88, v223
	v_dot4c_i32_i8 v184, v231, v224
	;; [unrolled: 1-line block ×4, first 2 shown]
	v_and_b32_e32 v209, 0xffff, v1
	v_dot4c_i32_i8 v71, v234, v223
	v_dot4c_i32_i8 v184, v0, v225
	v_and_b32_sdwa v0, v205, v158 dst_sel:DWORD dst_unused:UNUSED_PAD src0_sel:BYTE_1 src1_sel:DWORD
	v_dot4c_i32_i8 v14, v235, v223
	v_dot4c_i32_i8 v13, v236, v223
	v_mul_lo_u32 v208, v208, v209
	v_dot4c_i32_i8 v194, v20, v224
	v_and_b32_e32 v205, 0xffff, v0
	v_and_b32_sdwa v0, v206, v158 dst_sel:DWORD dst_unused:UNUSED_PAD src0_sel:BYTE_1 src1_sel:DWORD
	v_dot4c_i32_i8 v190, v101, v224
	v_dot4c_i32_i8 v80, v233, v224
	;; [unrolled: 1-line block ×3, first 2 shown]
	v_mul_lo_u32 v223, v240, v205
	v_dot4c_i32_i8 v14, v235, v224
	v_dot4c_i32_i8 v13, v236, v224
	v_and_b32_e32 v1, 15, v206
	v_and_b32_e32 v206, 0xffff, v0
	v_dot4c_i32_i8 v194, v85, v225
	v_dot4c_i32_i8 v190, v105, v225
	;; [unrolled: 1-line block ×3, first 2 shown]
	v_mad_u64_u32 v[223:224], null, v210, v209, v[223:224]
	v_dot4c_i32_i8 v80, v233, v225
	v_dot4c_i32_i8 v71, v234, v225
	;; [unrolled: 1-line block ×4, first 2 shown]
	v_mad_u64_u32 v[224:225], null, v227, v205, v[208:209]
	v_mul_lo_u32 v208, v241, v206
	v_and_b32_e32 v210, 0xffff, v1
	v_and_b32_sdwa v0, v207, v158 dst_sel:DWORD dst_unused:UNUSED_PAD src0_sel:BYTE_1 src1_sel:DWORD
	v_dot4c_i32_i8 v194, v86, v226
	v_dot4c_i32_i8 v190, v123, v226
	;; [unrolled: 1-line block ×8, first 2 shown]
	v_mad_u64_u32 v[226:227], null, v222, v210, v[208:209]
	v_mul_lo_u32 v208, v211, v210
	v_and_b32_e32 v1, 15, v207
	v_and_b32_e32 v207, 0xffff, v0
	;; [unrolled: 1-line block ×3, first 2 shown]
	v_cvt_f32_i32_e32 v225, v223
	v_cvt_f32_i32_e32 v224, v224
	v_and_b32_e32 v211, 0xffff, v1
	v_cvt_f32_i32_e32 v223, v226
	v_mad_u64_u32 v[227:228], null, v237, v206, v[208:209]
	v_mul_lo_u32 v208, v242, v207
	v_and_b32_sdwa v1, v200, v158 dst_sel:DWORD dst_unused:UNUSED_PAD src0_sel:BYTE_1 src1_sel:DWORD
	v_and_b32_e32 v200, 0xffff, v1
	v_mad_u64_u32 v[221:222], null, v221, v211, v[208:209]
	v_mul_lo_u32 v208, v213, v211
	v_cvt_f32_i32_e32 v222, v227
	v_cvt_f32_i32_e32 v221, v221
	v_mad_u64_u32 v[228:229], null, v238, v207, v[208:209]
	v_and_b32_e32 v208, 0xffff, v0
	v_add3_u32 v0, s1, v149, v150
	v_mul_lo_u32 v212, v212, v208
	ds_read_b32 v226, v0
	v_cvt_f32_i32_e32 v0, v219
	v_mad_u64_u32 v[212:213], null, v239, v200, v[212:213]
	v_mul_lo_u32 v213, v243, v200
	v_cvt_f32_i32_e32 v212, v212
	v_mad_u64_u32 v[229:230], null, v220, v208, v[213:214]
	v_cvt_f32_i32_e32 v220, v228
	s_waitcnt lgkmcnt(0)
	v_cvt_f32_f16_sdwa v219, v226 dst_sel:DWORD dst_unused:UNUSED_PAD src0_sel:WORD_1
	v_mul_f32_e32 v0, v219, v0
	v_cvt_f32_i32_e32 v213, v229
	v_mul_f32_e32 v12, v219, v12
	v_mul_f32_e32 v84, v219, v84
	v_fma_mix_f32 v225, v226, v225, -v0 op_sel_hi:[1,0,0]
	v_cvt_f32_i32_e32 v0, v217
	v_mul_f32_e32 v0, v219, v0
	v_fma_mix_f32 v224, v226, v224, -v0 op_sel_hi:[1,0,0]
	v_add3_u32 v0, s1, v151, v152
	ds_read_b32 v217, v0
	v_cvt_f32_i32_e32 v0, v218
	s_waitcnt lgkmcnt(0)
	v_cvt_f32_f16_sdwa v218, v217 dst_sel:DWORD dst_unused:UNUSED_PAD src0_sel:WORD_1
	v_mul_f32_e32 v0, v218, v0
	v_mul_f32_e32 v11, v218, v11
	;; [unrolled: 1-line block ×3, first 2 shown]
	v_fma_mix_f32 v223, v217, v223, -v0 op_sel_hi:[1,0,0]
	v_cvt_f32_i32_e32 v0, v215
	v_mul_f32_e32 v0, v218, v0
	v_fma_mix_f32 v222, v217, v222, -v0 op_sel_hi:[1,0,0]
	v_add3_u32 v0, s1, v153, v154
	ds_read_b32 v215, v0
	v_cvt_f32_i32_e32 v0, v216
	s_waitcnt lgkmcnt(0)
	v_cvt_f32_f16_sdwa v216, v215 dst_sel:DWORD dst_unused:UNUSED_PAD src0_sel:WORD_1
	v_mul_f32_e32 v0, v216, v0
	v_mul_f32_e32 v10, v216, v10
	;; [unrolled: 1-line block ×3, first 2 shown]
	v_fma_mix_f32 v221, v215, v221, -v0 op_sel_hi:[1,0,0]
	v_cvt_f32_i32_e32 v0, v214
	v_mul_f32_e32 v0, v216, v0
	v_fma_mix_f32 v220, v215, v220, -v0 op_sel_hi:[1,0,0]
	v_add3_u32 v0, s1, v155, v156
	s_add_i32 s1, s0, 2
	s_cmp_lt_u32 s0, 14
	s_mov_b32 s0, s1
	ds_read_b32 v214, v0
	v_cvt_f32_i32_e32 v0, v16
	s_waitcnt lgkmcnt(0)
	v_cvt_f32_f16_sdwa v1, v214 dst_sel:DWORD dst_unused:UNUSED_PAD src0_sel:WORD_1
	v_mul_f32_e32 v0, v1, v0
	v_mul_f32_e32 v7, v1, v7
	;; [unrolled: 1-line block ×3, first 2 shown]
	v_fma_mix_f32 v0, v214, v213, -v0 op_sel_hi:[1,0,0]
	v_fma_mix_f32 v7, v214, v212, -v7 op_sel_hi:[1,0,0]
	ds_read2_b32 v[212:213], v3 offset1:32
	s_waitcnt lgkmcnt(0)
	v_fma_f32 v68, v212, v7, v68
	v_mul_lo_u32 v7, v74, v209
	v_fma_f32 v19, v212, v224, v19
	v_fmac_f32_e32 v18, v213, v225
	v_fma_f32 v64, v212, v222, v64
	v_fmac_f32_e32 v63, v213, v223
	;; [unrolled: 2-line block ×3, first 2 shown]
	v_fmac_f32_e32 v67, v213, v0
	v_mad_u64_u32 v[212:213], null, v188, v205, v[7:8]
	v_mul_lo_u32 v7, v169, v209
	v_cvt_f32_i32_e32 v0, v212
	v_mad_u64_u32 v[220:221], null, v199, v205, v[7:8]
	v_mul_lo_u32 v7, v77, v210
	v_fma_mix_f32 v0, v226, v0, -v12 op_sel_hi:[1,0,0]
	v_cvt_f32_i32_e32 v12, v83
	v_mul_f32_e32 v12, v218, v12
	v_mad_u64_u32 v[221:222], null, v185, v206, v[7:8]
	v_mul_lo_u32 v7, v78, v211
	v_cvt_f32_i32_e32 v16, v221
	v_mad_u64_u32 v[77:78], null, v186, v207, v[7:8]
	v_mul_lo_u32 v7, v79, v208
	v_fma_mix_f32 v11, v217, v16, -v11 op_sel_hi:[1,0,0]
	v_cvt_f32_i32_e32 v16, v82
	v_cvt_f32_i32_e32 v74, v77
	v_mul_f32_e32 v16, v216, v16
	v_mad_u64_u32 v[78:79], null, v187, v200, v[7:8]
	v_mul_lo_u32 v7, v168, v210
	v_cvt_f32_i32_e32 v78, v78
	v_mad_u64_u32 v[168:169], null, v196, v206, v[7:8]
	v_mul_lo_u32 v7, v170, v211
	v_cvt_f32_i32_e32 v20, v168
	v_mad_u64_u32 v[169:170], null, v197, v207, v[7:8]
	v_mul_lo_u32 v7, v172, v208
	v_fma_mix_f32 v12, v217, v20, -v12 op_sel_hi:[1,0,0]
	v_fma_mix_f32 v20, v215, v74, -v10 op_sel_hi:[1,0,0]
	v_cvt_f32_i32_e32 v10, v81
	v_cvt_f32_i32_e32 v77, v169
	v_mad_u64_u32 v[185:186], null, v198, v200, v[7:8]
	v_mul_f32_e32 v10, v1, v10
	v_fma_mix_f32 v16, v215, v77, -v16 op_sel_hi:[1,0,0]
	v_fma_mix_f32 v77, v214, v78, -v9 op_sel_hi:[1,0,0]
	v_cvt_f32_i32_e32 v7, v220
	v_cvt_f32_i32_e32 v79, v185
	v_fma_mix_f32 v7, v226, v7, -v84 op_sel_hi:[1,0,0]
	v_fma_mix_f32 v74, v214, v79, -v10 op_sel_hi:[1,0,0]
	ds_read2_b32 v[9:10], v3 offset0:64 offset1:96
	s_waitcnt lgkmcnt(0)
	v_fmac_f32_e32 v59, v10, v7
	v_mul_lo_u32 v7, v161, v209
	v_fma_f32 v60, v9, v0, v60
	v_fma_f32 v62, v9, v11, v62
	v_fmac_f32_e32 v61, v10, v12
	v_fma_f32 v56, v9, v20, v56
	v_fmac_f32_e32 v55, v10, v16
	;; [unrolled: 2-line block ×3, first 2 shown]
	v_mad_u64_u32 v[9:10], null, v195, v205, v[7:8]
	v_mul_lo_u32 v7, v177, v209
	v_cvt_f32_i32_e32 v74, v175
	v_mul_f32_e32 v74, v219, v74
	v_cvt_f32_i32_e32 v0, v9
	v_mad_u64_u32 v[10:11], null, v204, v205, v[7:8]
	v_mul_lo_u32 v7, v163, v210
	v_mad_u64_u32 v[11:12], null, v191, v206, v[7:8]
	v_mul_lo_u32 v7, v164, v211
	v_cvt_f32_i32_e32 v9, v11
	v_mad_u64_u32 v[77:78], null, v192, v207, v[7:8]
	v_mul_lo_u32 v7, v165, v208
	v_cvt_f32_i32_e32 v11, v77
	;; [unrolled: 3-line block ×3, first 2 shown]
	v_mad_u64_u32 v[81:82], null, v201, v206, v[7:8]
	v_mul_lo_u32 v7, v178, v211
	v_mad_u64_u32 v[82:83], null, v202, v207, v[7:8]
	v_mul_lo_u32 v7, v179, v208
	v_cvt_f32_i32_e32 v12, v82
	v_mad_u64_u32 v[83:84], null, v203, v200, v[7:8]
	v_cvt_f32_i32_e32 v7, v10
	v_cvt_f32_i32_e32 v10, v81
	v_fma_mix_f32 v7, v226, v7, -v74 op_sel_hi:[1,0,0]
	v_cvt_f32_i32_e32 v74, v76
	v_cvt_f32_i32_e32 v20, v83
	v_mul_f32_e32 v74, v219, v74
	v_fma_mix_f32 v0, v226, v0, -v74 op_sel_hi:[1,0,0]
	v_cvt_f32_i32_e32 v74, v174
	v_mul_f32_e32 v74, v218, v74
	v_fma_mix_f32 v74, v217, v10, -v74 op_sel_hi:[1,0,0]
	;; [unrolled: 3-line block ×7, first 2 shown]
	ds_read2_b32 v[9:10], v3 offset0:128 offset1:160
	s_waitcnt lgkmcnt(0)
	v_fmac_f32_e32 v49, v10, v7
	v_mul_lo_u32 v7, v72, v209
	v_fma_f32 v50, v9, v0, v50
	v_fma_f32 v52, v9, v75, v52
	v_fmac_f32_e32 v51, v10, v74
	v_fma_f32 v54, v9, v11, v54
	v_fmac_f32_e32 v53, v10, v12
	;; [unrolled: 2-line block ×3, first 2 shown]
	v_mad_u64_u32 v[9:10], null, v183, v205, v[7:8]
	v_mul_lo_u32 v7, v167, v209
	v_cvt_f32_i32_e32 v0, v9
	v_cvt_f32_i32_e32 v9, v80
	v_mad_u64_u32 v[10:11], null, v194, v205, v[7:8]
	v_mul_lo_u32 v7, v69, v210
	v_mul_f32_e32 v9, v219, v9
	v_mad_u64_u32 v[11:12], null, v182, v206, v[7:8]
	v_mul_lo_u32 v7, v166, v210
	v_cvt_f32_i32_e32 v12, v13
	v_mul_f32_e32 v12, v1, v12
	v_mul_f32_e32 v1, v1, v4
	v_mad_u64_u32 v[69:70], null, v190, v206, v[7:8]
	v_mul_lo_u32 v7, v17, v211
	v_mad_u64_u32 v[16:17], null, v181, v207, v[7:8]
	v_mul_lo_u32 v7, v162, v211
	;; [unrolled: 2-line block ×4, first 2 shown]
	v_mad_u64_u32 v[74:75], null, v184, v200, v[7:8]
	v_cvt_f32_i32_e32 v8, v8
	v_cvt_f32_i32_e32 v7, v10
	;; [unrolled: 1-line block ×3, first 2 shown]
	v_mul_f32_e32 v8, v219, v8
	v_fma_mix_f32 v7, v226, v7, -v9 op_sel_hi:[1,0,0]
	v_cvt_f32_i32_e32 v9, v69
	v_mul_f32_e32 v10, v218, v10
	v_fma_mix_f32 v0, v226, v0, -v8 op_sel_hi:[1,0,0]
	v_cvt_f32_i32_e32 v8, v11
	v_cvt_f32_i32_e32 v11, v14
	v_fma_mix_f32 v9, v217, v9, -v10 op_sel_hi:[1,0,0]
	v_cvt_f32_i32_e32 v10, v72
	v_fma_mix_f32 v6, v217, v8, -v6 op_sel_hi:[1,0,0]
	v_cvt_f32_i32_e32 v8, v16
	v_mul_f32_e32 v11, v216, v11
	v_fma_mix_f32 v8, v215, v8, -v5 op_sel_hi:[1,0,0]
	v_cvt_f32_i32_e32 v5, v73
	v_fma_mix_f32 v10, v215, v10, -v11 op_sel_hi:[1,0,0]
	v_cvt_f32_i32_e32 v11, v74
	v_fma_mix_f32 v1, v214, v5, -v1 op_sel_hi:[1,0,0]
	ds_read2_b32 v[4:5], v3 offset0:192 offset1:224
	v_fma_mix_f32 v11, v214, v11, -v12 op_sel_hi:[1,0,0]
	v_add_nc_u32_e32 v3, 4, v3
	s_waitcnt lgkmcnt(0)
	v_fma_f32 v40, v4, v0, v40
	v_fmac_f32_e32 v39, v5, v7
	v_fma_f32 v42, v4, v6, v42
	v_fmac_f32_e32 v41, v5, v9
	;; [unrolled: 2-line block ×4, first 2 shown]
	s_cbranch_scc1 .LBB148_9
; %bb.10:                               ;   in Loop: Header=BB148_6 Depth=1
	s_or_b32 s0, s15, 1
	s_cmp_ge_i32 s0, s4
	s_barrier
	buffer_gl0_inv
	s_cbranch_scc1 .LBB148_5
; %bb.11:                               ;   in Loop: Header=BB148_6 Depth=1
	buffer_load_dword v0, off, s[16:19], 0 offset:28 ; 4-byte Folded Reload
	v_add_nc_u32_e32 v12, 8, v159
	s_mov_b32 s0, 16
	v_mad_u64_u32 v[12:13], null, v12, 36, s[2:3]
	s_waitcnt vmcnt(0)
	v_add_nc_u32_e32 v0, s9, v0
	v_add_nc_u32_e32 v1, v0, v114
	;; [unrolled: 1-line block ×6, first 2 shown]
	v_mad_i64_i32 v[2:3], null, v1, 36, v[37:38]
	v_add_nc_u32_e32 v1, v0, v118
	v_mad_i64_i32 v[4:5], null, v4, 36, v[37:38]
	v_mad_i64_i32 v[6:7], null, v6, 36, v[37:38]
	;; [unrolled: 1-line block ×3, first 2 shown]
	v_add_nc_u32_e32 v1, v0, v119
	v_add_nc_u32_e32 v0, v0, v121
	v_mad_i64_i32 v[8:9], null, v8, 36, v[37:38]
	v_mad_i64_i32 v[16:17], null, v16, 36, v[37:38]
	;; [unrolled: 1-line block ×4, first 2 shown]
	s_clause 0x8
	global_load_dword v0, v[12:13], off
	global_load_dword v1, v[2:3], off offset:4
	global_load_dword v4, v[4:5], off offset:4
	;; [unrolled: 1-line block ×8, first 2 shown]
	v_mov_b32_e32 v2, v131
	v_mov_b32_e32 v3, v126
	s_waitcnt vmcnt(8)
	v_cvt_f32_f16_e32 v0, v0
	s_waitcnt vmcnt(7)
	ds_write_b32 v141, v1
	s_waitcnt vmcnt(6)
	ds_write_b32 v142, v4
	;; [unrolled: 2-line block ×8, first 2 shown]
	ds_write_b32 v113, v0
	s_waitcnt lgkmcnt(0)
	s_barrier
	buffer_gl0_inv
.LBB148_12:                             ;   Parent Loop BB148_6 Depth=1
                                        ; =>  This Inner Loop Header: Depth=2
	s_and_b32 s11, s0, 0x3ffffff8
	s_add_i32 s1, s0, -16
	v_lshl_add_u32 v0, s11, 2, v125
	s_and_b32 s11, s0, -16
	v_mov_b32_e32 v209, 0
	s_add_i32 s11, s0, s11
	v_mov_b32_e32 v216, 0
	ds_read2_b32 v[4:5], v0 offset1:1
	v_mov_b32_e32 v210, 0
	v_mov_b32_e32 v215, 0
	;; [unrolled: 1-line block ×19, first 2 shown]
	s_waitcnt lgkmcnt(0)
	v_ashrrev_i32_e32 v1, s1, v4
	v_ashrrev_i32_e32 v6, s1, v5
	ds_read2_b32 v[4:5], v0 offset0:2 offset1:3
	v_mov_b32_e32 v73, 0
	v_mov_b32_e32 v77, 0
	v_and_b32_e32 v1, 0x3030303, v1
	v_and_b32_e32 v85, 0x3030303, v6
	v_mov_b32_e32 v78, 0
	v_mov_b32_e32 v79, 0
	;; [unrolled: 1-line block ×15, first 2 shown]
	s_waitcnt lgkmcnt(0)
	v_ashrrev_i32_e32 v7, s1, v4
	v_add_nc_u32_e32 v4, 0x1080, v0
	v_ashrrev_i32_e32 v8, s1, v5
	v_mov_b32_e32 v179, 0
	v_mov_b32_e32 v227, 0
	v_and_b32_e32 v86, 0x3030303, v7
	ds_read2_b32 v[4:5], v4 offset1:1
	v_and_b32_e32 v88, 0x3030303, v8
	v_mov_b32_e32 v241, 0
	v_mov_b32_e32 v242, 0
	;; [unrolled: 1-line block ×15, first 2 shown]
	ds_read_b128 v[196:199], v2 offset:4112
	ds_read_b128 v[175:178], v2 offset:6144
	;; [unrolled: 1-line block ×3, first 2 shown]
	s_waitcnt lgkmcnt(3)
	v_ashrrev_i32_e32 v9, s1, v4
	v_add_nc_u32_e32 v4, 0x1088, v0
	v_ashrrev_i32_e32 v10, s1, v5
	ds_read_b128 v[223:226], v2 offset:5136
	v_and_b32_e32 v168, 0x3030303, v9
	ds_read2_b32 v[4:5], v4 offset1:1
	v_and_b32_e32 v169, 0x3030303, v10
	v_mov_b32_e32 v9, 0
	v_mov_b32_e32 v10, 0
	s_waitcnt lgkmcnt(3)
	v_dot4c_i32_i8 v165, v1, v175
	v_dot4c_i32_i8 v166, v168, v175
	s_waitcnt lgkmcnt(2)
	v_dot4c_i32_i8 v179, v168, v180
	v_dot4c_i32_i8 v165, v85, v176
	;; [unrolled: 1-line block ×4, first 2 shown]
	s_waitcnt lgkmcnt(0)
	v_ashrrev_i32_e32 v11, s1, v4
	v_add_nc_u32_e32 v4, 0x2100, v0
	v_ashrrev_i32_e32 v12, s1, v5
	v_dot4c_i32_i8 v165, v86, v177
	v_and_b32_e32 v172, 0x3030303, v11
	ds_read2_b32 v[4:5], v4 offset1:1
	v_and_b32_e32 v184, 0x3030303, v12
	v_mov_b32_e32 v11, 0
	v_mov_b32_e32 v12, 0
	v_dot4c_i32_i8 v166, v172, v177
	v_dot4c_i32_i8 v165, v88, v178
	;; [unrolled: 1-line block ×5, first 2 shown]
	s_waitcnt lgkmcnt(0)
	v_ashrrev_i32_e32 v13, s1, v4
	v_add_nc_u32_e32 v4, 0x2108, v0
	v_ashrrev_i32_e32 v14, s1, v5
	v_and_b32_e32 v185, 0x3030303, v13
	ds_read2_b32 v[4:5], v4 offset1:1
	v_and_b32_e32 v186, 0x3030303, v14
	v_mov_b32_e32 v13, 0
	v_mov_b32_e32 v14, 0
	v_dot4c_i32_i8 v167, v185, v175
	v_dot4c_i32_i8 v167, v186, v176
	s_waitcnt lgkmcnt(0)
	v_ashrrev_i32_e32 v15, s1, v4
	v_add_nc_u32_e32 v4, 0x3180, v0
	v_ashrrev_i32_e32 v16, s1, v5
	v_and_b32_e32 v187, 0x3030303, v15
	ds_read2_b32 v[4:5], v4 offset1:1
	v_and_b32_e32 v188, 0x3030303, v16
	v_mov_b32_e32 v16, 0
	v_mov_b32_e32 v15, 0
	v_dot4c_i32_i8 v167, v187, v177
	v_dot4c_i32_i8 v167, v188, v178
	s_waitcnt lgkmcnt(0)
	v_ashrrev_i32_e32 v17, s1, v4
	v_add_nc_u32_e32 v4, 0x3188, v0
	v_ashrrev_i32_e32 v20, s1, v5
	v_and_b32_e32 v189, 0x3030303, v17
	ds_read2_b32 v[4:5], v4 offset1:1
	v_and_b32_e32 v20, 0x3030303, v20
	v_mov_b32_e32 v17, 0
	v_dot4c_i32_i8 v81, v189, v175
	v_dot4c_i32_i8 v81, v20, v176
	s_waitcnt lgkmcnt(0)
	v_ashrrev_i32_e32 v69, s1, v5
	v_add_nc_u32_e32 v5, s11, v127
	v_ashrrev_i32_e32 v4, s1, v4
	v_and_b32_e32 v191, 0x3030303, v69
	ds_read_u16 v206, v5 offset:25072
	v_add_nc_u32_e32 v5, s11, v128
	v_and_b32_e32 v190, 0x3030303, v4
	v_mov_b32_e32 v4, 0
	ds_read_b128 v[69:72], v2 offset:2048
	ds_read_u16 v208, v5 offset:26096
	v_add_nc_u32_e32 v5, s11, v129
	v_dot4c_i32_i8 v81, v190, v177
	ds_read_u16 v205, v5 offset:27120
	v_add_nc_u32_e32 v5, s11, v130
	v_dot4c_i32_i8 v81, v191, v178
	ds_read_u16 v204, v5 offset:28144
	s_waitcnt lgkmcnt(4)
	v_bfe_u32 v5, v206, 4, 4
	v_and_b32_sdwa v233, v157, v206 dst_sel:DWORD dst_unused:UNUSED_PAD src0_sel:DWORD src1_sel:BYTE_1
	v_and_b32_e32 v206, 15, v206
	s_waitcnt lgkmcnt(3)
	v_dot4c_i32_i8 v11, v1, v69
	v_mul_lo_u32 v101, 0x1010101, v5
	s_waitcnt lgkmcnt(2)
	v_bfe_u32 v5, v208, 4, 4
	v_dot4c_i32_i8 v13, v168, v69
	v_dot4c_i32_i8 v14, v185, v69
	v_dot4c_i32_i8 v16, v189, v69
	v_dot4c_i32_i8 v11, v85, v70
	v_mul_lo_u32 v105, 0x1010101, v5
	s_waitcnt lgkmcnt(1)
	v_bfe_u32 v5, v205, 4, 4
	v_dot4c_i32_i8 v13, v169, v70
	v_dot4c_i32_i8 v14, v186, v70
	v_dot4c_i32_i8 v16, v20, v70
	;; [unrolled: 7-line block ×3, first 2 shown]
	v_dot4c_i32_i8 v11, v88, v72
	v_mul_lo_u32 v124, 0x1010101, v5
	ds_read_b128 v[5:8], v2
	v_dot4c_i32_i8 v13, v184, v72
	v_dot4c_i32_i8 v14, v188, v72
	;; [unrolled: 1-line block ×3, first 2 shown]
	v_and_b32_sdwa v235, v157, v208 dst_sel:DWORD dst_unused:UNUSED_PAD src0_sel:DWORD src1_sel:BYTE_1
	v_and_b32_sdwa v237, v157, v205 dst_sel:DWORD dst_unused:UNUSED_PAD src0_sel:DWORD src1_sel:BYTE_1
	;; [unrolled: 1-line block ×3, first 2 shown]
	v_and_b32_e32 v208, 15, v208
	v_and_b32_e32 v204, 15, v204
	s_waitcnt lgkmcnt(0)
	v_dot4c_i32_i8 v209, v1, v5
	v_dot4c_i32_i8 v216, v101, v5
	v_dot4c_i32_i8 v210, v168, v5
	v_dot4c_i32_i8 v215, v105, v5
	v_dot4c_i32_i8 v212, v185, v5
	v_dot4c_i32_i8 v214, v123, v5
	v_dot4c_i32_i8 v213, v189, v5
	v_dot4c_i32_i8 v4, v124, v5
	v_dot4c_i32_i8 v209, v85, v6
	v_dot4c_i32_i8 v216, v101, v6
	v_dot4c_i32_i8 v210, v169, v6
	v_dot4c_i32_i8 v215, v105, v6
	v_dot4c_i32_i8 v212, v186, v6
	v_dot4c_i32_i8 v214, v123, v6
	v_dot4c_i32_i8 v213, v20, v6
	v_dot4c_i32_i8 v4, v124, v6
	v_dot4c_i32_i8 v209, v86, v7
	v_dot4c_i32_i8 v216, v101, v7
	v_dot4c_i32_i8 v210, v172, v7
	v_dot4c_i32_i8 v215, v105, v7
	v_dot4c_i32_i8 v212, v187, v7
	v_dot4c_i32_i8 v214, v123, v7
	v_dot4c_i32_i8 v213, v190, v7
	v_dot4c_i32_i8 v4, v124, v7
	v_dot4c_i32_i8 v209, v88, v8
	v_dot4c_i32_i8 v216, v101, v8
	v_dot4c_i32_i8 v210, v184, v8
	v_dot4c_i32_i8 v215, v105, v8
	v_dot4c_i32_i8 v212, v188, v8
	v_dot4c_i32_i8 v214, v123, v8
	v_dot4c_i32_i8 v213, v191, v8
	v_dot4c_i32_i8 v4, v124, v8
	ds_read_b128 v[5:8], v2 offset:1024
	s_waitcnt lgkmcnt(0)
	v_dot4c_i32_i8 v211, v1, v5
	v_dot4c_i32_i8 v219, v101, v5
	;; [unrolled: 1-line block ×32, first 2 shown]
	v_mov_b32_e32 v8, 0
	v_mov_b32_e32 v7, 0
	v_mov_b32_e32 v6, 0
	v_mov_b32_e32 v5, 0
	v_mul_lo_u32 v211, v206, v211
	v_dot4c_i32_i8 v8, v101, v69
	v_dot4c_i32_i8 v7, v105, v69
	v_dot4c_i32_i8 v6, v123, v69
	v_dot4c_i32_i8 v5, v124, v69
	v_dot4c_i32_i8 v8, v101, v70
	v_dot4c_i32_i8 v7, v105, v70
	v_dot4c_i32_i8 v6, v123, v70
	v_dot4c_i32_i8 v5, v124, v70
	v_dot4c_i32_i8 v8, v101, v71
	v_dot4c_i32_i8 v7, v105, v71
	v_dot4c_i32_i8 v6, v123, v71
	v_dot4c_i32_i8 v5, v124, v71
	v_dot4c_i32_i8 v8, v101, v72
	v_dot4c_i32_i8 v7, v105, v72
	v_dot4c_i32_i8 v6, v123, v72
	v_dot4c_i32_i8 v5, v124, v72
	ds_read_b128 v[69:72], v2 offset:3072
	s_waitcnt lgkmcnt(0)
	v_dot4c_i32_i8 v83, v1, v69
	v_dot4c_i32_i8 v76, v101, v69
	v_dot4c_i32_i8 v161, v168, v69
	v_dot4c_i32_i8 v75, v105, v69
	v_dot4c_i32_i8 v162, v185, v69
	v_dot4c_i32_i8 v74, v123, v69
	v_dot4c_i32_i8 v84, v189, v69
	v_dot4c_i32_i8 v73, v124, v69
	v_dot4c_i32_i8 v83, v85, v70
	v_dot4c_i32_i8 v76, v101, v70
	v_dot4c_i32_i8 v161, v169, v70
	v_dot4c_i32_i8 v75, v105, v70
	v_dot4c_i32_i8 v162, v186, v70
	v_dot4c_i32_i8 v74, v123, v70
	v_dot4c_i32_i8 v84, v20, v70
	v_dot4c_i32_i8 v73, v124, v70
	v_dot4c_i32_i8 v83, v86, v71
	v_dot4c_i32_i8 v76, v101, v71
	v_dot4c_i32_i8 v161, v172, v71
	v_dot4c_i32_i8 v75, v105, v71
	v_dot4c_i32_i8 v162, v187, v71
	v_dot4c_i32_i8 v74, v123, v71
	v_dot4c_i32_i8 v84, v190, v71
	v_dot4c_i32_i8 v73, v124, v71
	v_dot4c_i32_i8 v83, v88, v72
	v_dot4c_i32_i8 v76, v101, v72
	v_dot4c_i32_i8 v161, v184, v72
	v_dot4c_i32_i8 v75, v105, v72
	v_dot4c_i32_i8 v162, v188, v72
	v_dot4c_i32_i8 v74, v123, v72
	v_dot4c_i32_i8 v84, v191, v72
	v_dot4c_i32_i8 v73, v124, v72
	ds_read_b128 v[69:72], v2 offset:4096
	s_waitcnt lgkmcnt(0)
	v_dot4c_i32_i8 v77, v1, v69
	v_dot4c_i32_i8 v17, v101, v69
	v_dot4c_i32_i8 v78, v168, v69
	v_dot4c_i32_i8 v15, v105, v69
	v_dot4c_i32_i8 v79, v185, v69
	v_dot4c_i32_i8 v12, v123, v69
	v_dot4c_i32_i8 v80, v189, v69
	v_dot4c_i32_i8 v10, v124, v69
	v_dot4c_i32_i8 v77, v85, v70
	v_dot4c_i32_i8 v17, v101, v70
	v_dot4c_i32_i8 v78, v169, v70
	v_dot4c_i32_i8 v15, v105, v70
	v_dot4c_i32_i8 v79, v186, v70
	v_dot4c_i32_i8 v12, v123, v70
	v_dot4c_i32_i8 v80, v20, v70
	v_dot4c_i32_i8 v10, v124, v70
	;; [unrolled: 34-line block ×3, first 2 shown]
	v_dot4c_i32_i8 v170, v86, v71
	v_dot4c_i32_i8 v164, v101, v71
	;; [unrolled: 1-line block ×16, first 2 shown]
	v_mov_b32_e32 v72, 0
	v_mov_b32_e32 v71, 0
	;; [unrolled: 1-line block ×5, first 2 shown]
	v_dot4c_i32_i8 v72, v101, v175
	v_dot4c_i32_i8 v71, v105, v175
	v_dot4c_i32_i8 v70, v123, v175
	v_dot4c_i32_i8 v69, v124, v175
	v_mov_b32_e32 v175, 0
	v_dot4c_i32_i8 v72, v101, v176
	v_dot4c_i32_i8 v71, v105, v176
	v_dot4c_i32_i8 v70, v123, v176
	v_dot4c_i32_i8 v69, v124, v176
	v_mov_b32_e32 v176, 0
	;; [unrolled: 5-line block ×4, first 2 shown]
	v_mov_b32_e32 v169, 0
	v_mov_b32_e32 v168, 0
	v_dot4c_i32_i8 v177, v185, v180
	v_dot4c_i32_i8 v176, v189, v180
	;; [unrolled: 1-line block ×14, first 2 shown]
	ds_read2_b32 v[180:181], v0 offset0:4 offset1:5
	v_dot4c_i32_i8 v178, v86, v182
	v_dot4c_i32_i8 v172, v105, v182
	;; [unrolled: 1-line block ×6, first 2 shown]
	v_add_nc_u32_e32 v88, 0x1090, v0
	v_dot4c_i32_i8 v172, v105, v183
	v_add_nc_u32_e32 v105, 0x1098, v0
	v_dot4c_i32_i8 v175, v101, v183
	v_dot4c_i32_i8 v168, v124, v183
	v_add_nc_u32_e32 v124, 0x2110, v0
	v_dot4c_i32_i8 v169, v123, v183
	v_dot4c_i32_i8 v177, v187, v182
	;; [unrolled: 1-line block ×3, first 2 shown]
	v_mov_b32_e32 v190, 0
	v_dot4c_i32_i8 v177, v188, v183
	s_waitcnt lgkmcnt(0)
	v_ashrrev_i32_e32 v1, s1, v180
	v_ashrrev_i32_e32 v20, s1, v181
	ds_read2_b32 v[180:181], v0 offset0:6 offset1:7
	v_dot4c_i32_i8 v176, v191, v183
	v_mov_b32_e32 v191, 0
	v_and_b32_e32 v1, 0x3030303, v1
	v_and_b32_e32 v20, 0x3030303, v20
	v_dot4c_i32_i8 v200, v1, v223
	v_dot4c_i32_i8 v200, v20, v224
	s_waitcnt lgkmcnt(0)
	v_ashrrev_i32_e32 v85, s1, v180
	v_ashrrev_i32_e32 v86, s1, v181
	ds_read2_b32 v[180:181], v88 offset1:1
	v_and_b32_e32 v85, 0x3030303, v85
	v_and_b32_e32 v86, 0x3030303, v86
	v_dot4c_i32_i8 v200, v85, v225
	v_dot4c_i32_i8 v200, v86, v226
	s_waitcnt lgkmcnt(0)
	v_ashrrev_i32_e32 v88, s1, v180
	v_ashrrev_i32_e32 v101, s1, v181
	ds_read2_b32 v[180:181], v105 offset1:1
	v_and_b32_e32 v88, 0x3030303, v88
	v_and_b32_e32 v101, 0x3030303, v101
	s_waitcnt lgkmcnt(0)
	v_ashrrev_i32_e32 v105, s1, v180
	v_ashrrev_i32_e32 v123, s1, v181
	ds_read2_b32 v[180:181], v124 offset1:1
	v_and_b32_e32 v105, 0x3030303, v105
	v_and_b32_e32 v123, 0x3030303, v123
	s_waitcnt lgkmcnt(0)
	v_ashrrev_i32_e32 v124, s1, v180
	v_add_nc_u32_e32 v180, 0x2118, v0
	v_ashrrev_i32_e32 v184, s1, v181
	v_and_b32_e32 v124, 0x3030303, v124
	ds_read2_b32 v[180:181], v180 offset1:1
	v_and_b32_e32 v207, 0x3030303, v184
	v_lshrrev_b32_e32 v184, 4, v233
	v_mul_lo_u32 v234, 0x1010101, v184
	v_lshrrev_b32_e32 v184, 4, v235
	v_mul_lo_u32 v236, 0x1010101, v184
	v_lshrrev_b32_e32 v184, 4, v237
	v_dot4c_i32_i8 v17, v234, v196
	v_dot4c_i32_i8 v164, v234, v223
	v_mul_lo_u32 v238, 0x1010101, v184
	s_waitcnt lgkmcnt(0)
	v_ashrrev_i32_e32 v185, s1, v180
	v_add_nc_u32_e32 v180, 0x3190, v0
	v_ashrrev_i32_e32 v186, s1, v181
	v_add_nc_u32_e32 v0, 0x3198, v0
	v_lshrrev_b32_e32 v184, 4, v239
	v_and_b32_e32 v228, 0x3030303, v185
	ds_read2_b32 v[180:181], v180 offset1:1
	v_and_b32_e32 v229, 0x3030303, v186
	v_dot4c_i32_i8 v15, v236, v196
	v_mul_lo_u32 v240, 0x1010101, v184
	v_dot4c_i32_i8 v12, v238, v196
	v_dot4c_i32_i8 v17, v234, v197
	;; [unrolled: 1-line block ×16, first 2 shown]
	s_waitcnt lgkmcnt(0)
	v_ashrrev_i32_e32 v187, s1, v180
	v_ashrrev_i32_e32 v188, s1, v181
	ds_read2_b32 v[180:181], v0 offset1:1
	v_dot4c_i32_i8 v10, v240, v198
	v_dot4c_i32_i8 v163, v236, v224
	v_and_b32_e32 v230, 0x3030303, v187
	v_and_b32_e32 v231, 0x3030303, v188
	ds_read_b128 v[184:187], v2 offset:2064
	v_mov_b32_e32 v188, 0
	v_dot4c_i32_i8 v10, v240, v199
	v_dot4c_i32_i8 v160, v238, v224
	;; [unrolled: 1-line block ×13, first 2 shown]
	s_waitcnt lgkmcnt(1)
	v_ashrrev_i32_e32 v0, s1, v180
	v_ashrrev_i32_e32 v189, s1, v181
	ds_read_b128 v[180:183], v2 offset:16
	v_dot4c_i32_i8 v188, v85, v198
	s_lshr_b32 s1, s0, 2
	v_and_b32_e32 v0, 0x3030303, v0
	v_and_b32_e32 v232, 0x3030303, v189
	s_waitcnt lgkmcnt(1)
	v_dot4c_i32_i8 v8, v234, v184
	v_dot4c_i32_i8 v7, v236, v184
	;; [unrolled: 1-line block ×4, first 2 shown]
	v_mov_b32_e32 v189, 0
	v_dot4c_i32_i8 v8, v234, v185
	v_dot4c_i32_i8 v7, v236, v185
	;; [unrolled: 1-line block ×9, first 2 shown]
	s_and_b32 s1, s1, 0x3ffffffc
	s_waitcnt lgkmcnt(0)
	v_dot4c_i32_i8 v227, v1, v180
	v_dot4c_i32_i8 v241, v88, v180
	;; [unrolled: 1-line block ×32, first 2 shown]
	ds_read_b128 v[180:183], v2 offset:1040
	v_dot4c_i32_i8 v8, v234, v187
	v_dot4c_i32_i8 v7, v236, v187
	;; [unrolled: 1-line block ×4, first 2 shown]
	s_addk_i32 s1, 0x7280
	v_cvt_f32_i32_e32 v4, v4
	s_waitcnt lgkmcnt(0)
	v_dot4c_i32_i8 v244, v1, v180
	v_dot4c_i32_i8 v245, v88, v180
	;; [unrolled: 1-line block ×32, first 2 shown]
	v_mov_b32_e32 v183, 0
	v_mov_b32_e32 v182, 0
	;; [unrolled: 1-line block ×4, first 2 shown]
	v_dot4c_i32_i8 v183, v1, v184
	v_dot4c_i32_i8 v182, v88, v184
	;; [unrolled: 1-line block ×16, first 2 shown]
	ds_read_b128 v[184:187], v2 offset:3088
	s_waitcnt lgkmcnt(0)
	v_dot4c_i32_i8 v195, v1, v184
	v_dot4c_i32_i8 v194, v88, v184
	;; [unrolled: 1-line block ×32, first 2 shown]
	v_mov_b32_e32 v187, 0
	v_mov_b32_e32 v185, 0
	;; [unrolled: 1-line block ×4, first 2 shown]
	v_cvt_f32_i32_e32 v76, v76
	v_dot4c_i32_i8 v187, v88, v196
	v_dot4c_i32_i8 v185, v124, v196
	;; [unrolled: 1-line block ×3, first 2 shown]
	v_mov_b32_e32 v196, 0
	v_dot4c_i32_i8 v187, v101, v197
	v_dot4c_i32_i8 v185, v207, v197
	;; [unrolled: 1-line block ×4, first 2 shown]
	v_mov_b32_e32 v197, 0
	v_dot4c_i32_i8 v187, v105, v198
	v_dot4c_i32_i8 v185, v228, v198
	;; [unrolled: 1-line block ×3, first 2 shown]
	v_mov_b32_e32 v198, 0
	v_dot4c_i32_i8 v196, v231, v224
	v_dot4c_i32_i8 v187, v123, v199
	;; [unrolled: 1-line block ×4, first 2 shown]
	v_mov_b32_e32 v199, 0
	v_dot4c_i32_i8 v198, v124, v223
	v_dot4c_i32_i8 v196, v0, v225
	;; [unrolled: 1-line block ×10, first 2 shown]
	ds_read_b128 v[223:226], v2 offset:6160
	s_waitcnt lgkmcnt(0)
	v_dot4c_i32_i8 v192, v1, v223
	v_dot4c_i32_i8 v191, v88, v223
	;; [unrolled: 1-line block ×32, first 2 shown]
	ds_read_b128 v[223:226], v2 offset:7184
	v_add_nc_u32_e32 v2, 32, v2
	s_waitcnt lgkmcnt(0)
	v_dot4c_i32_i8 v201, v124, v223
	v_dot4c_i32_i8 v203, v1, v223
	;; [unrolled: 1-line block ×9, first 2 shown]
	v_and_b32_e32 v207, 15, v233
	v_dot4c_i32_i8 v203, v20, v224
	v_dot4c_i32_i8 v202, v101, v224
	;; [unrolled: 1-line block ×7, first 2 shown]
	v_mad_u64_u32 v[223:224], null, v207, v244, v[211:212]
	v_mul_lo_u32 v211, v207, v227
	v_dot4c_i32_i8 v203, v85, v225
	v_dot4c_i32_i8 v202, v105, v225
	;; [unrolled: 1-line block ×8, first 2 shown]
	v_mad_u64_u32 v[224:225], null, v206, v209, v[211:212]
	v_mul_lo_u32 v211, v208, v222
	v_and_b32_e32 v209, 15, v235
	v_dot4c_i32_i8 v203, v86, v226
	v_dot4c_i32_i8 v202, v123, v226
	;; [unrolled: 1-line block ×8, first 2 shown]
	v_mad_u64_u32 v[226:227], null, v209, v245, v[211:212]
	v_add3_u32 v0, s1, v149, v150
	v_cvt_f32_i32_e32 v225, v223
	v_cvt_f32_i32_e32 v224, v224
	v_mul_lo_u32 v211, v209, v241
	v_cvt_f32_i32_e32 v223, v226
	ds_read_b32 v226, v0
	v_cvt_f32_i32_e32 v0, v219
	v_mad_u64_u32 v[227:228], null, v208, v210, v[211:212]
	v_and_b32_e32 v210, 15, v205
	v_and_b32_e32 v211, 15, v237
	v_mul_lo_u32 v205, v210, v221
	v_mad_u64_u32 v[221:222], null, v211, v246, v[205:206]
	s_waitcnt lgkmcnt(0)
	v_cvt_f32_f16_sdwa v219, v226 dst_sel:DWORD dst_unused:UNUSED_PAD src0_sel:WORD_1
	v_cvt_f32_i32_e32 v222, v227
	v_mul_lo_u32 v205, v211, v242
	v_mul_f32_e32 v0, v219, v0
	v_cvt_f32_i32_e32 v221, v221
	v_mul_f32_e32 v76, v219, v76
	v_fma_mix_f32 v225, v226, v225, -v0 op_sel_hi:[1,0,0]
	v_cvt_f32_i32_e32 v0, v216
	v_mad_u64_u32 v[228:229], null, v210, v212, v[205:206]
	v_and_b32_e32 v205, 15, v239
	v_mul_f32_e32 v0, v219, v0
	v_mul_lo_u32 v212, v205, v243
	v_fma_mix_f32 v224, v226, v224, -v0 op_sel_hi:[1,0,0]
	v_add3_u32 v0, s1, v151, v152
	ds_read_b32 v216, v0
	v_cvt_f32_i32_e32 v0, v218
	v_mad_u64_u32 v[212:213], null, v204, v213, v[212:213]
	v_mul_lo_u32 v213, v204, v220
	v_cvt_f32_i32_e32 v220, v228
	v_cvt_f32_i32_e32 v212, v212
	v_mad_u64_u32 v[229:230], null, v205, v247, v[213:214]
	s_waitcnt lgkmcnt(0)
	v_cvt_f32_f16_sdwa v218, v216 dst_sel:DWORD dst_unused:UNUSED_PAD src0_sel:WORD_1
	v_cvt_f32_i32_e32 v213, v229
	v_mul_f32_e32 v0, v218, v0
	v_fma_mix_f32 v223, v216, v223, -v0 op_sel_hi:[1,0,0]
	v_cvt_f32_i32_e32 v0, v215
	v_mul_f32_e32 v0, v218, v0
	v_fma_mix_f32 v222, v216, v222, -v0 op_sel_hi:[1,0,0]
	v_add3_u32 v0, s1, v153, v154
	ds_read_b32 v215, v0
	v_cvt_f32_i32_e32 v0, v217
	s_waitcnt lgkmcnt(0)
	v_cvt_f32_f16_sdwa v217, v215 dst_sel:DWORD dst_unused:UNUSED_PAD src0_sel:WORD_1
	v_mul_f32_e32 v0, v217, v0
	v_fma_mix_f32 v221, v215, v221, -v0 op_sel_hi:[1,0,0]
	v_cvt_f32_i32_e32 v0, v214
	v_mul_f32_e32 v0, v217, v0
	v_fma_mix_f32 v220, v215, v220, -v0 op_sel_hi:[1,0,0]
	v_add3_u32 v0, s1, v155, v156
	s_add_i32 s1, s0, 2
	s_cmp_lt_u32 s0, 22
	s_mov_b32 s0, s1
	ds_read_b32 v214, v0
	v_cvt_f32_i32_e32 v0, v9
	s_waitcnt lgkmcnt(0)
	v_cvt_f32_f16_sdwa v1, v214 dst_sel:DWORD dst_unused:UNUSED_PAD src0_sel:WORD_1
	v_mul_f32_e32 v0, v1, v0
	v_mul_f32_e32 v4, v1, v4
	v_fma_mix_f32 v0, v214, v213, -v0 op_sel_hi:[1,0,0]
	v_fma_mix_f32 v4, v214, v212, -v4 op_sel_hi:[1,0,0]
	ds_read2_b32 v[212:213], v3 offset1:32
	s_waitcnt lgkmcnt(0)
	v_fma_f32 v68, v212, v4, v68
	v_mul_lo_u32 v4, v83, v206
	v_fma_f32 v19, v212, v224, v19
	v_fmac_f32_e32 v18, v213, v225
	v_fma_f32 v64, v212, v222, v64
	v_fmac_f32_e32 v63, v213, v223
	;; [unrolled: 2-line block ×3, first 2 shown]
	v_fmac_f32_e32 v67, v213, v0
	v_mad_u64_u32 v[212:213], null, v195, v207, v[4:5]
	v_mul_lo_u32 v4, v183, v207
	v_mad_u64_u32 v[220:221], null, v11, v206, v[4:5]
	v_mul_lo_u32 v4, v161, v208
	v_cvt_f32_i32_e32 v0, v220
	v_mad_u64_u32 v[194:195], null, v194, v209, v[4:5]
	v_mul_lo_u32 v4, v182, v209
	v_cvt_f32_i32_e32 v11, v194
	;; [unrolled: 3-line block ×3, first 2 shown]
	v_mad_u64_u32 v[161:162], null, v193, v211, v[4:5]
	v_mul_lo_u32 v4, v180, v211
	v_mad_u64_u32 v[13:14], null, v14, v210, v[4:5]
	v_mul_lo_u32 v4, v181, v205
	v_cvt_f32_i32_e32 v14, v161
	v_cvt_f32_i32_e32 v13, v13
	v_mad_u64_u32 v[180:181], null, v16, v204, v[4:5]
	v_mul_lo_u32 v4, v84, v204
	v_cvt_f32_i32_e32 v16, v180
	v_mad_u64_u32 v[83:84], null, v189, v205, v[4:5]
	v_cvt_f32_i32_e32 v4, v212
	v_fma_mix_f32 v76, v226, v4, -v76 op_sel_hi:[1,0,0]
	v_cvt_f32_i32_e32 v4, v8
	v_cvt_f32_i32_e32 v20, v83
	v_mul_f32_e32 v4, v219, v4
	v_fma_mix_f32 v0, v226, v0, -v4 op_sel_hi:[1,0,0]
	v_cvt_f32_i32_e32 v4, v75
	v_mul_f32_e32 v4, v218, v4
	v_fma_mix_f32 v8, v216, v11, -v4 op_sel_hi:[1,0,0]
	;; [unrolled: 3-line block ×7, first 2 shown]
	ds_read2_b32 v[4:5], v3 offset0:64 offset1:96
	s_waitcnt lgkmcnt(0)
	v_fma_f32 v60, v4, v0, v60
	v_fma_f32 v62, v4, v7, v62
	;; [unrolled: 1-line block ×4, first 2 shown]
	v_mul_lo_u32 v4, v170, v206
	v_fmac_f32_e32 v59, v5, v76
	v_fmac_f32_e32 v61, v5, v8
	;; [unrolled: 1-line block ×4, first 2 shown]
	v_mad_u64_u32 v[4:5], null, v200, v207, v[4:5]
	v_mul_lo_u32 v5, v188, v207
	v_cvt_f32_i32_e32 v4, v4
	v_mad_u64_u32 v[5:6], null, v77, v206, v[5:6]
	v_mul_lo_u32 v6, v173, v208
	v_cvt_f32_i32_e32 v0, v5
	;; [unrolled: 3-line block ×6, first 2 shown]
	v_cvt_f32_i32_e32 v13, v164
	v_mad_u64_u32 v[73:74], null, v80, v204, v[9:10]
	v_mul_lo_u32 v9, v171, v204
	v_mul_f32_e32 v13, v219, v13
	v_fma_mix_f32 v13, v226, v4, -v13 op_sel_hi:[1,0,0]
	v_cvt_f32_i32_e32 v4, v17
	v_mad_u64_u32 v[74:75], null, v196, v205, v[9:10]
	v_cvt_f32_i32_e32 v9, v73
	v_mul_f32_e32 v4, v219, v4
	v_cvt_f32_i32_e32 v11, v74
	v_fma_mix_f32 v0, v226, v0, -v4 op_sel_hi:[1,0,0]
	v_cvt_f32_i32_e32 v4, v163
	v_mul_f32_e32 v4, v218, v4
	v_fma_mix_f32 v6, v216, v6, -v4 op_sel_hi:[1,0,0]
	v_cvt_f32_i32_e32 v4, v15
	v_mul_f32_e32 v4, v218, v4
	;; [unrolled: 3-line block ×6, first 2 shown]
	v_fma_mix_f32 v9, v214, v9, -v4 op_sel_hi:[1,0,0]
	ds_read2_b32 v[4:5], v3 offset0:128 offset1:160
	s_waitcnt lgkmcnt(0)
	v_fma_f32 v50, v4, v0, v50
	v_fma_f32 v52, v4, v14, v52
	;; [unrolled: 1-line block ×4, first 2 shown]
	v_mul_lo_u32 v4, v178, v206
	v_fmac_f32_e32 v49, v5, v13
	v_fmac_f32_e32 v51, v5, v6
	;; [unrolled: 1-line block ×4, first 2 shown]
	v_mad_u64_u32 v[4:5], null, v203, v207, v[4:5]
	v_mul_lo_u32 v5, v192, v207
	v_cvt_f32_i32_e32 v4, v4
	v_mad_u64_u32 v[5:6], null, v165, v206, v[5:6]
	v_mul_lo_u32 v6, v179, v208
	v_cvt_f32_i32_e32 v0, v5
	v_cvt_f32_i32_e32 v5, v175
	v_mad_u64_u32 v[6:7], null, v202, v209, v[6:7]
	v_mul_lo_u32 v7, v191, v209
	v_mul_f32_e32 v5, v219, v5
	v_fma_mix_f32 v13, v226, v4, -v5 op_sel_hi:[1,0,0]
	v_mad_u64_u32 v[7:8], null, v166, v208, v[7:8]
	v_mul_lo_u32 v8, v177, v210
	v_cvt_f32_i32_e32 v5, v6
	v_cvt_f32_i32_e32 v6, v172
	;; [unrolled: 1-line block ×4, first 2 shown]
	v_mad_u64_u32 v[8:9], null, v201, v211, v[8:9]
	v_mul_lo_u32 v9, v190, v211
	v_mul_f32_e32 v6, v218, v6
	v_mul_f32_e32 v7, v218, v7
	v_fma_mix_f32 v6, v216, v5, -v6 op_sel_hi:[1,0,0]
	v_fma_mix_f32 v7, v216, v4, -v7 op_sel_hi:[1,0,0]
	v_mad_u64_u32 v[9:10], null, v167, v210, v[9:10]
	v_mul_lo_u32 v10, v176, v204
	v_cvt_f32_i32_e32 v5, v8
	v_cvt_f32_i32_e32 v8, v169
	;; [unrolled: 1-line block ×4, first 2 shown]
	v_mad_u64_u32 v[10:11], null, v197, v205, v[10:11]
	v_mul_lo_u32 v11, v184, v205
	v_mul_f32_e32 v8, v217, v8
	v_mul_f32_e32 v9, v217, v9
	v_fma_mix_f32 v8, v215, v5, -v8 op_sel_hi:[1,0,0]
	v_fma_mix_f32 v9, v215, v4, -v9 op_sel_hi:[1,0,0]
	v_mad_u64_u32 v[11:12], null, v81, v204, v[11:12]
	v_cvt_f32_i32_e32 v5, v10
	v_cvt_f32_i32_e32 v10, v168
	;; [unrolled: 1-line block ×5, first 2 shown]
	v_mul_f32_e32 v10, v1, v10
	v_mul_f32_e32 v12, v219, v12
	;; [unrolled: 1-line block ×3, first 2 shown]
	v_fma_mix_f32 v10, v214, v5, -v10 op_sel_hi:[1,0,0]
	v_fma_mix_f32 v0, v226, v0, -v12 op_sel_hi:[1,0,0]
	;; [unrolled: 1-line block ×3, first 2 shown]
	ds_read2_b32 v[4:5], v3 offset0:192 offset1:224
	v_add_nc_u32_e32 v3, 4, v3
	s_waitcnt lgkmcnt(0)
	v_fma_f32 v40, v4, v0, v40
	v_fmac_f32_e32 v39, v5, v13
	v_fma_f32 v42, v4, v7, v42
	v_fmac_f32_e32 v41, v5, v6
	;; [unrolled: 2-line block ×4, first 2 shown]
	s_cbranch_scc1 .LBB148_12
; %bb.13:                               ;   in Loop: Header=BB148_6 Depth=1
	buffer_load_dword v0, off, s[16:19], 0 offset:32 ; 4-byte Folded Reload
	s_waitcnt vmcnt(0)
	s_barrier
	buffer_gl0_inv
	s_mov_b32 s0, 24
	v_add_nc_u32_e32 v0, s9, v0
	v_add_nc_u32_e32 v1, v0, v114
	;; [unrolled: 1-line block ×6, first 2 shown]
	v_mad_i64_i32 v[2:3], null, v1, 36, v[37:38]
	v_add_nc_u32_e32 v1, v0, v117
	v_mad_i64_i32 v[4:5], null, v4, 36, v[37:38]
	v_add_nc_u32_e32 v16, v0, v120
	v_mad_i64_i32 v[6:7], null, v6, 36, v[37:38]
	v_mad_i64_i32 v[8:9], null, v1, 36, v[37:38]
	v_add_nc_u32_e32 v1, 12, v159
	v_add_nc_u32_e32 v0, v0, v121
	v_mad_i64_i32 v[10:11], null, v10, 36, v[37:38]
	v_mad_i64_i32 v[14:15], null, v14, 36, v[37:38]
	v_mad_u64_u32 v[12:13], null, v1, 36, s[2:3]
	v_mad_i64_i32 v[16:17], null, v16, 36, v[37:38]
	v_mad_i64_i32 v[69:70], null, v0, 36, v[37:38]
	s_clause 0x8
	global_load_dword v0, v[12:13], off
	global_load_dword v1, v[2:3], off offset:4
	global_load_dword v4, v[4:5], off offset:4
	;; [unrolled: 1-line block ×8, first 2 shown]
	v_mov_b32_e32 v2, v131
	v_mov_b32_e32 v3, v126
	s_waitcnt vmcnt(8)
	v_cvt_f32_f16_e32 v0, v0
	s_waitcnt vmcnt(7)
	ds_write_b32 v141, v1
	s_waitcnt vmcnt(6)
	ds_write_b32 v142, v4
	;; [unrolled: 2-line block ×8, first 2 shown]
	ds_write_b32 v113, v0
	s_waitcnt lgkmcnt(0)
	s_barrier
	buffer_gl0_inv
.LBB148_14:                             ;   Parent Loop BB148_6 Depth=1
                                        ; =>  This Inner Loop Header: Depth=2
	s_and_b32 s9, s0, 0x3ffffff8
	s_sub_i32 s1, s0, 24
	v_lshl_add_u32 v0, s9, 2, v125
	s_and_b32 s9, s0, -16
	v_mov_b32_e32 v207, 0
	s_add_i32 s9, s0, s9
	v_mov_b32_e32 v210, 0
	ds_read2_b32 v[4:5], v0 offset1:1
	v_mov_b32_e32 v212, 0
	v_mov_b32_e32 v211, 0
	;; [unrolled: 1-line block ×19, first 2 shown]
	s_waitcnt lgkmcnt(0)
	v_ashrrev_i32_e32 v1, s1, v4
	v_ashrrev_i32_e32 v6, s1, v5
	ds_read2_b32 v[4:5], v0 offset0:2 offset1:3
	v_mov_b32_e32 v83, 0
	v_mov_b32_e32 v172, 0
	v_and_b32_e32 v1, 0x3030303, v1
	v_and_b32_e32 v78, 0x3030303, v6
	v_mov_b32_e32 v82, 0
	v_mov_b32_e32 v169, 0
	;; [unrolled: 1-line block ×15, first 2 shown]
	s_waitcnt lgkmcnt(0)
	v_ashrrev_i32_e32 v7, s1, v4
	v_add_nc_u32_e32 v4, 0x1080, v0
	v_ashrrev_i32_e32 v8, s1, v5
	v_mov_b32_e32 v178, 0
	v_mov_b32_e32 v170, 0
	v_and_b32_e32 v85, 0x3030303, v7
	ds_read2_b32 v[4:5], v4 offset1:1
	v_and_b32_e32 v86, 0x3030303, v8
	v_mov_b32_e32 v8, 0
	v_mov_b32_e32 v176, 0
	;; [unrolled: 1-line block ×18, first 2 shown]
	s_waitcnt lgkmcnt(0)
	v_ashrrev_i32_e32 v9, s1, v4
	v_add_nc_u32_e32 v4, 0x1088, v0
	v_ashrrev_i32_e32 v10, s1, v5
	v_mov_b32_e32 v195, 0
	v_mov_b32_e32 v193, 0
	v_and_b32_e32 v124, 0x3030303, v9
	ds_read2_b32 v[4:5], v4 offset1:1
	v_and_b32_e32 v10, 0x3030303, v10
	v_mov_b32_e32 v9, 0
	v_mov_b32_e32 v204, 0
	;; [unrolled: 1-line block ×6, first 2 shown]
	ds_read_b128 v[179:182], v2 offset:6144
	ds_read_b128 v[222:225], v2 offset:6160
	s_waitcnt lgkmcnt(2)
	v_ashrrev_i32_e32 v11, s1, v4
	v_add_nc_u32_e32 v4, 0x2100, v0
	v_ashrrev_i32_e32 v12, s1, v5
	v_and_b32_e32 v183, 0x3030303, v11
	ds_read2_b32 v[4:5], v4 offset1:1
	v_and_b32_e32 v184, 0x3030303, v12
	v_mov_b32_e32 v12, 0
	v_mov_b32_e32 v11, 0
	s_waitcnt lgkmcnt(2)
	v_dot4c_i32_i8 v71, v1, v179
	v_dot4c_i32_i8 v71, v78, v180
	v_dot4c_i32_i8 v71, v85, v181
	v_dot4c_i32_i8 v71, v86, v182
	s_waitcnt lgkmcnt(0)
	v_ashrrev_i32_e32 v13, s1, v4
	v_add_nc_u32_e32 v4, 0x2108, v0
	v_ashrrev_i32_e32 v14, s1, v5
	v_and_b32_e32 v159, 0x3030303, v13
	ds_read2_b32 v[4:5], v4 offset1:1
	v_and_b32_e32 v185, 0x3030303, v14
	v_mov_b32_e32 v14, 0
	v_mov_b32_e32 v13, 0
	s_waitcnt lgkmcnt(0)
	v_ashrrev_i32_e32 v15, s1, v4
	v_add_nc_u32_e32 v4, 0x3180, v0
	v_ashrrev_i32_e32 v16, s1, v5
	v_and_b32_e32 v15, 0x3030303, v15
	ds_read2_b32 v[4:5], v4 offset1:1
	v_and_b32_e32 v186, 0x3030303, v16
	v_mov_b32_e32 v16, 0
	v_dot4c_i32_i8 v16, v159, v179
	v_dot4c_i32_i8 v16, v185, v180
	;; [unrolled: 1-line block ×3, first 2 shown]
	s_waitcnt lgkmcnt(0)
	v_ashrrev_i32_e32 v17, s1, v4
	v_add_nc_u32_e32 v4, 0x3188, v0
	v_ashrrev_i32_e32 v20, s1, v5
	v_dot4c_i32_i8 v16, v186, v182
	v_and_b32_e32 v17, 0x3030303, v17
	ds_read2_b32 v[4:5], v4 offset1:1
	v_and_b32_e32 v20, 0x3030303, v20
	v_dot4c_i32_i8 v9, v17, v179
	v_dot4c_i32_i8 v9, v20, v180
	s_waitcnt lgkmcnt(0)
	v_ashrrev_i32_e32 v69, s1, v4
	v_add_nc_u32_e32 v4, s9, v127
	v_ashrrev_i32_e32 v70, s1, v5
	v_and_b32_e32 v187, 0x3030303, v69
	ds_read_u16 v205, v4 offset:25072
	v_add_nc_u32_e32 v4, s9, v128
	v_and_b32_e32 v188, 0x3030303, v70
	v_mov_b32_e32 v69, 0
	v_mov_b32_e32 v70, 0
	v_dot4c_i32_i8 v9, v187, v181
	ds_read_u16 v206, v4 offset:26096
	v_add_nc_u32_e32 v4, s9, v129
	v_dot4c_i32_i8 v70, v124, v179
	v_dot4c_i32_i8 v9, v188, v182
	ds_read_u16 v199, v4 offset:27120
	v_add_nc_u32_e32 v4, s9, v130
	v_dot4c_i32_i8 v70, v10, v180
	ds_read_u16 v196, v4 offset:28144
	v_dot4c_i32_i8 v70, v183, v181
	s_waitcnt lgkmcnt(3)
	v_bfe_u32 v4, v205, 4, 4
	v_dot4c_i32_i8 v70, v184, v182
	v_mul_lo_u32 v88, 0x1010101, v4
	s_waitcnt lgkmcnt(2)
	v_bfe_u32 v4, v206, 4, 4
	v_mul_lo_u32 v101, 0x1010101, v4
	s_waitcnt lgkmcnt(1)
	v_bfe_u32 v4, v199, 4, 4
	;; [unrolled: 3-line block ×3, first 2 shown]
	v_mul_lo_u32 v123, 0x1010101, v4
	ds_read_b128 v[4:7], v2
	s_waitcnt lgkmcnt(0)
	v_dot4c_i32_i8 v207, v1, v4
	v_dot4c_i32_i8 v210, v124, v4
	v_dot4c_i32_i8 v212, v159, v4
	v_dot4c_i32_i8 v211, v17, v4
	v_dot4c_i32_i8 v216, v88, v4
	v_dot4c_i32_i8 v214, v101, v4
	v_dot4c_i32_i8 v213, v105, v4
	v_dot4c_i32_i8 v8, v123, v4
	v_dot4c_i32_i8 v207, v78, v5
	v_dot4c_i32_i8 v210, v10, v5
	v_dot4c_i32_i8 v212, v185, v5
	v_dot4c_i32_i8 v211, v20, v5
	v_dot4c_i32_i8 v216, v88, v5
	v_dot4c_i32_i8 v214, v101, v5
	v_dot4c_i32_i8 v213, v105, v5
	v_dot4c_i32_i8 v8, v123, v5
	v_dot4c_i32_i8 v207, v85, v6
	v_dot4c_i32_i8 v210, v183, v6
	v_dot4c_i32_i8 v212, v15, v6
	v_dot4c_i32_i8 v211, v187, v6
	v_dot4c_i32_i8 v216, v88, v6
	v_dot4c_i32_i8 v214, v101, v6
	v_dot4c_i32_i8 v213, v105, v6
	v_dot4c_i32_i8 v8, v123, v6
	v_dot4c_i32_i8 v207, v86, v7
	v_dot4c_i32_i8 v210, v184, v7
	v_dot4c_i32_i8 v212, v186, v7
	v_dot4c_i32_i8 v211, v188, v7
	v_dot4c_i32_i8 v216, v88, v7
	v_dot4c_i32_i8 v214, v101, v7
	v_dot4c_i32_i8 v213, v105, v7
	v_dot4c_i32_i8 v8, v123, v7
	ds_read_b128 v[4:7], v2 offset:1024
	s_waitcnt lgkmcnt(0)
	v_dot4c_i32_i8 v209, v1, v4
	v_dot4c_i32_i8 v218, v88, v4
	v_dot4c_i32_i8 v221, v124, v4
	v_dot4c_i32_i8 v217, v101, v4
	v_dot4c_i32_i8 v220, v159, v4
	v_dot4c_i32_i8 v215, v105, v4
	v_dot4c_i32_i8 v219, v17, v4
	v_dot4c_i32_i8 v69, v123, v4
	v_dot4c_i32_i8 v209, v78, v5
	v_dot4c_i32_i8 v218, v88, v5
	v_dot4c_i32_i8 v221, v10, v5
	v_dot4c_i32_i8 v217, v101, v5
	v_dot4c_i32_i8 v220, v185, v5
	v_dot4c_i32_i8 v215, v105, v5
	v_dot4c_i32_i8 v219, v20, v5
	v_dot4c_i32_i8 v69, v123, v5
	v_dot4c_i32_i8 v209, v85, v6
	v_dot4c_i32_i8 v218, v88, v6
	v_dot4c_i32_i8 v221, v183, v6
	v_dot4c_i32_i8 v217, v101, v6
	v_dot4c_i32_i8 v220, v15, v6
	v_dot4c_i32_i8 v215, v105, v6
	v_dot4c_i32_i8 v219, v187, v6
	v_dot4c_i32_i8 v69, v123, v6
	v_dot4c_i32_i8 v209, v86, v7
	v_dot4c_i32_i8 v218, v88, v7
	v_dot4c_i32_i8 v221, v184, v7
	v_dot4c_i32_i8 v217, v101, v7
	v_dot4c_i32_i8 v220, v186, v7
	v_dot4c_i32_i8 v215, v105, v7
	v_dot4c_i32_i8 v219, v188, v7
	v_dot4c_i32_i8 v69, v123, v7
	ds_read_b128 v[4:7], v2 offset:2048
	s_waitcnt lgkmcnt(0)
	v_dot4c_i32_i8 v73, v1, v4
	v_dot4c_i32_i8 v14, v88, v4
	v_dot4c_i32_i8 v75, v124, v4
	v_dot4c_i32_i8 v13, v101, v4
	v_dot4c_i32_i8 v76, v159, v4
	v_dot4c_i32_i8 v12, v105, v4
	v_dot4c_i32_i8 v79, v17, v4
	v_dot4c_i32_i8 v11, v123, v4
	v_dot4c_i32_i8 v73, v78, v5
	v_dot4c_i32_i8 v14, v88, v5
	v_dot4c_i32_i8 v75, v10, v5
	v_dot4c_i32_i8 v13, v101, v5
	v_dot4c_i32_i8 v76, v185, v5
	v_dot4c_i32_i8 v12, v105, v5
	v_dot4c_i32_i8 v79, v20, v5
	v_dot4c_i32_i8 v11, v123, v5
	v_dot4c_i32_i8 v73, v85, v6
	v_dot4c_i32_i8 v14, v88, v6
	v_dot4c_i32_i8 v75, v183, v6
	v_dot4c_i32_i8 v13, v101, v6
	v_dot4c_i32_i8 v76, v15, v6
	v_dot4c_i32_i8 v12, v105, v6
	v_dot4c_i32_i8 v79, v187, v6
	v_dot4c_i32_i8 v11, v123, v6
	v_dot4c_i32_i8 v73, v86, v7
	v_dot4c_i32_i8 v14, v88, v7
	v_dot4c_i32_i8 v75, v184, v7
	v_dot4c_i32_i8 v13, v101, v7
	v_dot4c_i32_i8 v76, v186, v7
	v_dot4c_i32_i8 v12, v105, v7
	v_dot4c_i32_i8 v79, v188, v7
	v_dot4c_i32_i8 v11, v123, v7
	ds_read_b128 v[4:7], v2 offset:3072
	s_waitcnt lgkmcnt(0)
	v_dot4c_i32_i8 v168, v1, v4
	v_dot4c_i32_i8 v84, v88, v4
	v_dot4c_i32_i8 v171, v124, v4
	v_dot4c_i32_i8 v83, v101, v4
	v_dot4c_i32_i8 v172, v159, v4
	v_dot4c_i32_i8 v82, v105, v4
	v_dot4c_i32_i8 v169, v17, v4
	v_dot4c_i32_i8 v81, v123, v4
	v_dot4c_i32_i8 v168, v78, v5
	v_dot4c_i32_i8 v84, v88, v5
	v_dot4c_i32_i8 v171, v10, v5
	v_dot4c_i32_i8 v83, v101, v5
	v_dot4c_i32_i8 v172, v185, v5
	v_dot4c_i32_i8 v82, v105, v5
	v_dot4c_i32_i8 v169, v20, v5
	v_dot4c_i32_i8 v81, v123, v5
	v_dot4c_i32_i8 v168, v85, v6
	v_dot4c_i32_i8 v84, v88, v6
	v_dot4c_i32_i8 v171, v183, v6
	v_dot4c_i32_i8 v83, v101, v6
	v_dot4c_i32_i8 v172, v15, v6
	v_dot4c_i32_i8 v82, v105, v6
	v_dot4c_i32_i8 v169, v187, v6
	v_dot4c_i32_i8 v81, v123, v6
	v_dot4c_i32_i8 v168, v86, v7
	v_dot4c_i32_i8 v84, v88, v7
	v_dot4c_i32_i8 v171, v184, v7
	v_dot4c_i32_i8 v83, v101, v7
	v_dot4c_i32_i8 v172, v186, v7
	v_dot4c_i32_i8 v82, v105, v7
	v_dot4c_i32_i8 v169, v188, v7
	v_dot4c_i32_i8 v81, v123, v7
	ds_read_b128 v[4:7], v2 offset:4096
	s_waitcnt lgkmcnt(0)
	v_dot4c_i32_i8 v160, v1, v4
	v_dot4c_i32_i8 v80, v88, v4
	v_dot4c_i32_i8 v161, v124, v4
	v_dot4c_i32_i8 v77, v101, v4
	v_dot4c_i32_i8 v162, v159, v4
	v_dot4c_i32_i8 v74, v105, v4
	v_dot4c_i32_i8 v163, v17, v4
	v_dot4c_i32_i8 v72, v123, v4
	v_dot4c_i32_i8 v160, v78, v5
	v_dot4c_i32_i8 v80, v88, v5
	v_dot4c_i32_i8 v161, v10, v5
	v_dot4c_i32_i8 v77, v101, v5
	v_dot4c_i32_i8 v162, v185, v5
	v_dot4c_i32_i8 v74, v105, v5
	v_dot4c_i32_i8 v163, v20, v5
	v_dot4c_i32_i8 v72, v123, v5
	v_dot4c_i32_i8 v160, v85, v6
	v_dot4c_i32_i8 v80, v88, v6
	v_dot4c_i32_i8 v161, v183, v6
	v_dot4c_i32_i8 v77, v101, v6
	v_dot4c_i32_i8 v162, v15, v6
	v_dot4c_i32_i8 v74, v105, v6
	v_dot4c_i32_i8 v163, v187, v6
	v_dot4c_i32_i8 v72, v123, v6
	v_dot4c_i32_i8 v160, v86, v7
	v_dot4c_i32_i8 v80, v88, v7
	v_dot4c_i32_i8 v161, v184, v7
	v_dot4c_i32_i8 v77, v101, v7
	v_dot4c_i32_i8 v162, v186, v7
	v_dot4c_i32_i8 v74, v105, v7
	v_dot4c_i32_i8 v163, v188, v7
	v_dot4c_i32_i8 v72, v123, v7
	ds_read_b128 v[4:7], v2 offset:5120
	s_waitcnt lgkmcnt(0)
	v_dot4c_i32_i8 v175, v1, v4
	v_dot4c_i32_i8 v174, v88, v4
	;; [unrolled: 1-line block ×32, first 2 shown]
	v_mov_b32_e32 v7, 0
	v_mov_b32_e32 v6, 0
	;; [unrolled: 1-line block ×4, first 2 shown]
	v_dot4c_i32_i8 v7, v88, v179
	v_dot4c_i32_i8 v6, v101, v179
	;; [unrolled: 1-line block ×16, first 2 shown]
	ds_read_b128 v[179:182], v2 offset:7168
	s_waitcnt lgkmcnt(0)
	v_dot4c_i32_i8 v164, v159, v179
	v_dot4c_i32_i8 v166, v1, v179
	;; [unrolled: 1-line block ×3, first 2 shown]
	v_mov_b32_e32 v159, 0
	v_add_nc_u32_e32 v124, 0x2110, v0
	v_dot4c_i32_i8 v164, v185, v180
	v_dot4c_i32_i8 v166, v78, v180
	;; [unrolled: 1-line block ×4, first 2 shown]
	v_mov_b32_e32 v78, 0
	v_dot4c_i32_i8 v164, v15, v181
	v_mov_b32_e32 v17, 0
	v_mov_b32_e32 v15, 0
	;; [unrolled: 1-line block ×3, first 2 shown]
	v_dot4c_i32_i8 v78, v88, v179
	v_dot4c_i32_i8 v159, v20, v180
	;; [unrolled: 1-line block ×10, first 2 shown]
	ds_read2_b32 v[179:180], v0 offset0:4 offset1:5
	v_dot4c_i32_i8 v78, v88, v181
	v_dot4c_i32_i8 v166, v86, v182
	;; [unrolled: 1-line block ×6, first 2 shown]
	v_add_nc_u32_e32 v88, 0x1090, v0
	v_dot4c_i32_i8 v15, v105, v182
	v_add_nc_u32_e32 v105, 0x1098, v0
	v_dot4c_i32_i8 v17, v101, v182
	v_dot4c_i32_i8 v10, v123, v182
	;; [unrolled: 1-line block ×7, first 2 shown]
	s_waitcnt lgkmcnt(0)
	v_ashrrev_i32_e32 v1, s1, v179
	v_ashrrev_i32_e32 v20, s1, v180
	ds_read2_b32 v[179:180], v0 offset0:6 offset1:7
	v_and_b32_e32 v1, 0x3030303, v1
	v_and_b32_e32 v20, 0x3030303, v20
	s_waitcnt lgkmcnt(0)
	v_ashrrev_i32_e32 v85, s1, v179
	v_ashrrev_i32_e32 v86, s1, v180
	ds_read2_b32 v[179:180], v88 offset1:1
	v_and_b32_e32 v85, 0x3030303, v85
	v_and_b32_e32 v86, 0x3030303, v86
	s_waitcnt lgkmcnt(0)
	v_ashrrev_i32_e32 v88, s1, v179
	v_ashrrev_i32_e32 v101, s1, v180
	ds_read2_b32 v[179:180], v105 offset1:1
	;; [unrolled: 6-line block ×3, first 2 shown]
	v_and_b32_e32 v105, 0x3030303, v105
	v_and_b32_e32 v123, 0x3030303, v123
	s_waitcnt lgkmcnt(0)
	v_ashrrev_i32_e32 v124, s1, v179
	v_add_nc_u32_e32 v179, 0x2118, v0
	v_ashrrev_i32_e32 v183, s1, v180
	v_and_b32_e32 v124, 0x3030303, v124
	ds_read2_b32 v[179:180], v179 offset1:1
	v_and_b32_e32 v208, 0x3030303, v183
	v_mov_b32_e32 v183, 0
	s_waitcnt lgkmcnt(0)
	v_ashrrev_i32_e32 v184, s1, v179
	v_add_nc_u32_e32 v179, 0x3190, v0
	v_ashrrev_i32_e32 v185, s1, v180
	v_add_nc_u32_e32 v0, 0x3198, v0
	v_and_b32_e32 v227, 0x3030303, v184
	ds_read2_b32 v[179:180], v179 offset1:1
	v_and_b32_e32 v228, 0x3030303, v185
	v_mov_b32_e32 v184, 0
	v_mov_b32_e32 v185, 0
	s_waitcnt lgkmcnt(0)
	v_ashrrev_i32_e32 v186, s1, v179
	v_ashrrev_i32_e32 v187, s1, v180
	ds_read2_b32 v[179:180], v0 offset1:1
	v_and_b32_e32 v229, 0x3030303, v186
	v_and_b32_e32 v230, 0x3030303, v187
	v_mov_b32_e32 v187, 0
	v_mov_b32_e32 v186, 0
	s_waitcnt lgkmcnt(0)
	v_ashrrev_i32_e32 v0, s1, v179
	v_and_b32_sdwa v179, v157, v205 dst_sel:DWORD dst_unused:UNUSED_PAD src0_sel:DWORD src1_sel:BYTE_1
	v_ashrrev_i32_e32 v188, s1, v180
	s_lshr_b32 s1, s0, 2
	v_and_b32_e32 v0, 0x3030303, v0
	v_lshrrev_b32_e32 v189, 4, v179
	v_and_b32_sdwa v179, v157, v206 dst_sel:DWORD dst_unused:UNUSED_PAD src0_sel:DWORD src1_sel:BYTE_1
	v_and_b32_e32 v231, 0x3030303, v188
	v_mov_b32_e32 v188, 0
	s_and_b32 s1, s1, 0x3ffffffc
	v_mul_lo_u32 v232, 0x1010101, v189
	v_lshrrev_b32_e32 v190, 4, v179
	v_and_b32_sdwa v179, v157, v199 dst_sel:DWORD dst_unused:UNUSED_PAD src0_sel:DWORD src1_sel:BYTE_1
	v_mov_b32_e32 v189, 0
	s_addk_i32 s1, 0x7280
	v_mul_lo_u32 v233, 0x1010101, v190
	v_lshrrev_b32_e32 v191, 4, v179
	v_and_b32_sdwa v179, v157, v196 dst_sel:DWORD dst_unused:UNUSED_PAD src0_sel:DWORD src1_sel:BYTE_1
	v_mov_b32_e32 v190, 0
	v_dot4c_i32_i8 v7, v232, v222
	v_mul_lo_u32 v234, 0x1010101, v191
	v_lshrrev_b32_e32 v192, 4, v179
	ds_read_b128 v[179:182], v2 offset:16
	v_dot4c_i32_i8 v6, v233, v222
	v_dot4c_i32_i8 v7, v232, v223
	v_mov_b32_e32 v191, 0
	v_mul_lo_u32 v235, 0x1010101, v192
	v_mov_b32_e32 v192, 0
	v_dot4c_i32_i8 v5, v234, v222
	v_dot4c_i32_i8 v6, v233, v223
	;; [unrolled: 1-line block ×10, first 2 shown]
	v_cvt_f32_i32_e32 v7, v7
	s_waitcnt lgkmcnt(0)
	v_dot4c_i32_i8 v226, v1, v179
	v_dot4c_i32_i8 v236, v88, v179
	v_dot4c_i32_i8 v237, v124, v179
	v_dot4c_i32_i8 v238, v229, v179
	v_dot4c_i32_i8 v216, v232, v179
	v_dot4c_i32_i8 v214, v233, v179
	v_dot4c_i32_i8 v213, v234, v179
	v_dot4c_i32_i8 v8, v235, v179
	v_dot4c_i32_i8 v226, v20, v180
	v_dot4c_i32_i8 v236, v101, v180
	v_dot4c_i32_i8 v237, v208, v180
	v_dot4c_i32_i8 v238, v230, v180
	v_dot4c_i32_i8 v216, v232, v180
	v_dot4c_i32_i8 v214, v233, v180
	v_dot4c_i32_i8 v213, v234, v180
	v_dot4c_i32_i8 v8, v235, v180
	v_dot4c_i32_i8 v226, v85, v181
	v_dot4c_i32_i8 v236, v105, v181
	v_dot4c_i32_i8 v237, v227, v181
	v_dot4c_i32_i8 v238, v0, v181
	v_dot4c_i32_i8 v216, v232, v181
	v_dot4c_i32_i8 v214, v233, v181
	v_dot4c_i32_i8 v213, v234, v181
	v_dot4c_i32_i8 v8, v235, v181
	v_dot4c_i32_i8 v226, v86, v182
	v_dot4c_i32_i8 v236, v123, v182
	v_dot4c_i32_i8 v237, v228, v182
	v_dot4c_i32_i8 v238, v231, v182
	v_dot4c_i32_i8 v216, v232, v182
	v_dot4c_i32_i8 v214, v233, v182
	v_dot4c_i32_i8 v213, v234, v182
	v_dot4c_i32_i8 v8, v235, v182
	ds_read_b128 v[179:182], v2 offset:1040
	v_dot4c_i32_i8 v4, v235, v224
	v_dot4c_i32_i8 v5, v234, v225
	v_cvt_f32_i32_e32 v6, v6
	v_cvt_f32_i32_e32 v8, v8
	v_dot4c_i32_i8 v4, v235, v225
	v_cvt_f32_i32_e32 v5, v5
	v_cvt_f32_i32_e32 v4, v4
	s_waitcnt lgkmcnt(0)
	v_dot4c_i32_i8 v239, v1, v179
	v_dot4c_i32_i8 v240, v88, v179
	;; [unrolled: 1-line block ×32, first 2 shown]
	ds_read_b128 v[179:182], v2 offset:2064
	s_waitcnt lgkmcnt(0)
	v_dot4c_i32_i8 v187, v1, v179
	v_dot4c_i32_i8 v186, v88, v179
	;; [unrolled: 1-line block ×32, first 2 shown]
	ds_read_b128 v[179:182], v2 offset:3088
	v_cvt_f32_i32_e32 v14, v14
	v_cvt_f32_i32_e32 v13, v13
	;; [unrolled: 1-line block ×4, first 2 shown]
	s_waitcnt lgkmcnt(0)
	v_dot4c_i32_i8 v200, v1, v179
	v_dot4c_i32_i8 v198, v88, v179
	;; [unrolled: 1-line block ×32, first 2 shown]
	ds_read_b128 v[179:182], v2 offset:4112
	v_cvt_f32_i32_e32 v84, v84
	s_waitcnt lgkmcnt(0)
	v_dot4c_i32_i8 v193, v1, v179
	v_dot4c_i32_i8 v192, v88, v179
	;; [unrolled: 1-line block ×32, first 2 shown]
	ds_read_b128 v[179:182], v2 offset:5136
	s_waitcnt lgkmcnt(0)
	v_dot4c_i32_i8 v204, v1, v179
	v_dot4c_i32_i8 v203, v88, v179
	v_dot4c_i32_i8 v202, v124, v179
	v_dot4c_i32_i8 v201, v229, v179
	v_dot4c_i32_i8 v174, v232, v179
	v_dot4c_i32_i8 v173, v233, v179
	v_dot4c_i32_i8 v170, v234, v179
	v_dot4c_i32_i8 v167, v235, v179
	v_dot4c_i32_i8 v204, v20, v180
	v_dot4c_i32_i8 v203, v101, v180
	v_dot4c_i32_i8 v202, v208, v180
	v_dot4c_i32_i8 v201, v230, v180
	v_dot4c_i32_i8 v174, v232, v180
	v_dot4c_i32_i8 v173, v233, v180
	v_dot4c_i32_i8 v170, v234, v180
	v_dot4c_i32_i8 v167, v235, v180
	v_dot4c_i32_i8 v204, v85, v181
	v_dot4c_i32_i8 v203, v105, v181
	v_dot4c_i32_i8 v202, v227, v181
	v_dot4c_i32_i8 v201, v0, v181
	v_dot4c_i32_i8 v174, v232, v181
	v_dot4c_i32_i8 v173, v233, v181
	v_dot4c_i32_i8 v170, v234, v181
	v_dot4c_i32_i8 v167, v235, v181
	v_dot4c_i32_i8 v204, v86, v182
	v_dot4c_i32_i8 v203, v123, v182
	v_dot4c_i32_i8 v202, v228, v182
	v_dot4c_i32_i8 v201, v231, v182
	v_dot4c_i32_i8 v174, v232, v182
	v_dot4c_i32_i8 v173, v233, v182
	v_dot4c_i32_i8 v170, v234, v182
	v_dot4c_i32_i8 v167, v235, v182
	v_mov_b32_e32 v182, 0
	v_mov_b32_e32 v181, 0
	;; [unrolled: 1-line block ×4, first 2 shown]
	v_dot4c_i32_i8 v182, v1, v222
	v_dot4c_i32_i8 v181, v88, v222
	;; [unrolled: 1-line block ×16, first 2 shown]
	ds_read_b128 v[222:225], v2 offset:7184
	v_add_nc_u32_e32 v2, 32, v2
	s_waitcnt lgkmcnt(0)
	v_dot4c_i32_i8 v183, v229, v222
	v_dot4c_i32_i8 v194, v1, v222
	v_and_b32_sdwa v1, v205, v158 dst_sel:DWORD dst_unused:UNUSED_PAD src0_sel:BYTE_1 src1_sel:DWORD
	v_dot4c_i32_i8 v188, v124, v222
	v_dot4c_i32_i8 v191, v88, v222
	;; [unrolled: 1-line block ×8, first 2 shown]
	v_and_b32_e32 v0, 15, v205
	v_dot4c_i32_i8 v10, v235, v222
	v_and_b32_e32 v208, 0xffff, v1
	v_dot4c_i32_i8 v194, v20, v223
	v_dot4c_i32_i8 v191, v101, v223
	v_and_b32_e32 v205, 0xffff, v0
	v_and_b32_e32 v0, 15, v206
	v_dot4c_i32_i8 v78, v232, v223
	v_dot4c_i32_i8 v17, v233, v223
	;; [unrolled: 1-line block ×3, first 2 shown]
	v_mul_lo_u32 v209, v209, v205
	v_dot4c_i32_i8 v10, v235, v223
	v_and_b32_sdwa v1, v206, v158 dst_sel:DWORD dst_unused:UNUSED_PAD src0_sel:BYTE_1 src1_sel:DWORD
	v_and_b32_e32 v206, 0xffff, v0
	v_dot4c_i32_i8 v194, v85, v224
	v_dot4c_i32_i8 v191, v105, v224
	;; [unrolled: 1-line block ×4, first 2 shown]
	v_mad_u64_u32 v[222:223], null, v239, v208, v[209:210]
	v_mul_lo_u32 v209, v226, v208
	v_dot4c_i32_i8 v17, v233, v224
	v_dot4c_i32_i8 v15, v234, v224
	;; [unrolled: 1-line block ×7, first 2 shown]
	v_mad_u64_u32 v[223:224], null, v207, v205, v[209:210]
	v_mul_lo_u32 v207, v221, v206
	v_and_b32_e32 v209, 0xffff, v1
	v_dot4c_i32_i8 v78, v232, v225
	v_dot4c_i32_i8 v17, v233, v225
	;; [unrolled: 1-line block ×4, first 2 shown]
	v_and_b32_e32 v0, 15, v199
	v_and_b32_sdwa v1, v199, v158 dst_sel:DWORD dst_unused:UNUSED_PAD src0_sel:BYTE_1 src1_sel:DWORD
	v_mad_u64_u32 v[225:226], null, v240, v209, v[207:208]
	v_mul_lo_u32 v207, v236, v209
	v_cvt_f32_i32_e32 v224, v222
	v_cvt_f32_i32_e32 v223, v223
	;; [unrolled: 1-line block ×4, first 2 shown]
	v_mad_u64_u32 v[226:227], null, v210, v206, v[207:208]
	v_and_b32_e32 v207, 0xffff, v0
	v_and_b32_e32 v210, 0xffff, v1
	v_and_b32_sdwa v0, v196, v158 dst_sel:DWORD dst_unused:UNUSED_PAD src0_sel:BYTE_1 src1_sel:DWORD
	v_and_b32_e32 v1, 15, v196
	v_mul_lo_u32 v199, v220, v207
	v_and_b32_e32 v196, 0xffff, v1
	v_mad_u64_u32 v[220:221], null, v241, v210, v[199:200]
	v_mul_lo_u32 v199, v237, v210
	v_cvt_f32_i32_e32 v221, v226
	v_cvt_f32_i32_e32 v220, v220
	v_mad_u64_u32 v[227:228], null, v212, v207, v[199:200]
	v_and_b32_e32 v199, 0xffff, v0
	v_add3_u32 v0, s1, v149, v150
	v_mul_lo_u32 v212, v238, v199
	ds_read_b32 v225, v0
	v_cvt_f32_i32_e32 v0, v218
	v_mad_u64_u32 v[211:212], null, v211, v196, v[212:213]
	v_mul_lo_u32 v212, v219, v196
	v_cvt_f32_i32_e32 v219, v227
	v_cvt_f32_i32_e32 v211, v211
	v_mad_u64_u32 v[228:229], null, v242, v199, v[212:213]
	s_waitcnt lgkmcnt(0)
	v_cvt_f32_f16_sdwa v218, v225 dst_sel:DWORD dst_unused:UNUSED_PAD src0_sel:WORD_1
	v_mul_f32_e32 v0, v218, v0
	v_cvt_f32_i32_e32 v212, v228
	v_mul_f32_e32 v14, v218, v14
	v_mul_f32_e32 v84, v218, v84
	;; [unrolled: 1-line block ×3, first 2 shown]
	v_fma_mix_f32 v224, v225, v224, -v0 op_sel_hi:[1,0,0]
	v_cvt_f32_i32_e32 v0, v216
	v_mul_f32_e32 v0, v218, v0
	v_fma_mix_f32 v223, v225, v223, -v0 op_sel_hi:[1,0,0]
	v_add3_u32 v0, s1, v151, v152
	ds_read_b32 v216, v0
	v_cvt_f32_i32_e32 v0, v217
	s_waitcnt lgkmcnt(0)
	v_cvt_f32_f16_sdwa v217, v216 dst_sel:DWORD dst_unused:UNUSED_PAD src0_sel:WORD_1
	v_mul_f32_e32 v0, v217, v0
	v_mul_f32_e32 v13, v217, v13
	;; [unrolled: 1-line block ×3, first 2 shown]
	v_fma_mix_f32 v222, v216, v222, -v0 op_sel_hi:[1,0,0]
	v_cvt_f32_i32_e32 v0, v214
	v_mul_f32_e32 v0, v217, v0
	v_fma_mix_f32 v221, v216, v221, -v0 op_sel_hi:[1,0,0]
	v_add3_u32 v0, s1, v153, v154
	ds_read_b32 v214, v0
	v_cvt_f32_i32_e32 v0, v215
	s_waitcnt lgkmcnt(0)
	v_cvt_f32_f16_sdwa v215, v214 dst_sel:DWORD dst_unused:UNUSED_PAD src0_sel:WORD_1
	v_mul_f32_e32 v0, v215, v0
	v_mul_f32_e32 v12, v215, v12
	;; [unrolled: 1-line block ×3, first 2 shown]
	v_fma_mix_f32 v220, v214, v220, -v0 op_sel_hi:[1,0,0]
	v_cvt_f32_i32_e32 v0, v213
	v_mul_f32_e32 v0, v215, v0
	v_fma_mix_f32 v219, v214, v219, -v0 op_sel_hi:[1,0,0]
	v_add3_u32 v0, s1, v155, v156
	s_add_i32 s1, s0, 2
	s_cmp_lt_u32 s0, 30
	s_mov_b32 s0, s1
	ds_read_b32 v213, v0
	v_cvt_f32_i32_e32 v0, v69
	s_waitcnt lgkmcnt(0)
	v_cvt_f32_f16_sdwa v1, v213 dst_sel:DWORD dst_unused:UNUSED_PAD src0_sel:WORD_1
	v_mul_f32_e32 v0, v1, v0
	v_mul_f32_e32 v8, v1, v8
	;; [unrolled: 1-line block ×4, first 2 shown]
	v_fma_mix_f32 v0, v213, v212, -v0 op_sel_hi:[1,0,0]
	v_fma_mix_f32 v8, v213, v211, -v8 op_sel_hi:[1,0,0]
	ds_read2_b32 v[211:212], v3 offset1:32
	s_waitcnt lgkmcnt(0)
	v_fma_f32 v68, v211, v8, v68
	v_mul_lo_u32 v8, v168, v205
	v_fma_f32 v19, v211, v223, v19
	v_fmac_f32_e32 v18, v212, v224
	v_fma_f32 v64, v211, v221, v64
	v_fmac_f32_e32 v63, v212, v222
	;; [unrolled: 2-line block ×3, first 2 shown]
	v_fmac_f32_e32 v67, v212, v0
	v_mad_u64_u32 v[211:212], null, v200, v208, v[8:9]
	v_mul_lo_u32 v8, v187, v208
	v_mad_u64_u32 v[219:220], null, v73, v205, v[8:9]
	v_mul_lo_u32 v8, v171, v206
	v_cvt_f32_i32_e32 v0, v219
	v_mad_u64_u32 v[220:221], null, v198, v209, v[8:9]
	v_mul_lo_u32 v8, v186, v209
	v_fma_mix_f32 v0, v225, v0, -v14 op_sel_hi:[1,0,0]
	v_cvt_f32_i32_e32 v14, v83
	v_cvt_f32_i32_e32 v69, v220
	v_mul_f32_e32 v14, v217, v14
	v_mad_u64_u32 v[186:187], null, v75, v206, v[8:9]
	v_mul_lo_u32 v8, v172, v207
	v_fma_mix_f32 v14, v216, v69, -v14 op_sel_hi:[1,0,0]
	v_cvt_f32_i32_e32 v20, v186
	v_mad_u64_u32 v[171:172], null, v197, v210, v[8:9]
	v_mul_lo_u32 v8, v184, v210
	v_fma_mix_f32 v13, v216, v20, -v13 op_sel_hi:[1,0,0]
	v_cvt_f32_i32_e32 v20, v82
	v_mul_f32_e32 v20, v215, v20
	v_mad_u64_u32 v[75:76], null, v76, v207, v[8:9]
	v_mul_lo_u32 v8, v185, v199
	v_cvt_f32_i32_e32 v73, v75
	v_cvt_f32_i32_e32 v75, v171
	v_mad_u64_u32 v[184:185], null, v79, v196, v[8:9]
	v_mul_lo_u32 v8, v169, v196
	v_fma_mix_f32 v69, v214, v73, -v12 op_sel_hi:[1,0,0]
	v_cvt_f32_i32_e32 v12, v81
	v_fma_mix_f32 v20, v214, v75, -v20 op_sel_hi:[1,0,0]
	v_cvt_f32_i32_e32 v76, v184
	v_mul_f32_e32 v12, v1, v12
	v_mad_u64_u32 v[168:169], null, v195, v199, v[8:9]
	v_cvt_f32_i32_e32 v8, v211
	v_fma_mix_f32 v75, v213, v76, -v11 op_sel_hi:[1,0,0]
	v_fma_mix_f32 v8, v225, v8, -v84 op_sel_hi:[1,0,0]
	v_cvt_f32_i32_e32 v79, v168
	v_fma_mix_f32 v73, v213, v79, -v12 op_sel_hi:[1,0,0]
	ds_read2_b32 v[11:12], v3 offset0:64 offset1:96
	s_waitcnt lgkmcnt(0)
	v_fmac_f32_e32 v59, v12, v8
	v_mul_lo_u32 v8, v175, v205
	v_fma_f32 v60, v11, v0, v60
	v_fma_f32 v62, v11, v13, v62
	v_fmac_f32_e32 v61, v12, v14
	v_fma_f32 v56, v11, v69, v56
	v_fmac_f32_e32 v55, v12, v20
	;; [unrolled: 2-line block ×3, first 2 shown]
	v_mad_u64_u32 v[11:12], null, v204, v208, v[8:9]
	v_mul_lo_u32 v8, v193, v208
	v_cvt_f32_i32_e32 v73, v174
	v_mul_f32_e32 v73, v218, v73
	v_mad_u64_u32 v[12:13], null, v160, v205, v[8:9]
	v_mul_lo_u32 v8, v177, v206
	v_cvt_f32_i32_e32 v0, v12
	v_mad_u64_u32 v[13:14], null, v203, v209, v[8:9]
	v_mul_lo_u32 v8, v192, v209
	v_cvt_f32_i32_e32 v12, v13
	v_mad_u64_u32 v[75:76], null, v161, v206, v[8:9]
	v_mul_lo_u32 v8, v178, v207
	v_mad_u64_u32 v[81:82], null, v202, v210, v[8:9]
	v_mul_lo_u32 v8, v189, v210
	v_cvt_f32_i32_e32 v14, v81
	v_mad_u64_u32 v[82:83], null, v162, v207, v[8:9]
	v_mul_lo_u32 v8, v190, v199
	v_cvt_f32_i32_e32 v13, v82
	v_mad_u64_u32 v[83:84], null, v163, v196, v[8:9]
	v_mul_lo_u32 v8, v176, v196
	v_cvt_f32_i32_e32 v20, v83
	v_mad_u64_u32 v[160:161], null, v201, v199, v[8:9]
	v_cvt_f32_i32_e32 v8, v11
	v_cvt_f32_i32_e32 v11, v75
	v_fma_mix_f32 v8, v225, v8, -v73 op_sel_hi:[1,0,0]
	v_cvt_f32_i32_e32 v73, v80
	v_cvt_f32_i32_e32 v69, v160
	v_mul_f32_e32 v73, v218, v73
	v_fma_mix_f32 v0, v225, v0, -v73 op_sel_hi:[1,0,0]
	v_cvt_f32_i32_e32 v73, v173
	v_mul_f32_e32 v73, v217, v73
	v_fma_mix_f32 v73, v216, v12, -v73 op_sel_hi:[1,0,0]
	;; [unrolled: 3-line block ×6, first 2 shown]
	v_cvt_f32_i32_e32 v11, v72
	v_mul_f32_e32 v11, v1, v11
	v_mul_f32_e32 v1, v1, v4
	v_fma_mix_f32 v20, v213, v20, -v11 op_sel_hi:[1,0,0]
	ds_read2_b32 v[11:12], v3 offset0:128 offset1:160
	s_waitcnt lgkmcnt(0)
	v_fmac_f32_e32 v49, v12, v8
	v_mul_lo_u32 v8, v166, v205
	v_fma_f32 v50, v11, v0, v50
	v_fma_f32 v52, v11, v75, v52
	v_fmac_f32_e32 v51, v12, v73
	v_fma_f32 v54, v11, v13, v54
	v_fmac_f32_e32 v53, v12, v14
	v_fma_f32 v48, v11, v20, v48
	v_fmac_f32_e32 v47, v12, v69
	v_mad_u64_u32 v[11:12], null, v194, v208, v[8:9]
	v_mul_lo_u32 v8, v182, v208
	v_mad_u64_u32 v[12:13], null, v71, v205, v[8:9]
	v_mul_lo_u32 v8, v165, v206
	v_cvt_f32_i32_e32 v0, v12
	v_cvt_f32_i32_e32 v12, v17
	v_mad_u64_u32 v[13:14], null, v191, v209, v[8:9]
	v_mul_lo_u32 v8, v181, v209
	v_fma_mix_f32 v0, v225, v0, -v7 op_sel_hi:[1,0,0]
	v_mul_f32_e32 v12, v217, v12
	v_mad_u64_u32 v[69:70], null, v70, v206, v[8:9]
	v_mul_lo_u32 v8, v164, v207
	v_cvt_f32_i32_e32 v7, v69
	v_mad_u64_u32 v[70:71], null, v188, v210, v[8:9]
	v_mul_lo_u32 v8, v180, v210
	v_fma_mix_f32 v6, v216, v7, -v6 op_sel_hi:[1,0,0]
	v_mad_u64_u32 v[71:72], null, v16, v207, v[8:9]
	v_mul_lo_u32 v8, v159, v196
	v_cvt_f32_i32_e32 v7, v71
	v_mad_u64_u32 v[72:73], null, v183, v199, v[8:9]
	v_mul_lo_u32 v8, v179, v199
	v_fma_mix_f32 v7, v214, v7, -v5 op_sel_hi:[1,0,0]
	v_mad_u64_u32 v[8:9], null, v9, v196, v[8:9]
	v_cvt_f32_i32_e32 v9, v11
	v_cvt_f32_i32_e32 v11, v78
	;; [unrolled: 1-line block ×3, first 2 shown]
	v_mul_f32_e32 v11, v218, v11
	v_cvt_f32_i32_e32 v8, v72
	v_fma_mix_f32 v1, v213, v5, -v1 op_sel_hi:[1,0,0]
	ds_read2_b32 v[4:5], v3 offset0:192 offset1:224
	v_fma_mix_f32 v9, v225, v9, -v11 op_sel_hi:[1,0,0]
	v_cvt_f32_i32_e32 v11, v13
	v_cvt_f32_i32_e32 v13, v15
	v_fma_mix_f32 v8, v213, v8, -v10 op_sel_hi:[1,0,0]
	v_add_nc_u32_e32 v3, 4, v3
	v_fma_mix_f32 v11, v216, v11, -v12 op_sel_hi:[1,0,0]
	v_cvt_f32_i32_e32 v12, v70
	v_mul_f32_e32 v13, v215, v13
	v_fma_mix_f32 v12, v214, v12, -v13 op_sel_hi:[1,0,0]
	s_waitcnt lgkmcnt(0)
	v_fma_f32 v40, v4, v0, v40
	v_fmac_f32_e32 v39, v5, v9
	v_fma_f32 v42, v4, v6, v42
	v_fmac_f32_e32 v41, v5, v11
	;; [unrolled: 2-line block ×4, first 2 shown]
	s_cbranch_scc1 .LBB148_14
; %bb.15:                               ;   in Loop: Header=BB148_6 Depth=1
	s_barrier
	buffer_gl0_inv
	s_branch .LBB148_5
.LBB148_16:
	v_cvt_f16_f32_e32 v2, v19
	v_cvt_f16_f32_e32 v3, v18
	;; [unrolled: 1-line block ×6, first 2 shown]
	v_pack_b32_f16 v20, v3, v2
	v_cvt_f16_f32_e32 v2, v65
	v_cvt_f16_f32_e32 v3, v68
	v_pack_b32_f16 v19, v5, v4
	v_cvt_f16_f32_e32 v4, v58
	v_cvt_f16_f32_e32 v5, v57
	v_pack_b32_f16 v18, v2, v6
	v_pack_b32_f16 v17, v7, v3
	v_cvt_f16_f32_e32 v6, v50
	v_cvt_f16_f32_e32 v7, v49
	v_pack_b32_f16 v13, v5, v4
	v_cvt_f16_f32_e32 v4, v40
	v_cvt_f16_f32_e32 v5, v39
	v_cvt_f16_f32_e32 v8, v60
	v_pack_b32_f16 v12, v7, v6
	v_cvt_f16_f32_e32 v6, v42
	v_cvt_f16_f32_e32 v7, v41
	v_pack_b32_f16 v5, v5, v4
	v_cvt_f16_f32_e32 v9, v59
	v_cvt_f16_f32_e32 v10, v62
	;; [unrolled: 1-line block ×3, first 2 shown]
	v_pack_b32_f16 v4, v7, v6
	s_clause 0x2
	buffer_load_dword v6, off, s[16:19], 0 offset:44
	buffer_load_dword v1, off, s[16:19], 0 offset:36
	;; [unrolled: 1-line block ×3, first 2 shown]
	v_pack_b32_f16 v16, v9, v8
	v_cvt_f16_f32_e32 v2, v56
	v_pack_b32_f16 v15, v11, v10
	v_cvt_f16_f32_e32 v3, v55
	v_cvt_f16_f32_e32 v8, v52
	;; [unrolled: 1-line block ×5, first 2 shown]
	v_pack_b32_f16 v14, v3, v2
	v_cvt_f16_f32_e32 v2, v48
	v_pack_b32_f16 v11, v9, v8
	v_cvt_f16_f32_e32 v3, v47
	v_pack_b32_f16 v10, v21, v10
	v_cvt_f16_f32_e32 v8, v44
	v_cvt_f16_f32_e32 v21, v43
	v_cvt_f16_f32_e32 v22, v46
	;; [unrolled: 1-line block ×3, first 2 shown]
	v_pack_b32_f16 v9, v3, v2
	v_pack_b32_f16 v3, v21, v8
	;; [unrolled: 1-line block ×3, first 2 shown]
.LBB148_17:
	s_mov_b32 s0, exec_lo
	s_waitcnt vmcnt(2)
	v_cmpx_gt_u32_e64 s10, v6
	s_cbranch_execz .LBB148_68
; %bb.18:
	s_waitcnt vmcnt(0)
	v_add_nc_u32_e32 v0, s6, v0
	v_mul_lo_u32 v21, v6, s14
	v_cmp_gt_u32_e32 vcc_lo, s14, v0
	s_and_saveexec_b32 s1, vcc_lo
	s_cbranch_execz .LBB148_20
; %bb.19:
	v_add_nc_u32_e32 v6, v0, v21
	v_mov_b32_e32 v7, 0
	v_lshlrev_b64 v[6:7], 1, v[6:7]
	s_waitcnt lgkmcnt(0)
	v_add_co_u32 v6, s0, s12, v6
	v_add_co_ci_u32_e64 v7, null, s13, v7, s0
	global_store_short_d16_hi v[6:7], v20, off
.LBB148_20:
	s_or_b32 exec_lo, exec_lo, s1
	v_add_nc_u32_e32 v6, 32, v0
	v_cmp_gt_u32_e64 s0, s14, v6
	s_and_saveexec_b32 s2, s0
	s_cbranch_execz .LBB148_22
; %bb.21:
	v_add_nc_u32_e32 v7, v6, v21
	v_mov_b32_e32 v8, 0
	v_lshlrev_b64 v[7:8], 1, v[7:8]
	s_waitcnt lgkmcnt(0)
	v_add_co_u32 v7, s1, s12, v7
	v_add_co_ci_u32_e64 v8, null, s13, v8, s1
	global_store_short_d16_hi v[7:8], v19, off
.LBB148_22:
	s_or_b32 exec_lo, exec_lo, s2
	v_add_nc_u32_e32 v7, 64, v0
	v_cmp_gt_u32_e64 s1, s14, v7
	s_and_saveexec_b32 s3, s1
	;; [unrolled: 14-line block ×3, first 2 shown]
	s_cbranch_execz .LBB148_26
; %bb.25:
	v_add_nc_u32_e32 v21, v8, v21
	v_mov_b32_e32 v22, 0
	v_lshlrev_b64 v[21:22], 1, v[21:22]
	s_waitcnt lgkmcnt(0)
	v_add_co_u32 v21, s3, s12, v21
	v_add_co_ci_u32_e64 v22, null, s13, v22, s3
	global_store_short_d16_hi v[21:22], v17, off
.LBB148_26:
	s_or_b32 exec_lo, exec_lo, s4
	v_add3_u32 v21, v1, s7, 8
	v_cmp_gt_u32_e64 s3, s10, v21
	s_and_b32 exec_lo, exec_lo, s3
	s_cbranch_execz .LBB148_68
; %bb.27:
	v_mul_lo_u32 v21, v21, s14
	s_and_saveexec_b32 s4, vcc_lo
	s_cbranch_execnz .LBB148_69
; %bb.28:
	s_or_b32 exec_lo, exec_lo, s4
	s_and_saveexec_b32 s4, s0
	s_cbranch_execnz .LBB148_70
.LBB148_29:
	s_or_b32 exec_lo, exec_lo, s4
	s_and_saveexec_b32 s4, s1
	s_cbranch_execnz .LBB148_71
.LBB148_30:
	s_or_b32 exec_lo, exec_lo, s4
	s_and_saveexec_b32 s4, s2
	s_cbranch_execz .LBB148_32
.LBB148_31:
	v_add_nc_u32_e32 v18, v21, v8
	v_mov_b32_e32 v19, 0
	v_lshlrev_b64 v[18:19], 1, v[18:19]
	s_waitcnt lgkmcnt(0)
	v_add_co_u32 v18, s3, s12, v18
	v_add_co_ci_u32_e64 v19, null, s13, v19, s3
	global_store_short v[18:19], v17, off
.LBB148_32:
	s_or_b32 exec_lo, exec_lo, s4
	v_add3_u32 v17, v1, s7, 16
	v_cmp_gt_u32_e64 s3, s10, v17
	s_and_b32 exec_lo, exec_lo, s3
	s_cbranch_execz .LBB148_68
; %bb.33:
	v_mul_lo_u32 v17, v17, s14
	s_and_saveexec_b32 s4, vcc_lo
	s_cbranch_execnz .LBB148_72
; %bb.34:
	s_or_b32 exec_lo, exec_lo, s4
	s_and_saveexec_b32 s4, s0
	s_cbranch_execnz .LBB148_73
.LBB148_35:
	s_or_b32 exec_lo, exec_lo, s4
	s_and_saveexec_b32 s4, s1
	s_cbranch_execnz .LBB148_74
.LBB148_36:
	s_or_b32 exec_lo, exec_lo, s4
	s_and_saveexec_b32 s4, s2
	s_cbranch_execz .LBB148_38
.LBB148_37:
	v_add_nc_u32_e32 v17, v17, v8
	v_mov_b32_e32 v18, 0
	v_lshlrev_b64 v[17:18], 1, v[17:18]
	s_waitcnt lgkmcnt(0)
	v_add_co_u32 v17, s3, s12, v17
	v_add_co_ci_u32_e64 v18, null, s13, v18, s3
	global_store_short_d16_hi v[17:18], v13, off
.LBB148_38:
	s_or_b32 exec_lo, exec_lo, s4
	v_add3_u32 v17, v1, s7, 24
	v_cmp_gt_u32_e64 s3, s10, v17
	s_and_b32 exec_lo, exec_lo, s3
	s_cbranch_execz .LBB148_68
; %bb.39:
	v_mul_lo_u32 v17, v17, s14
	s_and_saveexec_b32 s4, vcc_lo
	s_cbranch_execnz .LBB148_75
; %bb.40:
	s_or_b32 exec_lo, exec_lo, s4
	s_and_saveexec_b32 s4, s0
	s_cbranch_execnz .LBB148_76
.LBB148_41:
	s_or_b32 exec_lo, exec_lo, s4
	s_and_saveexec_b32 s4, s1
	s_cbranch_execnz .LBB148_77
.LBB148_42:
	s_or_b32 exec_lo, exec_lo, s4
	s_and_saveexec_b32 s4, s2
	s_cbranch_execz .LBB148_44
.LBB148_43:
	v_add_nc_u32_e32 v14, v17, v8
	v_mov_b32_e32 v15, 0
	v_lshlrev_b64 v[14:15], 1, v[14:15]
	s_waitcnt lgkmcnt(0)
	v_add_co_u32 v14, s3, s12, v14
	v_add_co_ci_u32_e64 v15, null, s13, v15, s3
	global_store_short v[14:15], v13, off
.LBB148_44:
	s_or_b32 exec_lo, exec_lo, s4
	v_add3_u32 v13, v1, s7, 32
	v_cmp_gt_u32_e64 s3, s10, v13
	s_and_b32 exec_lo, exec_lo, s3
	s_cbranch_execz .LBB148_68
; %bb.45:
	v_mul_lo_u32 v13, v13, s14
	s_and_saveexec_b32 s4, vcc_lo
	s_cbranch_execnz .LBB148_78
; %bb.46:
	s_or_b32 exec_lo, exec_lo, s4
	s_and_saveexec_b32 s4, s0
	s_cbranch_execnz .LBB148_79
.LBB148_47:
	s_or_b32 exec_lo, exec_lo, s4
	s_and_saveexec_b32 s4, s1
	s_cbranch_execnz .LBB148_80
.LBB148_48:
	s_or_b32 exec_lo, exec_lo, s4
	s_and_saveexec_b32 s4, s2
	s_cbranch_execz .LBB148_50
.LBB148_49:
	v_add_nc_u32_e32 v13, v13, v8
	v_mov_b32_e32 v14, 0
	v_lshlrev_b64 v[13:14], 1, v[13:14]
	s_waitcnt lgkmcnt(0)
	v_add_co_u32 v13, s3, s12, v13
	v_add_co_ci_u32_e64 v14, null, s13, v14, s3
	global_store_short_d16_hi v[13:14], v9, off
.LBB148_50:
	s_or_b32 exec_lo, exec_lo, s4
	v_add3_u32 v13, v1, s7, 40
	v_cmp_gt_u32_e64 s3, s10, v13
	s_and_b32 exec_lo, exec_lo, s3
	s_cbranch_execz .LBB148_68
; %bb.51:
	v_mul_lo_u32 v13, v13, s14
	s_and_saveexec_b32 s4, vcc_lo
	s_cbranch_execnz .LBB148_81
; %bb.52:
	s_or_b32 exec_lo, exec_lo, s4
	s_and_saveexec_b32 s4, s0
	s_cbranch_execnz .LBB148_82
.LBB148_53:
	s_or_b32 exec_lo, exec_lo, s4
	s_and_saveexec_b32 s4, s1
	s_cbranch_execnz .LBB148_83
.LBB148_54:
	s_or_b32 exec_lo, exec_lo, s4
	s_and_saveexec_b32 s4, s2
	s_cbranch_execz .LBB148_56
.LBB148_55:
	v_add_nc_u32_e32 v10, v13, v8
	v_mov_b32_e32 v11, 0
	v_lshlrev_b64 v[10:11], 1, v[10:11]
	s_waitcnt lgkmcnt(0)
	v_add_co_u32 v10, s3, s12, v10
	v_add_co_ci_u32_e64 v11, null, s13, v11, s3
	global_store_short v[10:11], v9, off
.LBB148_56:
	s_or_b32 exec_lo, exec_lo, s4
	v_add3_u32 v9, v1, s7, 48
	v_cmp_gt_u32_e64 s3, s10, v9
	s_and_b32 exec_lo, exec_lo, s3
	s_cbranch_execz .LBB148_68
; %bb.57:
	v_mul_lo_u32 v9, v9, s14
	s_and_saveexec_b32 s4, vcc_lo
	s_cbranch_execnz .LBB148_84
; %bb.58:
	s_or_b32 exec_lo, exec_lo, s4
	s_and_saveexec_b32 s4, s0
	s_cbranch_execnz .LBB148_85
.LBB148_59:
	s_or_b32 exec_lo, exec_lo, s4
	s_and_saveexec_b32 s4, s1
	s_cbranch_execnz .LBB148_86
.LBB148_60:
	s_or_b32 exec_lo, exec_lo, s4
	s_and_saveexec_b32 s4, s2
	s_cbranch_execz .LBB148_62
.LBB148_61:
	v_add_nc_u32_e32 v9, v9, v8
	v_mov_b32_e32 v10, 0
	v_lshlrev_b64 v[9:10], 1, v[9:10]
	s_waitcnt lgkmcnt(0)
	v_add_co_u32 v9, s3, s12, v9
	v_add_co_ci_u32_e64 v10, null, s13, v10, s3
	global_store_short_d16_hi v[9:10], v2, off
.LBB148_62:
	s_or_b32 exec_lo, exec_lo, s4
	v_add3_u32 v1, v1, s7, 56
	v_cmp_gt_u32_e64 s3, s10, v1
	s_and_b32 exec_lo, exec_lo, s3
	s_cbranch_execz .LBB148_68
; %bb.63:
	v_mul_lo_u32 v1, v1, s14
	s_and_saveexec_b32 s3, vcc_lo
	s_cbranch_execnz .LBB148_87
; %bb.64:
	s_or_b32 exec_lo, exec_lo, s3
	s_and_saveexec_b32 s3, s0
	s_cbranch_execnz .LBB148_88
.LBB148_65:
	s_or_b32 exec_lo, exec_lo, s3
	s_and_saveexec_b32 s0, s1
	s_cbranch_execnz .LBB148_89
.LBB148_66:
	s_or_b32 exec_lo, exec_lo, s0
	s_and_b32 exec_lo, exec_lo, s2
	s_cbranch_execz .LBB148_68
.LBB148_67:
	v_add_nc_u32_e32 v0, v1, v8
	v_mov_b32_e32 v1, 0
	v_lshlrev_b64 v[0:1], 1, v[0:1]
	s_waitcnt lgkmcnt(0)
	v_add_co_u32 v0, vcc_lo, s12, v0
	v_add_co_ci_u32_e64 v1, null, s13, v1, vcc_lo
	global_store_short v[0:1], v2, off
.LBB148_68:
	s_endpgm
.LBB148_69:
	v_add_nc_u32_e32 v22, v21, v0
	v_mov_b32_e32 v23, 0
	v_lshlrev_b64 v[22:23], 1, v[22:23]
	s_waitcnt lgkmcnt(0)
	v_add_co_u32 v22, s3, s12, v22
	v_add_co_ci_u32_e64 v23, null, s13, v23, s3
	global_store_short v[22:23], v20, off
	s_or_b32 exec_lo, exec_lo, s4
	s_and_saveexec_b32 s4, s0
	s_cbranch_execz .LBB148_29
.LBB148_70:
	v_add_nc_u32_e32 v22, v21, v6
	v_mov_b32_e32 v23, 0
	v_lshlrev_b64 v[22:23], 1, v[22:23]
	s_waitcnt lgkmcnt(0)
	v_add_co_u32 v22, s3, s12, v22
	v_add_co_ci_u32_e64 v23, null, s13, v23, s3
	global_store_short v[22:23], v19, off
	s_or_b32 exec_lo, exec_lo, s4
	s_and_saveexec_b32 s4, s1
	s_cbranch_execz .LBB148_30
.LBB148_71:
	v_add_nc_u32_e32 v19, v21, v7
	v_mov_b32_e32 v20, 0
	v_lshlrev_b64 v[19:20], 1, v[19:20]
	s_waitcnt lgkmcnt(0)
	v_add_co_u32 v19, s3, s12, v19
	v_add_co_ci_u32_e64 v20, null, s13, v20, s3
	global_store_short v[19:20], v18, off
	s_or_b32 exec_lo, exec_lo, s4
	s_and_saveexec_b32 s4, s2
	s_cbranch_execnz .LBB148_31
	s_branch .LBB148_32
.LBB148_72:
	v_add_nc_u32_e32 v18, v17, v0
	v_mov_b32_e32 v19, 0
	v_lshlrev_b64 v[18:19], 1, v[18:19]
	s_waitcnt lgkmcnt(0)
	v_add_co_u32 v18, s3, s12, v18
	v_add_co_ci_u32_e64 v19, null, s13, v19, s3
	global_store_short_d16_hi v[18:19], v16, off
	s_or_b32 exec_lo, exec_lo, s4
	s_and_saveexec_b32 s4, s0
	s_cbranch_execz .LBB148_35
.LBB148_73:
	v_add_nc_u32_e32 v18, v17, v6
	v_mov_b32_e32 v19, 0
	v_lshlrev_b64 v[18:19], 1, v[18:19]
	s_waitcnt lgkmcnt(0)
	v_add_co_u32 v18, s3, s12, v18
	v_add_co_ci_u32_e64 v19, null, s13, v19, s3
	global_store_short_d16_hi v[18:19], v15, off
	s_or_b32 exec_lo, exec_lo, s4
	s_and_saveexec_b32 s4, s1
	s_cbranch_execz .LBB148_36
.LBB148_74:
	v_add_nc_u32_e32 v18, v17, v7
	v_mov_b32_e32 v19, 0
	v_lshlrev_b64 v[18:19], 1, v[18:19]
	s_waitcnt lgkmcnt(0)
	v_add_co_u32 v18, s3, s12, v18
	v_add_co_ci_u32_e64 v19, null, s13, v19, s3
	global_store_short_d16_hi v[18:19], v14, off
	s_or_b32 exec_lo, exec_lo, s4
	s_and_saveexec_b32 s4, s2
	s_cbranch_execnz .LBB148_37
	s_branch .LBB148_38
.LBB148_75:
	v_add_nc_u32_e32 v18, v17, v0
	v_mov_b32_e32 v19, 0
	v_lshlrev_b64 v[18:19], 1, v[18:19]
	s_waitcnt lgkmcnt(0)
	v_add_co_u32 v18, s3, s12, v18
	v_add_co_ci_u32_e64 v19, null, s13, v19, s3
	global_store_short v[18:19], v16, off
	s_or_b32 exec_lo, exec_lo, s4
	s_and_saveexec_b32 s4, s0
	s_cbranch_execz .LBB148_41
.LBB148_76:
	v_add_nc_u32_e32 v18, v17, v6
	v_mov_b32_e32 v19, 0
	v_lshlrev_b64 v[18:19], 1, v[18:19]
	s_waitcnt lgkmcnt(0)
	v_add_co_u32 v18, s3, s12, v18
	v_add_co_ci_u32_e64 v19, null, s13, v19, s3
	global_store_short v[18:19], v15, off
	s_or_b32 exec_lo, exec_lo, s4
	s_and_saveexec_b32 s4, s1
	s_cbranch_execz .LBB148_42
.LBB148_77:
	v_add_nc_u32_e32 v15, v17, v7
	v_mov_b32_e32 v16, 0
	v_lshlrev_b64 v[15:16], 1, v[15:16]
	s_waitcnt lgkmcnt(0)
	v_add_co_u32 v15, s3, s12, v15
	v_add_co_ci_u32_e64 v16, null, s13, v16, s3
	global_store_short v[15:16], v14, off
	s_or_b32 exec_lo, exec_lo, s4
	s_and_saveexec_b32 s4, s2
	s_cbranch_execnz .LBB148_43
	s_branch .LBB148_44
.LBB148_78:
	v_add_nc_u32_e32 v14, v13, v0
	v_mov_b32_e32 v15, 0
	v_lshlrev_b64 v[14:15], 1, v[14:15]
	s_waitcnt lgkmcnt(0)
	v_add_co_u32 v14, s3, s12, v14
	v_add_co_ci_u32_e64 v15, null, s13, v15, s3
	global_store_short_d16_hi v[14:15], v12, off
	s_or_b32 exec_lo, exec_lo, s4
	s_and_saveexec_b32 s4, s0
	s_cbranch_execz .LBB148_47
.LBB148_79:
	v_add_nc_u32_e32 v14, v13, v6
	v_mov_b32_e32 v15, 0
	v_lshlrev_b64 v[14:15], 1, v[14:15]
	s_waitcnt lgkmcnt(0)
	v_add_co_u32 v14, s3, s12, v14
	v_add_co_ci_u32_e64 v15, null, s13, v15, s3
	global_store_short_d16_hi v[14:15], v11, off
	s_or_b32 exec_lo, exec_lo, s4
	s_and_saveexec_b32 s4, s1
	s_cbranch_execz .LBB148_48
.LBB148_80:
	v_add_nc_u32_e32 v14, v13, v7
	v_mov_b32_e32 v15, 0
	v_lshlrev_b64 v[14:15], 1, v[14:15]
	s_waitcnt lgkmcnt(0)
	v_add_co_u32 v14, s3, s12, v14
	v_add_co_ci_u32_e64 v15, null, s13, v15, s3
	global_store_short_d16_hi v[14:15], v10, off
	s_or_b32 exec_lo, exec_lo, s4
	s_and_saveexec_b32 s4, s2
	s_cbranch_execnz .LBB148_49
	s_branch .LBB148_50
.LBB148_81:
	v_add_nc_u32_e32 v14, v13, v0
	v_mov_b32_e32 v15, 0
	v_lshlrev_b64 v[14:15], 1, v[14:15]
	s_waitcnt lgkmcnt(0)
	v_add_co_u32 v14, s3, s12, v14
	v_add_co_ci_u32_e64 v15, null, s13, v15, s3
	global_store_short v[14:15], v12, off
	s_or_b32 exec_lo, exec_lo, s4
	s_and_saveexec_b32 s4, s0
	s_cbranch_execz .LBB148_53
.LBB148_82:
	v_add_nc_u32_e32 v14, v13, v6
	v_mov_b32_e32 v15, 0
	v_lshlrev_b64 v[14:15], 1, v[14:15]
	s_waitcnt lgkmcnt(0)
	v_add_co_u32 v14, s3, s12, v14
	v_add_co_ci_u32_e64 v15, null, s13, v15, s3
	global_store_short v[14:15], v11, off
	s_or_b32 exec_lo, exec_lo, s4
	s_and_saveexec_b32 s4, s1
	s_cbranch_execz .LBB148_54
.LBB148_83:
	v_add_nc_u32_e32 v11, v13, v7
	v_mov_b32_e32 v12, 0
	v_lshlrev_b64 v[11:12], 1, v[11:12]
	s_waitcnt lgkmcnt(0)
	v_add_co_u32 v11, s3, s12, v11
	v_add_co_ci_u32_e64 v12, null, s13, v12, s3
	global_store_short v[11:12], v10, off
	s_or_b32 exec_lo, exec_lo, s4
	s_and_saveexec_b32 s4, s2
	s_cbranch_execnz .LBB148_55
	s_branch .LBB148_56
.LBB148_84:
	v_add_nc_u32_e32 v10, v9, v0
	v_mov_b32_e32 v11, 0
	v_lshlrev_b64 v[10:11], 1, v[10:11]
	s_waitcnt lgkmcnt(0)
	v_add_co_u32 v10, s3, s12, v10
	v_add_co_ci_u32_e64 v11, null, s13, v11, s3
	global_store_short_d16_hi v[10:11], v5, off
	s_or_b32 exec_lo, exec_lo, s4
	s_and_saveexec_b32 s4, s0
	s_cbranch_execz .LBB148_59
.LBB148_85:
	v_add_nc_u32_e32 v10, v9, v6
	v_mov_b32_e32 v11, 0
	v_lshlrev_b64 v[10:11], 1, v[10:11]
	s_waitcnt lgkmcnt(0)
	v_add_co_u32 v10, s3, s12, v10
	v_add_co_ci_u32_e64 v11, null, s13, v11, s3
	global_store_short_d16_hi v[10:11], v4, off
	s_or_b32 exec_lo, exec_lo, s4
	s_and_saveexec_b32 s4, s1
	s_cbranch_execz .LBB148_60
.LBB148_86:
	v_add_nc_u32_e32 v10, v9, v7
	v_mov_b32_e32 v11, 0
	v_lshlrev_b64 v[10:11], 1, v[10:11]
	s_waitcnt lgkmcnt(0)
	v_add_co_u32 v10, s3, s12, v10
	v_add_co_ci_u32_e64 v11, null, s13, v11, s3
	global_store_short_d16_hi v[10:11], v3, off
	s_or_b32 exec_lo, exec_lo, s4
	s_and_saveexec_b32 s4, s2
	s_cbranch_execnz .LBB148_61
	s_branch .LBB148_62
.LBB148_87:
	v_add_nc_u32_e32 v9, v1, v0
	v_mov_b32_e32 v10, 0
	v_lshlrev_b64 v[9:10], 1, v[9:10]
	s_waitcnt lgkmcnt(0)
	v_add_co_u32 v9, vcc_lo, s12, v9
	v_add_co_ci_u32_e64 v10, null, s13, v10, vcc_lo
	global_store_short v[9:10], v5, off
	s_or_b32 exec_lo, exec_lo, s3
	s_and_saveexec_b32 s3, s0
	s_cbranch_execz .LBB148_65
.LBB148_88:
	v_add_nc_u32_e32 v5, v1, v6
	v_mov_b32_e32 v6, 0
	v_lshlrev_b64 v[5:6], 1, v[5:6]
	s_waitcnt lgkmcnt(0)
	v_add_co_u32 v5, vcc_lo, s12, v5
	v_add_co_ci_u32_e64 v6, null, s13, v6, vcc_lo
	global_store_short v[5:6], v4, off
	s_or_b32 exec_lo, exec_lo, s3
	s_and_saveexec_b32 s0, s1
	s_cbranch_execz .LBB148_66
.LBB148_89:
	v_add_nc_u32_e32 v4, v1, v7
	v_mov_b32_e32 v5, 0
	v_lshlrev_b64 v[4:5], 1, v[4:5]
	s_waitcnt lgkmcnt(0)
	v_add_co_u32 v4, vcc_lo, s12, v4
	v_add_co_ci_u32_e64 v5, null, s13, v5, vcc_lo
	global_store_short v[4:5], v3, off
	s_or_b32 exec_lo, exec_lo, s0
	s_and_b32 exec_lo, exec_lo, s2
	s_cbranch_execnz .LBB148_67
	s_branch .LBB148_68
	.section	.rodata,"a",@progbits
	.p2align	6, 0x0
	.amdhsa_kernel _ZL12mul_mat_q2_KIN3c104HalfELb1EEvPKvS3_PT_iiiii
		.amdhsa_group_segment_fixed_size 31392
		.amdhsa_private_segment_fixed_size 52
		.amdhsa_kernarg_size 44
		.amdhsa_user_sgpr_count 6
		.amdhsa_user_sgpr_private_segment_buffer 1
		.amdhsa_user_sgpr_dispatch_ptr 0
		.amdhsa_user_sgpr_queue_ptr 0
		.amdhsa_user_sgpr_kernarg_segment_ptr 1
		.amdhsa_user_sgpr_dispatch_id 0
		.amdhsa_user_sgpr_flat_scratch_init 0
		.amdhsa_user_sgpr_private_segment_size 0
		.amdhsa_wavefront_size32 1
		.amdhsa_uses_dynamic_stack 0
		.amdhsa_system_sgpr_private_segment_wavefront_offset 1
		.amdhsa_system_sgpr_workgroup_id_x 1
		.amdhsa_system_sgpr_workgroup_id_y 1
		.amdhsa_system_sgpr_workgroup_id_z 0
		.amdhsa_system_sgpr_workgroup_info 0
		.amdhsa_system_vgpr_workitem_id 1
		.amdhsa_next_free_vgpr 256
		.amdhsa_next_free_sgpr 20
		.amdhsa_reserve_vcc 1
		.amdhsa_reserve_flat_scratch 0
		.amdhsa_float_round_mode_32 0
		.amdhsa_float_round_mode_16_64 0
		.amdhsa_float_denorm_mode_32 3
		.amdhsa_float_denorm_mode_16_64 3
		.amdhsa_dx10_clamp 1
		.amdhsa_ieee_mode 1
		.amdhsa_fp16_overflow 0
		.amdhsa_workgroup_processor_mode 1
		.amdhsa_memory_ordered 1
		.amdhsa_forward_progress 1
		.amdhsa_shared_vgpr_count 0
		.amdhsa_exception_fp_ieee_invalid_op 0
		.amdhsa_exception_fp_denorm_src 0
		.amdhsa_exception_fp_ieee_div_zero 0
		.amdhsa_exception_fp_ieee_overflow 0
		.amdhsa_exception_fp_ieee_underflow 0
		.amdhsa_exception_fp_ieee_inexact 0
		.amdhsa_exception_int_div_zero 0
	.end_amdhsa_kernel
	.section	.text._ZL12mul_mat_q2_KIN3c104HalfELb1EEvPKvS3_PT_iiiii,"axG",@progbits,_ZL12mul_mat_q2_KIN3c104HalfELb1EEvPKvS3_PT_iiiii,comdat
.Lfunc_end148:
	.size	_ZL12mul_mat_q2_KIN3c104HalfELb1EEvPKvS3_PT_iiiii, .Lfunc_end148-_ZL12mul_mat_q2_KIN3c104HalfELb1EEvPKvS3_PT_iiiii
                                        ; -- End function
	.set _ZL12mul_mat_q2_KIN3c104HalfELb1EEvPKvS3_PT_iiiii.num_vgpr, 256
	.set _ZL12mul_mat_q2_KIN3c104HalfELb1EEvPKvS3_PT_iiiii.num_agpr, 0
	.set _ZL12mul_mat_q2_KIN3c104HalfELb1EEvPKvS3_PT_iiiii.numbered_sgpr, 20
	.set _ZL12mul_mat_q2_KIN3c104HalfELb1EEvPKvS3_PT_iiiii.num_named_barrier, 0
	.set _ZL12mul_mat_q2_KIN3c104HalfELb1EEvPKvS3_PT_iiiii.private_seg_size, 52
	.set _ZL12mul_mat_q2_KIN3c104HalfELb1EEvPKvS3_PT_iiiii.uses_vcc, 1
	.set _ZL12mul_mat_q2_KIN3c104HalfELb1EEvPKvS3_PT_iiiii.uses_flat_scratch, 0
	.set _ZL12mul_mat_q2_KIN3c104HalfELb1EEvPKvS3_PT_iiiii.has_dyn_sized_stack, 0
	.set _ZL12mul_mat_q2_KIN3c104HalfELb1EEvPKvS3_PT_iiiii.has_recursion, 0
	.set _ZL12mul_mat_q2_KIN3c104HalfELb1EEvPKvS3_PT_iiiii.has_indirect_call, 0
	.section	.AMDGPU.csdata,"",@progbits
; Kernel info:
; codeLenInByte = 27656
; TotalNumSgprs: 22
; NumVgprs: 256
; ScratchSize: 52
; MemoryBound: 0
; FloatMode: 240
; IeeeMode: 1
; LDSByteSize: 31392 bytes/workgroup (compile time only)
; SGPRBlocks: 0
; VGPRBlocks: 31
; NumSGPRsForWavesPerEU: 22
; NumVGPRsForWavesPerEU: 256
; Occupancy: 4
; WaveLimiterHint : 0
; COMPUTE_PGM_RSRC2:SCRATCH_EN: 1
; COMPUTE_PGM_RSRC2:USER_SGPR: 6
; COMPUTE_PGM_RSRC2:TRAP_HANDLER: 0
; COMPUTE_PGM_RSRC2:TGID_X_EN: 1
; COMPUTE_PGM_RSRC2:TGID_Y_EN: 1
; COMPUTE_PGM_RSRC2:TGID_Z_EN: 0
; COMPUTE_PGM_RSRC2:TIDIG_COMP_CNT: 1
	.section	.text._ZL12mul_mat_q3_KIN3c104HalfELb0EEvPKvS3_PT_iiiii,"axG",@progbits,_ZL12mul_mat_q3_KIN3c104HalfELb0EEvPKvS3_PT_iiiii,comdat
	.globl	_ZL12mul_mat_q3_KIN3c104HalfELb0EEvPKvS3_PT_iiiii ; -- Begin function _ZL12mul_mat_q3_KIN3c104HalfELb0EEvPKvS3_PT_iiiii
	.p2align	8
	.type	_ZL12mul_mat_q3_KIN3c104HalfELb0EEvPKvS3_PT_iiiii,@function
_ZL12mul_mat_q3_KIN3c104HalfELb0EEvPKvS3_PT_iiiii: ; @_ZL12mul_mat_q3_KIN3c104HalfELb0EEvPKvS3_PT_iiiii
; %bb.0:
	s_clause 0x1
	s_load_dword s14, s[4:5], 0x18
	s_load_dwordx4 s[8:11], s[4:5], 0x20
	s_lshl_b32 s7, s7, 6
	v_add_nc_u32_e32 v49, s7, v1
	s_waitcnt lgkmcnt(0)
	s_cmpk_gt_i32 s14, 0xff
	s_cbranch_scc1 .LBB149_2
; %bb.1:
	v_add_nc_u32_e32 v6, s7, v1
	s_mov_b32 s0, 0
	s_branch .LBB149_3
.LBB149_2:
	s_mov_b32 s0, -1
                                        ; implicit-def: $vgpr6
.LBB149_3:
	s_load_dwordx2 s[12:13], s[4:5], 0x10
	v_mov_b32_e32 v2, 0
	v_mov_b32_e32 v9, 0
	;; [unrolled: 1-line block ×16, first 2 shown]
	s_lshl_b32 s6, s6, 7
	s_andn2_b32 vcc_lo, exec_lo, s0
	s_mov_b32 s11, 0
	s_cbranch_vccnz .LBB149_17
; %bb.4:
	s_load_dwordx4 s[0:3], s[4:5], 0x0
	s_ashr_i32 s4, s14, 31
	s_ashr_i32 s5, s9, 31
	s_lshr_b32 s4, s4, 24
	s_lshr_b32 s5, s5, 27
	s_add_i32 s14, s14, s4
	s_add_i32 s5, s9, s5
	s_ashr_i32 s4, s14, 8
	s_ashr_i32 s14, s5, 5
	s_mul_i32 s9, s4, s6
	v_lshrrev_b32_e32 v50, 4, v0
	s_mul_i32 s5, s9, 0x6e
	s_mul_hi_i32 s9, s9, 0x6e
	v_lshlrev_b32_e32 v23, 4, v1
	v_lshrrev_b32_e32 v52, 1, v0
	v_lshlrev_b32_e32 v3, 1, v1
	v_and_b32_e32 v2, 15, v0
	v_and_b32_e32 v51, 1, v0
	v_mov_b32_e32 v24, 2
	v_add_nc_u32_e32 v5, v52, v23
	s_waitcnt lgkmcnt(0)
	s_add_u32 s5, s0, s5
	s_addc_u32 s9, s1, s9
	s_lshl_b32 s0, s4, 3
	v_add_nc_u32_e32 v7, v50, v3
	v_mad_i32_i24 v53, s4, v1, s0
	v_lshlrev_b32_e32 v54, 2, v2
	v_lshlrev_b32_e32 v6, 2, v51
	v_cmp_lt_u32_e32 vcc_lo, 7, v2
	v_add_nc_u16 v2, v50, v3
	v_add_nc_u32_e32 v55, s0, v53
	v_and_b32_e32 v3, 0x7f, v5
	v_lshrrev_b32_e32 v5, 2, v5
	v_add_nc_u32_e32 v8, 16, v7
	v_add_nc_u32_e32 v11, 32, v7
	;; [unrolled: 1-line block ×4, first 2 shown]
	v_lshrrev_b16 v2, 1, v2
	v_add_nc_u32_e32 v13, 64, v7
	v_mul_i32_i24_e32 v84, s4, v3
	v_add_nc_u32_e32 v61, s0, v57
	v_lshl_or_b32 v3, v3, 3, v6
	v_and_b32_e32 v5, 28, v5
	v_lshlrev_b32_e32 v6, 1, v8
	v_lshlrev_b32_e32 v26, 6, v8
	v_add_nc_u32_e32 v66, s0, v61
	v_lshlrev_b32_e32 v8, 1, v11
	v_lshlrev_b32_e32 v27, 6, v11
	v_lshlrev_b32_e32 v11, 1, v12
	v_lshlrev_b32_sdwa v2, v24, v2 dst_sel:DWORD dst_unused:UNUSED_PAD src0_sel:DWORD src1_sel:WORD_0
	v_add_nc_u32_e32 v71, s0, v66
	v_lshlrev_b32_e32 v14, 1, v13
	v_add3_u32 v87, v3, v5, 0x9380
	v_and_b32_e32 v3, 0xffc, v8
	v_and_b32_e32 v5, 0xffc, v11
	v_add_nc_u32_e32 v76, s0, v71
	v_add3_u32 v28, v2, v54, 0x4200
	v_and_b32_e32 v2, 0xffc, v6
	v_add3_u32 v30, v3, v54, 0x4200
	v_add3_u32 v31, v5, v54, 0x4200
	v_add_nc_u32_e32 v80, s0, v76
	v_and_b32_e32 v3, 0xffc, v14
	v_add_nc_u32_e32 v5, 0x60, v7
	s_lshl_b32 s1, s4, 4
	v_mul_i32_i24_e32 v81, s4, v7
	v_add_nc_u32_e32 v82, s0, v80
	v_lshlrev_b32_e32 v25, 6, v7
	v_mad_i32_i24 v89, s4, v7, s1
	v_add3_u32 v29, v2, v54, 0x4200
	v_add_nc_u32_e32 v2, 0x50, v7
	v_add_nc_u32_e32 v83, s0, v82
	v_add3_u32 v33, v3, v54, 0x4200
	v_lshlrev_b32_e32 v3, 1, v5
	v_add_nc_u32_e32 v7, 0x70, v7
	v_and_b32_e32 v4, 7, v0
	v_add_nc_u32_e32 v85, s0, v83
	v_cndmask_b32_e64 v58, 0, 1, vcc_lo
	v_and_b32_e32 v3, 0xffc, v3
	v_lshlrev_b32_e32 v8, 1, v7
	v_lshlrev_b32_e32 v6, 1, v2
	v_add_nc_u32_e32 v86, s0, v85
	v_lshlrev_b32_e32 v36, 6, v2
	v_add3_u32 v37, v3, v54, 0x4200
	v_and_b32_e32 v3, 0xffc, v8
	v_and_b32_e32 v2, 3, v0
	v_add_nc_u32_e32 v88, s0, v86
	v_cmp_lt_u32_e32 vcc_lo, 3, v4
	v_and_b32_e32 v6, 0xffc, v6
	v_lshlrev_b32_e32 v34, 6, v13
	v_add3_u32 v39, v3, v54, 0x4200
	v_add_nc_u32_e32 v90, s0, v88
	v_lshlrev_b32_e32 v40, 6, v7
	v_add_nc_u16 v3, v2, -2
	v_cndmask_b32_e64 v99, 0, 1, vcc_lo
	v_cmp_gt_u32_e32 vcc_lo, 2, v2
	v_add_nc_u32_e32 v7, 8, v49
	v_add_nc_u32_e32 v11, 16, v49
	;; [unrolled: 1-line block ×8, first 2 shown]
	s_add_i32 s0, s8, -1
	v_lshlrev_b32_e32 v59, 2, v4
	v_lshlrev_b32_e32 v32, 6, v12
	v_add3_u32 v35, v6, v54, 0x4200
	v_lshlrev_b32_e32 v38, 6, v5
	v_cndmask_b32_e32 v42, v3, v2, vcc_lo
	v_cvt_f64_i32_e32 v[3:4], s0
	v_cvt_f64_u32_e32 v[5:6], v49
	v_cvt_f64_u32_e32 v[7:8], v7
	;; [unrolled: 1-line block ×8, first 2 shown]
	v_add_nc_u32_e32 v91, s1, v89
	v_lshrrev_b32_e32 v97, 3, v0
	v_lshlrev_b32_sdwa v102, v24, v42 dst_sel:DWORD dst_unused:UNUSED_PAD src0_sel:DWORD src1_sel:BYTE_0
	v_lshlrev_b32_e32 v9, 2, v0
	v_mov_b32_e32 v10, 0
	v_add_nc_u32_e32 v93, s1, v91
	v_lshl_add_u32 v41, v1, 2, v97
	v_lshlrev_b32_e32 v100, 1, v0
	v_mad_u32_u24 v56, 0x84, v1, v9
	v_and_b32_e32 v9, 28, v9
	v_add_nc_u32_e32 v94, s1, v93
	v_and_b32_e32 v43, 0x7fc, v41
	v_add_nc_u32_e32 v24, 32, v41
	v_mul_i32_i24_e32 v104, s4, v41
	v_min_f64 v[5:6], v[5:6], v[3:4]
	v_min_f64 v[7:8], v[7:8], v[3:4]
	;; [unrolled: 1-line block ×8, first 2 shown]
	v_lshrrev_b32_e32 v21, 2, v0
	v_add_nc_u32_e32 v95, s1, v94
	v_add3_u32 v42, v43, v59, 0x8300
	v_lshlrev_b32_e32 v43, 5, v41
	v_add_nc_u32_e32 v45, 64, v41
	v_lshl_add_u32 v21, v1, 3, v21
	v_add_nc_u32_e32 v96, s1, v95
	v_and_b32_e32 v44, 0xffc, v24
	v_lshlrev_b32_e32 v24, 5, v24
	v_and_b32_e32 v46, 0xffc, v45
	v_lshlrev_b32_e32 v103, 1, v2
	v_add_nc_u32_e32 v98, s1, v96
	s_lshl_b32 s1, s4, 5
	v_add3_u32 v44, v44, v59, 0x8300
	v_cvt_i32_f64_e32 v5, v[5:6]
	v_cvt_i32_f64_e32 v6, v[7:8]
	;; [unrolled: 1-line block ×8, first 2 shown]
	v_and_b32_e32 v7, 63, v21
	v_and_b32_e32 v12, 31, v0
	v_mad_i32_i24 v105, s4, v41, s1
	v_add_nc_u32_e32 v41, 0x60, v41
	v_lshlrev_b32_e32 v16, 2, v2
	v_or_b32_e32 v13, s7, v7
	v_lshl_or_b32 v4, v12, 2, 0x6300
	v_and_b32_e32 v21, 0xfc, v0
	v_and_b32_e32 v22, 0xffc, v41
	v_lshl_or_b32 v7, v7, 4, v16
	v_min_i32_e32 v12, s0, v13
	v_lshlrev_b32_e32 v16, 7, v1
	v_lshlrev_b32_e32 v41, 5, v41
	v_add3_u32 v47, v22, v59, 0x8300
	v_add_nc_u32_e32 v106, s1, v105
	v_add3_u32 v46, v46, v59, 0x8300
	v_lshlrev_b32_e32 v45, 5, v45
	v_mul_lo_u32 v112, s14, v11
	v_add_nc_u32_e32 v11, 64, v0
	v_mul_lo_u32 v114, s14, v15
	v_mul_lo_u32 v115, s14, v17
	v_mad_u64_u32 v[12:13], null, v12, s14, v[2:3]
	v_mul_lo_u32 v116, s14, v3
	v_add_nc_u32_e32 v3, 32, v0
	v_add_nc_u32_e32 v17, 0x60, v0
	v_lshlrev_b32_e32 v15, 5, v0
	v_lshrrev_b32_e32 v20, 1, v11
	v_lshrrev_b32_e32 v48, 4, v11
	v_lshlrev_b32_e32 v121, 6, v11
	v_lshlrev_b32_e32 v122, 3, v11
	v_lshrrev_b32_e32 v126, 3, v11
	v_and_b32_e32 v11, 0x1fc, v11
	v_lshrrev_b32_e32 v18, 1, v3
	v_lshrrev_b32_e32 v19, 4, v3
	v_lshlrev_b32_e32 v119, 6, v3
	v_lshlrev_b32_e32 v120, 3, v3
	v_lshrrev_b32_e32 v125, 3, v3
	v_and_b32_e32 v3, 0x1fc, v3
	v_and_b32_e32 v22, 0x1fc, v17
	v_mul_lo_u32 v113, s14, v14
	v_add_nc_u32_e32 v13, 0x1800, v16
	v_add_nc_u32_e32 v14, 0x1c00, v16
	;; [unrolled: 1-line block ×3, first 2 shown]
	v_mov_b32_e32 v11, v10
	v_add_nc_u32_e32 v108, 0x97a0, v7
	v_mul_lo_u32 v109, s14, v5
	v_mul_lo_u32 v110, s14, v6
	v_add_nc_u32_e32 v2, 0x400, v16
	v_mul_lo_u32 v111, s14, v8
	v_add_nc_u32_e32 v5, 0x800, v16
	v_add_nc_u32_e32 v6, 0xc00, v16
	;; [unrolled: 1-line block ×4, first 2 shown]
	v_lshrrev_b32_e32 v162, 1, v17
	v_lshrrev_b32_e32 v163, 4, v17
	v_add_nc_u32_e32 v128, v15, v21
	v_add_nc_u32_e32 v129, v15, v3
	;; [unrolled: 1-line block ×3, first 2 shown]
	v_add_co_u32 v21, s0, s2, v9
	v_lshlrev_b32_e32 v123, 6, v17
	v_lshlrev_b32_e32 v124, 3, v17
	v_lshrrev_b32_e32 v127, 3, v17
	v_add_nc_u32_e32 v136, 0x97a0, v23
	v_add_nc_u32_e32 v137, 0x6300, v16
	;; [unrolled: 1-line block ×16, first 2 shown]
	v_lshlrev_b32_e32 v158, 2, v18
	v_lshlrev_b32_e32 v159, 2, v19
	;; [unrolled: 1-line block ×3, first 2 shown]
	v_mov_b32_e32 v36, v11
	v_mov_b32_e32 v26, v11
	;; [unrolled: 1-line block ×15, first 2 shown]
	v_mul_i32_i24_e32 v60, s4, v1
	v_add_nc_u32_e32 v62, 0x420, v56
	v_add_nc_u32_e32 v63, 0x840, v56
	;; [unrolled: 1-line block ×15, first 2 shown]
	v_and_b32_e32 v101, 4, v100
	v_add_nc_u32_e32 v107, s1, v106
	v_mul_u32_u24_e32 v117, 0x84, v0
	v_lshlrev_b32_e32 v118, 6, v0
	v_add_co_ci_u32_e64 v22, null, s3, 0, s0
	v_add_nc_u32_e32 v132, 0x8300, v128
	v_add_nc_u32_e32 v133, 0x8700, v129
	;; [unrolled: 1-line block ×10, first 2 shown]
	v_lshlrev_b32_e32 v161, 2, v48
	v_lshlrev_b32_e32 v162, 2, v162
	;; [unrolled: 1-line block ×3, first 2 shown]
	v_mov_b32_e32 v35, v10
	v_mov_b32_e32 v25, v10
	;; [unrolled: 1-line block ×15, first 2 shown]
	s_branch .LBB149_6
.LBB149_5:                              ;   in Loop: Header=BB149_6 Depth=1
	s_add_i32 s11, s11, 2
	s_cmp_ge_i32 s11, s4
	s_cbranch_scc1 .LBB149_16
.LBB149_6:                              ; =>This Loop Header: Depth=1
                                        ;     Child Loop BB149_7 Depth 2
                                        ;     Child Loop BB149_9 Depth 2
	;; [unrolled: 1-line block ×4, first 2 shown]
	s_mul_i32 s0, s11, 0x6e
	s_mul_hi_u32 s1, s11, 0x6e
	s_add_u32 s0, s5, s0
	s_addc_u32 s1, s9, s1
	v_mov_b32_e32 v168, v137
	v_mad_u64_u32 v[2:3], null, 0x6e, v50, s[0:1]
	v_mov_b32_e32 v169, v136
	s_mov_b32 s16, -2
	s_mov_b32 s14, 0
	v_mad_u64_u32 v[4:5], null, 0x6e, v60, v[2:3]
	v_add_co_u32 v4, vcc_lo, v4, v54
	v_add_co_ci_u32_e64 v5, null, 0, v5, vcc_lo
	global_load_dword v4, v[4:5], off offset:32
	s_waitcnt vmcnt(0)
	ds_write_b32 v56, v4
	v_mad_u64_u32 v[4:5], null, 0x6e, v53, v[2:3]
	v_add_co_u32 v4, vcc_lo, v4, v54
	v_add_co_ci_u32_e64 v5, null, 0, v5, vcc_lo
	global_load_dword v4, v[4:5], off offset:32
	s_waitcnt vmcnt(0)
	ds_write_b32 v62, v4
	;; [unrolled: 6-line block ×14, first 2 shown]
	v_mad_u64_u32 v[4:5], null, 0x6e, v90, v[2:3]
	v_mad_u64_u32 v[2:3], null, 0x6e, v92, v[2:3]
	v_add_co_u32 v4, vcc_lo, v4, v54
	v_add_co_ci_u32_e64 v5, null, 0, v5, vcc_lo
	v_add_co_u32 v2, vcc_lo, v2, v54
	v_add_co_ci_u32_e64 v3, null, 0, v3, vcc_lo
	s_clause 0x1
	global_load_dword v4, v[4:5], off offset:32
	global_load_dword v2, v[2:3], off offset:32
	s_waitcnt vmcnt(1)
	ds_write_b32 v78, v4
	s_waitcnt vmcnt(0)
	ds_write_b32 v79, v2
	v_mad_u64_u32 v[2:3], null, 0x6e, v84, s[0:1]
	v_mad_u64_u32 v[2:3], null, 0x6e, v51, v[2:3]
	global_load_ushort v2, v[2:3], off offset:108
	s_waitcnt vmcnt(0)
	v_cvt_f32_f16_e32 v2, v2
	ds_write_b32 v87, v2
	v_mad_u64_u32 v[2:3], null, 0x6e, v58, s[0:1]
	v_add_co_u32 v2, vcc_lo, v2, v59
	v_add_co_ci_u32_e64 v3, null, 0, v3, vcc_lo
	v_mad_u64_u32 v[4:5], null, 0x6e, v81, v[2:3]
	global_load_dword v4, v[4:5], off
	s_waitcnt vmcnt(0)
	v_not_b32_e32 v4, v4
	ds_write_b32 v138, v4
	v_mad_u64_u32 v[4:5], null, 0x6e, v89, v[2:3]
	global_load_dword v4, v[4:5], off
	s_waitcnt vmcnt(0)
	v_not_b32_e32 v4, v4
	ds_write_b32 v139, v4
	;; [unrolled: 5-line block ×6, first 2 shown]
	v_mad_u64_u32 v[4:5], null, 0x6e, v96, v[2:3]
	v_mad_u64_u32 v[2:3], null, 0x6e, v98, v[2:3]
	s_clause 0x1
	global_load_dword v4, v[4:5], off
	global_load_dword v2, v[2:3], off
	s_waitcnt vmcnt(1)
	v_not_b32_e32 v4, v4
	s_waitcnt vmcnt(0)
	v_not_b32_e32 v2, v2
	ds_write_b32 v144, v4
	ds_write_b32 v145, v2
	v_mad_u64_u32 v[2:3], null, 0x6e, v99, s[0:1]
	s_lshl_b32 s0, s11, 3
	s_mov_b32 s1, 0
	v_add_nc_u32_e32 v167, s0, v12
	v_mad_u64_u32 v[4:5], null, 0x6e, v104, v[2:3]
	v_add_co_u32 v6, vcc_lo, v4, v102
	v_add_co_ci_u32_e64 v7, null, 0, v5, vcc_lo
	s_clause 0x1
	global_load_dword v4, v[4:5], off offset:104
	global_load_dword v6, v[6:7], off offset:96
	s_waitcnt vmcnt(1)
	v_ashrrev_i32_e32 v4, v103, v4
	s_waitcnt vmcnt(0)
	v_ashrrev_i32_e32 v6, v101, v6
	v_lshlrev_b32_e32 v4, 4, v4
	v_and_b32_e32 v6, 0xf0f0f0f, v6
	v_and_or_b32 v4, 0x30303030, v4, v6
	v_lshrrev_b32_e32 v5, 16, v4
	v_and_b32_e32 v6, 0x3f00, v4
	v_lshlrev_b16 v4, 8, v4
	v_add_nc_u16 v4, 0xe000, v4
	v_or_b32_sdwa v4, v6, v4 dst_sel:DWORD dst_unused:UNUSED_PAD src0_sel:DWORD src1_sel:BYTE_1
	v_and_b32_e32 v6, 0x3f00, v5
	v_lshlrev_b16 v5, 8, v5
	v_add_nc_u16 v4, 0xe000, v4
	v_add_nc_u16 v5, 0xe000, v5
	v_or_b32_sdwa v5, v6, v5 dst_sel:DWORD dst_unused:UNUSED_PAD src0_sel:DWORD src1_sel:BYTE_1
	v_add_nc_u16 v5, 0xe000, v5
	v_lshlrev_b32_e32 v5, 16, v5
	v_or_b32_sdwa v4, v4, v5 dst_sel:DWORD dst_unused:UNUSED_PAD src0_sel:WORD_0 src1_sel:DWORD
	ds_write_b32 v146, v4
	v_mad_u64_u32 v[4:5], null, 0x6e, v105, v[2:3]
	v_add_co_u32 v6, vcc_lo, v4, v102
	v_add_co_ci_u32_e64 v7, null, 0, v5, vcc_lo
	s_clause 0x1
	global_load_dword v4, v[4:5], off offset:104
	global_load_dword v6, v[6:7], off offset:96
	s_waitcnt vmcnt(1)
	v_ashrrev_i32_e32 v4, v103, v4
	s_waitcnt vmcnt(0)
	v_ashrrev_i32_e32 v6, v101, v6
	v_lshlrev_b32_e32 v4, 4, v4
	v_and_b32_e32 v6, 0xf0f0f0f, v6
	v_and_or_b32 v4, 0x30303030, v4, v6
	v_lshrrev_b32_e32 v5, 16, v4
	v_and_b32_e32 v6, 0x3f00, v4
	v_lshlrev_b16 v4, 8, v4
	v_add_nc_u16 v4, 0xe000, v4
	v_or_b32_sdwa v4, v6, v4 dst_sel:DWORD dst_unused:UNUSED_PAD src0_sel:DWORD src1_sel:BYTE_1
	v_and_b32_e32 v6, 0x3f00, v5
	v_lshlrev_b16 v5, 8, v5
	v_add_nc_u16 v4, 0xe000, v4
	v_add_nc_u16 v5, 0xe000, v5
	v_or_b32_sdwa v5, v6, v5 dst_sel:DWORD dst_unused:UNUSED_PAD src0_sel:DWORD src1_sel:BYTE_1
	v_add_nc_u16 v5, 0xe000, v5
	v_lshlrev_b32_e32 v5, 16, v5
	v_or_b32_sdwa v4, v4, v5 dst_sel:DWORD dst_unused:UNUSED_PAD src0_sel:WORD_0 src1_sel:DWORD
	ds_write_b32 v147, v4
	v_mad_u64_u32 v[4:5], null, 0x6e, v106, v[2:3]
	v_mad_u64_u32 v[2:3], null, 0x6e, v107, v[2:3]
	v_add_co_u32 v6, vcc_lo, v4, v102
	v_add_co_ci_u32_e64 v7, null, 0, v5, vcc_lo
	s_clause 0x1
	global_load_dword v4, v[4:5], off offset:104
	global_load_dword v6, v[6:7], off offset:96
	s_waitcnt vmcnt(1)
	v_ashrrev_i32_e32 v4, v103, v4
	s_waitcnt vmcnt(0)
	v_ashrrev_i32_e32 v6, v101, v6
	v_lshlrev_b32_e32 v4, 4, v4
	v_and_b32_e32 v6, 0xf0f0f0f, v6
	v_and_or_b32 v4, 0x30303030, v4, v6
	v_lshrrev_b32_e32 v5, 16, v4
	v_and_b32_e32 v6, 0x3f00, v4
	v_lshlrev_b16 v4, 8, v4
	v_add_nc_u16 v4, 0xe000, v4
	v_or_b32_sdwa v4, v6, v4 dst_sel:DWORD dst_unused:UNUSED_PAD src0_sel:DWORD src1_sel:BYTE_1
	v_and_b32_e32 v6, 0x3f00, v5
	v_lshlrev_b16 v5, 8, v5
	v_add_nc_u16 v4, 0xe000, v4
	v_add_nc_u16 v5, 0xe000, v5
	v_or_b32_sdwa v5, v6, v5 dst_sel:DWORD dst_unused:UNUSED_PAD src0_sel:DWORD src1_sel:BYTE_1
	v_add_nc_u16 v5, 0xe000, v5
	v_lshlrev_b32_e32 v5, 16, v5
	v_or_b32_sdwa v4, v4, v5 dst_sel:DWORD dst_unused:UNUSED_PAD src0_sel:WORD_0 src1_sel:DWORD
	ds_write_b32 v148, v4
	v_add_co_u32 v4, vcc_lo, v2, v102
	v_add_co_ci_u32_e64 v5, null, 0, v3, vcc_lo
	s_clause 0x1
	global_load_dword v2, v[2:3], off offset:104
	global_load_dword v4, v[4:5], off offset:96
	s_waitcnt vmcnt(1)
	v_ashrrev_i32_e32 v2, v103, v2
	s_waitcnt vmcnt(0)
	v_ashrrev_i32_e32 v4, v101, v4
	v_lshlrev_b32_e32 v2, 4, v2
	v_and_b32_e32 v4, 0xf0f0f0f, v4
	v_and_or_b32 v2, 0x30303030, v2, v4
	v_lshrrev_b32_e32 v3, 16, v2
	v_and_b32_e32 v4, 0x3f00, v2
	v_lshlrev_b16 v2, 8, v2
	v_add_nc_u16 v2, 0xe000, v2
	v_or_b32_sdwa v2, v4, v2 dst_sel:DWORD dst_unused:UNUSED_PAD src0_sel:DWORD src1_sel:BYTE_1
	v_and_b32_e32 v4, 0x3f00, v3
	v_lshlrev_b16 v3, 8, v3
	v_add_nc_u16 v2, 0xe000, v2
	v_add_nc_u16 v3, 0xe000, v3
	v_or_b32_sdwa v3, v4, v3 dst_sel:DWORD dst_unused:UNUSED_PAD src0_sel:DWORD src1_sel:BYTE_1
	v_add_nc_u32_e32 v4, s0, v97
	v_add_nc_u16 v3, 0xe000, v3
	v_lshlrev_b32_e32 v3, 16, v3
	v_or_b32_sdwa v2, v2, v3 dst_sel:DWORD dst_unused:UNUSED_PAD src0_sel:WORD_0 src1_sel:DWORD
	ds_write_b32 v149, v2
	v_add_nc_u32_e32 v2, v4, v109
	v_mad_i64_i32 v[2:3], null, v2, 36, v[21:22]
	global_load_dword v2, v[2:3], off offset:4
	s_waitcnt vmcnt(0)
	ds_write_b32 v150, v2
	v_add_nc_u32_e32 v2, v4, v110
	v_mad_i64_i32 v[2:3], null, v2, 36, v[21:22]
	global_load_dword v2, v[2:3], off offset:4
	s_waitcnt vmcnt(0)
	;; [unrolled: 5-line block ×8, first 2 shown]
	ds_write_b32 v157, v2
	v_mad_u64_u32 v[2:3], null, v167, 36, s[2:3]
	global_load_dword v2, v[2:3], off
	s_waitcnt vmcnt(0)
	v_cvt_f32_f16_e32 v2, v2
	ds_write_b32 v108, v2
	s_waitcnt lgkmcnt(0)
	s_barrier
	buffer_gl0_inv
.LBB149_7:                              ;   Parent Loop BB149_6 Depth=1
                                        ; =>  This Inner Loop Header: Depth=2
	s_add_i32 s15, s16, 2
	v_lshlrev_b32_e32 v164, 2, v52
	s_lshr_b32 s17, s15, 4
	s_and_b32 s18, s15, 0x3ffffff8
	ds_read2_b32 v[45:46], v169 offset1:32
	ds_read_b128 v[6:9], v168
	ds_read_b128 v[2:5], v168 offset:16
	v_lshl_add_u32 v198, s18, 2, v117
	s_lshl_b32 s18, s17, 5
	s_lshl_b32 s17, s17, 2
	s_addk_i32 s18, 0x4200
	s_add_i32 s17, s17, 0x9380
	v_add3_u32 v176, s18, v164, v118
	ds_read2_b32 v[47:48], v198 offset1:1
	v_add3_u32 v185, s18, v158, v119
	v_add3_u32 v194, s18, v160, v121
	;; [unrolled: 1-line block ×3, first 2 shown]
	ds_read2_b32 v[165:166], v176 offset1:1
	v_mov_b32_e32 v204, 0
	v_mov_b32_e32 v208, 0
	;; [unrolled: 1-line block ×6, first 2 shown]
	s_and_b32 s19, s14, -16
	v_mov_b32_e32 v221, 0
	s_add_i32 s16, s16, s19
	v_mov_b32_e32 v223, 0
	v_add_nc_u32_e32 v205, s16, v132
	v_add_nc_u32_e32 v209, s16, v133
	;; [unrolled: 1-line block ×3, first 2 shown]
	s_add_i32 s14, s14, 2
	s_waitcnt lgkmcnt(1)
	v_ashrrev_i32_e32 v47, s15, v47
	s_waitcnt lgkmcnt(0)
	v_ashrrev_i32_e32 v165, s1, v165
	v_and_b32_e32 v170, 0x3030303, v47
	v_bfe_u32 v47, v47, 24, 2
	v_ashrrev_i32_e32 v166, s1, v166
	v_lshlrev_b32_e32 v165, 2, v165
	v_lshrrev_b16 v172, 8, v170
	v_lshrrev_b32_e32 v171, 16, v170
	v_lshlrev_b32_e32 v166, 2, v166
	v_and_b32_e32 v165, 0x4040404, v165
	v_and_b32_e32 v166, 0x4040404, v166
	v_lshrrev_b16 v175, 8, v165
	v_lshrrev_b32_e32 v173, 16, v165
	v_lshrrev_b32_e32 v174, 24, v165
	v_sub_nc_u16 v165, v170, v165
	v_sub_nc_u16 v170, v172, v175
	v_lshrrev_b32_e32 v172, 16, v166
	v_sub_nc_u16 v47, v47, v174
	v_lshrrev_b16 v174, 8, v166
	v_lshlrev_b16 v170, 8, v170
	v_lshlrev_b16 v47, 8, v47
	v_or_b32_sdwa v165, v165, v170 dst_sel:DWORD dst_unused:UNUSED_PAD src0_sel:BYTE_0 src1_sel:DWORD
	v_sub_nc_u16 v170, v171, v173
	v_lshrrev_b32_e32 v173, 24, v166
	v_or_b32_sdwa v47, v170, v47 dst_sel:WORD_1 dst_unused:UNUSED_PAD src0_sel:BYTE_0 src1_sel:DWORD
	v_or_b32_sdwa v170, v165, v47 dst_sel:DWORD dst_unused:UNUSED_PAD src0_sel:WORD_0 src1_sel:DWORD
	v_ashrrev_i32_e32 v47, s15, v48
	v_dot4c_i32_i8 v204, v170, v6
	v_and_b32_e32 v48, 0x3030303, v47
	v_bfe_u32 v47, v47, 24, 2
	v_lshrrev_b16 v171, 8, v48
	v_lshrrev_b32_e32 v165, 16, v48
	v_sub_nc_u16 v48, v48, v166
	v_sub_nc_u16 v47, v47, v173
	;; [unrolled: 1-line block ×4, first 2 shown]
	v_lshlrev_b16 v47, 8, v47
	v_lshlrev_b16 v166, 8, v166
	v_or_b32_sdwa v47, v165, v47 dst_sel:WORD_1 dst_unused:UNUSED_PAD src0_sel:BYTE_0 src1_sel:DWORD
	v_or_b32_sdwa v48, v48, v166 dst_sel:DWORD dst_unused:UNUSED_PAD src0_sel:BYTE_0 src1_sel:DWORD
	ds_read2_b32 v[165:166], v176 offset0:2 offset1:3
	v_or_b32_sdwa v171, v48, v47 dst_sel:DWORD dst_unused:UNUSED_PAD src0_sel:WORD_0 src1_sel:DWORD
	ds_read2_b32 v[47:48], v198 offset0:2 offset1:3
	v_dot4c_i32_i8 v204, v171, v7
	s_waitcnt lgkmcnt(1)
	v_ashrrev_i32_e32 v165, s1, v165
	v_ashrrev_i32_e32 v166, s1, v166
	s_waitcnt lgkmcnt(0)
	v_ashrrev_i32_e32 v47, s15, v47
	v_lshlrev_b32_e32 v165, 2, v165
	v_lshlrev_b32_e32 v166, 2, v166
	v_and_b32_e32 v172, 0x3030303, v47
	v_and_b32_e32 v165, 0x4040404, v165
	v_bfe_u32 v47, v47, 24, 2
	v_and_b32_e32 v166, 0x4040404, v166
	v_lshrrev_b16 v174, 8, v172
	v_lshrrev_b16 v178, 8, v165
	v_lshrrev_b32_e32 v173, 16, v172
	v_lshrrev_b32_e32 v175, 16, v165
	;; [unrolled: 1-line block ×3, first 2 shown]
	v_sub_nc_u16 v165, v172, v165
	v_sub_nc_u16 v172, v174, v178
	v_lshrrev_b32_e32 v174, 16, v166
	v_sub_nc_u16 v47, v47, v177
	v_lshrrev_b16 v177, 8, v166
	v_lshlrev_b16 v172, 8, v172
	v_lshlrev_b16 v47, 8, v47
	v_or_b32_sdwa v165, v165, v172 dst_sel:DWORD dst_unused:UNUSED_PAD src0_sel:BYTE_0 src1_sel:DWORD
	v_sub_nc_u16 v172, v173, v175
	v_lshrrev_b32_e32 v175, 24, v166
	v_or_b32_sdwa v47, v172, v47 dst_sel:WORD_1 dst_unused:UNUSED_PAD src0_sel:BYTE_0 src1_sel:DWORD
	v_or_b32_sdwa v172, v165, v47 dst_sel:DWORD dst_unused:UNUSED_PAD src0_sel:WORD_0 src1_sel:DWORD
	v_ashrrev_i32_e32 v47, s15, v48
	v_dot4c_i32_i8 v204, v172, v8
	v_and_b32_e32 v48, 0x3030303, v47
	v_bfe_u32 v47, v47, 24, 2
	v_lshrrev_b16 v173, 8, v48
	v_lshrrev_b32_e32 v165, 16, v48
	v_sub_nc_u16 v48, v48, v166
	v_sub_nc_u16 v47, v47, v175
	;; [unrolled: 1-line block ×4, first 2 shown]
	v_lshlrev_b16 v47, 8, v47
	v_lshlrev_b16 v166, 8, v166
	v_or_b32_sdwa v47, v165, v47 dst_sel:WORD_1 dst_unused:UNUSED_PAD src0_sel:BYTE_0 src1_sel:DWORD
	v_or_b32_sdwa v48, v48, v166 dst_sel:DWORD dst_unused:UNUSED_PAD src0_sel:BYTE_0 src1_sel:DWORD
	ds_read2_b32 v[165:166], v176 offset0:4 offset1:5
	v_or_b32_sdwa v173, v48, v47 dst_sel:DWORD dst_unused:UNUSED_PAD src0_sel:WORD_0 src1_sel:DWORD
	ds_read2_b32 v[47:48], v198 offset0:4 offset1:5
	v_dot4c_i32_i8 v204, v173, v9
	s_waitcnt lgkmcnt(1)
	v_ashrrev_i32_e32 v165, s1, v165
	v_ashrrev_i32_e32 v166, s1, v166
	s_waitcnt lgkmcnt(0)
	v_ashrrev_i32_e32 v47, s15, v47
	v_lshlrev_b32_e32 v165, 2, v165
	v_lshlrev_b32_e32 v166, 2, v166
	v_and_b32_e32 v174, 0x3030303, v47
	v_and_b32_e32 v165, 0x4040404, v165
	v_bfe_u32 v47, v47, 24, 2
	v_and_b32_e32 v166, 0x4040404, v166
	v_lshrrev_b16 v177, 8, v174
	v_lshrrev_b16 v180, 8, v165
	v_lshrrev_b32_e32 v175, 16, v174
	v_lshrrev_b32_e32 v178, 16, v165
	;; [unrolled: 1-line block ×3, first 2 shown]
	v_sub_nc_u16 v165, v174, v165
	v_sub_nc_u16 v174, v177, v180
	v_lshrrev_b32_e32 v177, 16, v166
	v_sub_nc_u16 v47, v47, v179
	v_lshrrev_b16 v179, 8, v166
	v_lshlrev_b16 v174, 8, v174
	v_lshlrev_b16 v47, 8, v47
	v_or_b32_sdwa v165, v165, v174 dst_sel:DWORD dst_unused:UNUSED_PAD src0_sel:BYTE_0 src1_sel:DWORD
	v_sub_nc_u16 v174, v175, v178
	v_lshrrev_b32_e32 v178, 24, v166
	v_or_b32_sdwa v47, v174, v47 dst_sel:WORD_1 dst_unused:UNUSED_PAD src0_sel:BYTE_0 src1_sel:DWORD
	v_or_b32_sdwa v174, v165, v47 dst_sel:DWORD dst_unused:UNUSED_PAD src0_sel:WORD_0 src1_sel:DWORD
	v_ashrrev_i32_e32 v47, s15, v48
	v_dot4c_i32_i8 v208, v174, v2
	v_and_b32_e32 v48, 0x3030303, v47
	v_bfe_u32 v47, v47, 24, 2
	v_lshrrev_b16 v175, 8, v48
	v_lshrrev_b32_e32 v165, 16, v48
	v_sub_nc_u16 v48, v48, v166
	v_sub_nc_u16 v47, v47, v178
	;; [unrolled: 1-line block ×4, first 2 shown]
	v_lshlrev_b16 v47, 8, v47
	v_lshlrev_b16 v166, 8, v166
	v_or_b32_sdwa v47, v165, v47 dst_sel:WORD_1 dst_unused:UNUSED_PAD src0_sel:BYTE_0 src1_sel:DWORD
	v_or_b32_sdwa v48, v48, v166 dst_sel:DWORD dst_unused:UNUSED_PAD src0_sel:BYTE_0 src1_sel:DWORD
	ds_read2_b32 v[165:166], v176 offset0:6 offset1:7
	v_or_b32_sdwa v175, v48, v47 dst_sel:DWORD dst_unused:UNUSED_PAD src0_sel:WORD_0 src1_sel:DWORD
	ds_read2_b32 v[47:48], v198 offset0:6 offset1:7
	v_dot4c_i32_i8 v208, v175, v3
	s_waitcnt lgkmcnt(1)
	v_ashrrev_i32_e32 v165, s1, v165
	v_ashrrev_i32_e32 v166, s1, v166
	s_waitcnt lgkmcnt(0)
	v_ashrrev_i32_e32 v47, s15, v47
	v_lshlrev_b32_e32 v165, 2, v165
	v_lshlrev_b32_e32 v166, 2, v166
	v_and_b32_e32 v177, 0x3030303, v47
	v_bfe_u32 v47, v47, 24, 2
	v_and_b32_e32 v165, 0x4040404, v165
	v_and_b32_e32 v166, 0x4040404, v166
	v_lshrrev_b16 v179, 8, v177
	v_lshrrev_b32_e32 v178, 16, v177
	v_lshrrev_b32_e32 v180, 24, v165
	v_lshrrev_b16 v181, 8, v165
	v_lshrrev_b32_e32 v176, 16, v165
	v_sub_nc_u16 v165, v177, v165
	v_sub_nc_u16 v47, v47, v180
	;; [unrolled: 1-line block ×4, first 2 shown]
	v_lshrrev_b32_e32 v179, 24, v166
	v_lshrrev_b16 v180, 8, v166
	v_lshlrev_b16 v47, 8, v47
	v_lshlrev_b16 v177, 8, v177
	v_lshrrev_b32_e32 v178, 16, v166
	v_or_b32_sdwa v47, v176, v47 dst_sel:WORD_1 dst_unused:UNUSED_PAD src0_sel:BYTE_0 src1_sel:DWORD
	v_or_b32_sdwa v165, v165, v177 dst_sel:DWORD dst_unused:UNUSED_PAD src0_sel:BYTE_0 src1_sel:DWORD
	v_or_b32_sdwa v176, v165, v47 dst_sel:DWORD dst_unused:UNUSED_PAD src0_sel:WORD_0 src1_sel:DWORD
	v_ashrrev_i32_e32 v47, s15, v48
	v_dot4c_i32_i8 v208, v176, v4
	v_and_b32_e32 v48, 0x3030303, v47
	v_bfe_u32 v47, v47, 24, 2
	v_lshrrev_b16 v177, 8, v48
	v_lshrrev_b32_e32 v165, 16, v48
	v_sub_nc_u16 v48, v48, v166
	v_sub_nc_u16 v47, v47, v179
	;; [unrolled: 1-line block ×4, first 2 shown]
	ds_read2_b32 v[179:180], v185 offset1:1
	v_lshlrev_b16 v47, 8, v47
	v_lshlrev_b16 v166, 8, v166
	v_or_b32_sdwa v47, v165, v47 dst_sel:WORD_1 dst_unused:UNUSED_PAD src0_sel:BYTE_0 src1_sel:DWORD
	v_lshlrev_b32_e32 v165, 2, v50
	v_or_b32_sdwa v48, v48, v166 dst_sel:DWORD dst_unused:UNUSED_PAD src0_sel:BYTE_0 src1_sel:DWORD
	v_lshlrev_b32_e32 v166, 2, v100
	v_or_b32_sdwa v177, v48, v47 dst_sel:DWORD dst_unused:UNUSED_PAD src0_sel:WORD_0 src1_sel:DWORD
	v_add3_u32 v47, s17, v165, v166
	v_dot4c_i32_i8 v208, v177, v5
	ds_read_b32 v178, v47
	v_add_nc_u32_e32 v47, 0x1080, v198
	s_waitcnt lgkmcnt(1)
	v_ashrrev_i32_e32 v179, s1, v179
	v_ashrrev_i32_e32 v180, s1, v180
	ds_read2_b32 v[47:48], v47 offset1:1
	v_lshlrev_b32_e32 v179, 2, v179
	v_lshlrev_b32_e32 v180, 2, v180
	v_and_b32_e32 v179, 0x4040404, v179
	v_and_b32_e32 v180, 0x4040404, v180
	v_lshrrev_b16 v187, 8, v179
	v_lshrrev_b32_e32 v184, 16, v179
	v_lshrrev_b32_e32 v186, 24, v179
	s_waitcnt lgkmcnt(0)
	v_ashrrev_i32_e32 v47, s15, v47
	v_and_b32_e32 v181, 0x3030303, v47
	v_bfe_u32 v47, v47, 24, 2
	v_lshrrev_b16 v183, 8, v181
	v_lshrrev_b32_e32 v182, 16, v181
	v_sub_nc_u16 v179, v181, v179
	v_sub_nc_u16 v47, v47, v186
	v_lshrrev_b16 v186, 8, v180
	v_sub_nc_u16 v181, v183, v187
	v_lshrrev_b32_e32 v183, 16, v180
	v_lshlrev_b16 v47, 8, v47
	v_lshlrev_b16 v181, 8, v181
	v_or_b32_sdwa v179, v179, v181 dst_sel:DWORD dst_unused:UNUSED_PAD src0_sel:BYTE_0 src1_sel:DWORD
	v_sub_nc_u16 v181, v182, v184
	v_lshrrev_b32_e32 v184, 24, v180
	v_or_b32_sdwa v47, v181, v47 dst_sel:WORD_1 dst_unused:UNUSED_PAD src0_sel:BYTE_0 src1_sel:DWORD
	v_or_b32_sdwa v179, v179, v47 dst_sel:DWORD dst_unused:UNUSED_PAD src0_sel:WORD_0 src1_sel:DWORD
	v_ashrrev_i32_e32 v47, s15, v48
	v_dot4c_i32_i8 v210, v179, v6
	v_and_b32_e32 v48, 0x3030303, v47
	v_bfe_u32 v47, v47, 24, 2
	v_lshrrev_b16 v182, 8, v48
	v_lshrrev_b32_e32 v181, 16, v48
	v_sub_nc_u16 v48, v48, v180
	v_sub_nc_u16 v47, v47, v184
	v_sub_nc_u16 v180, v182, v186
	v_lshlrev_b16 v47, 8, v47
	v_lshlrev_b16 v180, 8, v180
	v_or_b32_sdwa v48, v48, v180 dst_sel:DWORD dst_unused:UNUSED_PAD src0_sel:BYTE_0 src1_sel:DWORD
	v_sub_nc_u16 v180, v181, v183
	ds_read2_b32 v[181:182], v185 offset0:2 offset1:3
	v_or_b32_sdwa v47, v180, v47 dst_sel:WORD_1 dst_unused:UNUSED_PAD src0_sel:BYTE_0 src1_sel:DWORD
	v_or_b32_sdwa v180, v48, v47 dst_sel:DWORD dst_unused:UNUSED_PAD src0_sel:WORD_0 src1_sel:DWORD
	v_add_nc_u32_e32 v47, 0x1088, v198
	v_dot4c_i32_i8 v210, v180, v7
	ds_read2_b32 v[47:48], v47 offset1:1
	s_waitcnt lgkmcnt(1)
	v_ashrrev_i32_e32 v181, s1, v181
	v_ashrrev_i32_e32 v182, s1, v182
	v_lshlrev_b32_e32 v181, 2, v181
	v_lshlrev_b32_e32 v182, 2, v182
	v_and_b32_e32 v181, 0x4040404, v181
	v_and_b32_e32 v182, 0x4040404, v182
	s_waitcnt lgkmcnt(0)
	v_ashrrev_i32_e32 v47, s15, v47
	v_lshrrev_b16 v189, 8, v181
	v_lshrrev_b32_e32 v187, 16, v181
	v_lshrrev_b32_e32 v188, 24, v181
	v_and_b32_e32 v183, 0x3030303, v47
	v_bfe_u32 v47, v47, 24, 2
	v_lshrrev_b16 v186, 8, v183
	v_lshrrev_b32_e32 v184, 16, v183
	v_sub_nc_u16 v181, v183, v181
	v_sub_nc_u16 v47, v47, v188
	v_lshrrev_b16 v188, 8, v182
	v_sub_nc_u16 v183, v186, v189
	v_lshrrev_b32_e32 v186, 16, v182
	v_lshlrev_b16 v47, 8, v47
	v_lshlrev_b16 v183, 8, v183
	v_or_b32_sdwa v181, v181, v183 dst_sel:DWORD dst_unused:UNUSED_PAD src0_sel:BYTE_0 src1_sel:DWORD
	v_sub_nc_u16 v183, v184, v187
	v_lshrrev_b32_e32 v187, 24, v182
	v_or_b32_sdwa v47, v183, v47 dst_sel:WORD_1 dst_unused:UNUSED_PAD src0_sel:BYTE_0 src1_sel:DWORD
	v_or_b32_sdwa v181, v181, v47 dst_sel:DWORD dst_unused:UNUSED_PAD src0_sel:WORD_0 src1_sel:DWORD
	v_ashrrev_i32_e32 v47, s15, v48
	v_dot4c_i32_i8 v210, v181, v8
	v_and_b32_e32 v48, 0x3030303, v47
	v_bfe_u32 v47, v47, 24, 2
	v_lshrrev_b16 v184, 8, v48
	v_lshrrev_b32_e32 v183, 16, v48
	v_sub_nc_u16 v48, v48, v182
	v_sub_nc_u16 v47, v47, v187
	v_sub_nc_u16 v182, v184, v188
	v_lshlrev_b16 v47, 8, v47
	v_lshlrev_b16 v182, 8, v182
	v_or_b32_sdwa v48, v48, v182 dst_sel:DWORD dst_unused:UNUSED_PAD src0_sel:BYTE_0 src1_sel:DWORD
	v_sub_nc_u16 v182, v183, v186
	ds_read2_b32 v[183:184], v185 offset0:4 offset1:5
	v_or_b32_sdwa v47, v182, v47 dst_sel:WORD_1 dst_unused:UNUSED_PAD src0_sel:BYTE_0 src1_sel:DWORD
	v_or_b32_sdwa v182, v48, v47 dst_sel:DWORD dst_unused:UNUSED_PAD src0_sel:WORD_0 src1_sel:DWORD
	v_add_nc_u32_e32 v47, 0x1090, v198
	v_dot4c_i32_i8 v210, v182, v9
	ds_read2_b32 v[47:48], v47 offset1:1
	s_waitcnt lgkmcnt(1)
	v_ashrrev_i32_e32 v183, s1, v183
	v_ashrrev_i32_e32 v184, s1, v184
	v_lshlrev_b32_e32 v183, 2, v183
	v_lshlrev_b32_e32 v184, 2, v184
	v_and_b32_e32 v183, 0x4040404, v183
	v_and_b32_e32 v184, 0x4040404, v184
	s_waitcnt lgkmcnt(0)
	v_ashrrev_i32_e32 v47, s15, v47
	v_lshrrev_b16 v191, 8, v183
	v_lshrrev_b32_e32 v189, 16, v183
	v_lshrrev_b32_e32 v190, 24, v183
	;; [unrolled: 47-line block ×3, first 2 shown]
	v_and_b32_e32 v187, 0x3030303, v47
	v_bfe_u32 v47, v47, 24, 2
	v_lshrrev_b16 v189, 8, v187
	v_lshrrev_b32_e32 v188, 16, v187
	v_sub_nc_u16 v185, v187, v185
	v_sub_nc_u16 v47, v47, v191
	v_lshrrev_b16 v191, 8, v186
	v_sub_nc_u16 v187, v189, v192
	v_lshrrev_b32_e32 v189, 16, v186
	v_lshlrev_b16 v47, 8, v47
	v_lshlrev_b16 v187, 8, v187
	v_or_b32_sdwa v185, v185, v187 dst_sel:DWORD dst_unused:UNUSED_PAD src0_sel:BYTE_0 src1_sel:DWORD
	v_sub_nc_u16 v187, v188, v190
	v_lshrrev_b32_e32 v190, 24, v186
	v_or_b32_sdwa v47, v187, v47 dst_sel:WORD_1 dst_unused:UNUSED_PAD src0_sel:BYTE_0 src1_sel:DWORD
	v_or_b32_sdwa v185, v185, v47 dst_sel:DWORD dst_unused:UNUSED_PAD src0_sel:WORD_0 src1_sel:DWORD
	v_ashrrev_i32_e32 v47, s15, v48
	v_dot4c_i32_i8 v211, v185, v4
	v_and_b32_e32 v48, 0x3030303, v47
	v_bfe_u32 v47, v47, 24, 2
	v_lshrrev_b16 v188, 8, v48
	v_lshrrev_b32_e32 v187, 16, v48
	v_sub_nc_u16 v48, v48, v186
	v_sub_nc_u16 v47, v47, v190
	;; [unrolled: 1-line block ×3, first 2 shown]
	v_lshlrev_b16 v47, 8, v47
	v_lshlrev_b16 v186, 8, v186
	v_or_b32_sdwa v48, v48, v186 dst_sel:DWORD dst_unused:UNUSED_PAD src0_sel:BYTE_0 src1_sel:DWORD
	v_sub_nc_u16 v186, v187, v189
	ds_read2_b32 v[188:189], v194 offset1:1
	v_or_b32_sdwa v47, v186, v47 dst_sel:WORD_1 dst_unused:UNUSED_PAD src0_sel:BYTE_0 src1_sel:DWORD
	v_or_b32_sdwa v187, v48, v47 dst_sel:DWORD dst_unused:UNUSED_PAD src0_sel:WORD_0 src1_sel:DWORD
	v_add3_u32 v47, s17, v159, v120
	v_dot4c_i32_i8 v211, v187, v5
	ds_read_b32 v186, v47
	v_add_nc_u32_e32 v47, 0x2100, v198
	s_waitcnt lgkmcnt(1)
	v_ashrrev_i32_e32 v188, s1, v188
	ds_read2_b32 v[47:48], v47 offset1:1
	v_ashrrev_i32_e32 v189, s1, v189
	v_lshlrev_b32_e32 v188, 2, v188
	v_lshlrev_b32_e32 v189, 2, v189
	v_and_b32_e32 v188, 0x4040404, v188
	v_and_b32_e32 v189, 0x4040404, v189
	v_lshrrev_b16 v196, 8, v188
	v_lshrrev_b32_e32 v193, 16, v188
	v_lshrrev_b32_e32 v195, 24, v188
	s_waitcnt lgkmcnt(0)
	v_ashrrev_i32_e32 v47, s15, v47
	v_and_b32_e32 v190, 0x3030303, v47
	v_bfe_u32 v47, v47, 24, 2
	v_lshrrev_b16 v192, 8, v190
	v_lshrrev_b32_e32 v191, 16, v190
	v_sub_nc_u16 v188, v190, v188
	v_sub_nc_u16 v47, v47, v195
	v_lshrrev_b16 v195, 8, v189
	v_sub_nc_u16 v190, v192, v196
	v_lshrrev_b32_e32 v192, 16, v189
	v_lshlrev_b16 v47, 8, v47
	v_lshlrev_b16 v190, 8, v190
	v_or_b32_sdwa v188, v188, v190 dst_sel:DWORD dst_unused:UNUSED_PAD src0_sel:BYTE_0 src1_sel:DWORD
	v_sub_nc_u16 v190, v191, v193
	v_lshrrev_b32_e32 v193, 24, v189
	v_or_b32_sdwa v47, v190, v47 dst_sel:WORD_1 dst_unused:UNUSED_PAD src0_sel:BYTE_0 src1_sel:DWORD
	v_or_b32_sdwa v188, v188, v47 dst_sel:DWORD dst_unused:UNUSED_PAD src0_sel:WORD_0 src1_sel:DWORD
	v_ashrrev_i32_e32 v47, s15, v48
	v_dot4c_i32_i8 v212, v188, v6
	v_and_b32_e32 v48, 0x3030303, v47
	v_bfe_u32 v47, v47, 24, 2
	v_lshrrev_b16 v191, 8, v48
	v_lshrrev_b32_e32 v190, 16, v48
	v_sub_nc_u16 v48, v48, v189
	v_sub_nc_u16 v47, v47, v193
	v_sub_nc_u16 v189, v191, v195
	v_lshlrev_b16 v47, 8, v47
	v_lshlrev_b16 v189, 8, v189
	v_or_b32_sdwa v48, v48, v189 dst_sel:DWORD dst_unused:UNUSED_PAD src0_sel:BYTE_0 src1_sel:DWORD
	v_sub_nc_u16 v189, v190, v192
	ds_read2_b32 v[190:191], v194 offset0:2 offset1:3
	v_or_b32_sdwa v47, v189, v47 dst_sel:WORD_1 dst_unused:UNUSED_PAD src0_sel:BYTE_0 src1_sel:DWORD
	v_or_b32_sdwa v189, v48, v47 dst_sel:DWORD dst_unused:UNUSED_PAD src0_sel:WORD_0 src1_sel:DWORD
	v_add_nc_u32_e32 v47, 0x2108, v198
	v_dot4c_i32_i8 v212, v189, v7
	ds_read2_b32 v[47:48], v47 offset1:1
	s_waitcnt lgkmcnt(1)
	v_ashrrev_i32_e32 v190, s1, v190
	v_ashrrev_i32_e32 v191, s1, v191
	v_lshlrev_b32_e32 v190, 2, v190
	v_lshlrev_b32_e32 v191, 2, v191
	v_and_b32_e32 v190, 0x4040404, v190
	v_and_b32_e32 v191, 0x4040404, v191
	s_waitcnt lgkmcnt(0)
	v_ashrrev_i32_e32 v47, s15, v47
	v_lshrrev_b16 v199, 8, v190
	v_lshrrev_b32_e32 v196, 16, v190
	v_lshrrev_b32_e32 v197, 24, v190
	v_and_b32_e32 v192, 0x3030303, v47
	v_bfe_u32 v47, v47, 24, 2
	v_lshrrev_b16 v195, 8, v192
	v_lshrrev_b32_e32 v193, 16, v192
	v_sub_nc_u16 v190, v192, v190
	v_sub_nc_u16 v47, v47, v197
	v_lshrrev_b16 v197, 8, v191
	v_sub_nc_u16 v192, v195, v199
	v_lshrrev_b32_e32 v195, 16, v191
	v_lshlrev_b16 v47, 8, v47
	v_lshlrev_b16 v192, 8, v192
	v_or_b32_sdwa v190, v190, v192 dst_sel:DWORD dst_unused:UNUSED_PAD src0_sel:BYTE_0 src1_sel:DWORD
	v_sub_nc_u16 v192, v193, v196
	v_lshrrev_b32_e32 v196, 24, v191
	v_or_b32_sdwa v47, v192, v47 dst_sel:WORD_1 dst_unused:UNUSED_PAD src0_sel:BYTE_0 src1_sel:DWORD
	v_or_b32_sdwa v190, v190, v47 dst_sel:DWORD dst_unused:UNUSED_PAD src0_sel:WORD_0 src1_sel:DWORD
	v_ashrrev_i32_e32 v47, s15, v48
	v_dot4c_i32_i8 v212, v190, v8
	v_and_b32_e32 v48, 0x3030303, v47
	v_bfe_u32 v47, v47, 24, 2
	v_lshrrev_b16 v193, 8, v48
	v_lshrrev_b32_e32 v192, 16, v48
	v_sub_nc_u16 v48, v48, v191
	v_sub_nc_u16 v47, v47, v196
	v_sub_nc_u16 v191, v193, v197
	v_lshlrev_b16 v47, 8, v47
	v_lshlrev_b16 v191, 8, v191
	v_or_b32_sdwa v48, v48, v191 dst_sel:DWORD dst_unused:UNUSED_PAD src0_sel:BYTE_0 src1_sel:DWORD
	v_sub_nc_u16 v191, v192, v195
	ds_read2_b32 v[192:193], v194 offset0:4 offset1:5
	v_or_b32_sdwa v47, v191, v47 dst_sel:WORD_1 dst_unused:UNUSED_PAD src0_sel:BYTE_0 src1_sel:DWORD
	v_or_b32_sdwa v191, v48, v47 dst_sel:DWORD dst_unused:UNUSED_PAD src0_sel:WORD_0 src1_sel:DWORD
	v_add_nc_u32_e32 v47, 0x2110, v198
	v_dot4c_i32_i8 v212, v191, v9
	ds_read2_b32 v[47:48], v47 offset1:1
	s_waitcnt lgkmcnt(1)
	v_ashrrev_i32_e32 v192, s1, v192
	v_ashrrev_i32_e32 v193, s1, v193
	v_lshlrev_b32_e32 v192, 2, v192
	v_lshlrev_b32_e32 v193, 2, v193
	v_and_b32_e32 v192, 0x4040404, v192
	v_and_b32_e32 v193, 0x4040404, v193
	s_waitcnt lgkmcnt(0)
	v_ashrrev_i32_e32 v47, s15, v47
	v_lshrrev_b16 v201, 8, v192
	v_lshrrev_b32_e32 v199, 16, v192
	v_lshrrev_b32_e32 v200, 24, v192
	;; [unrolled: 47-line block ×3, first 2 shown]
	v_and_b32_e32 v196, 0x3030303, v47
	v_bfe_u32 v47, v47, 24, 2
	v_lshrrev_b16 v199, 8, v196
	v_lshrrev_b32_e32 v197, 16, v196
	v_sub_nc_u16 v194, v196, v194
	v_sub_nc_u16 v47, v47, v201
	v_lshrrev_b16 v201, 8, v195
	v_sub_nc_u16 v196, v199, v202
	v_lshrrev_b32_e32 v199, 16, v195
	v_lshlrev_b16 v47, 8, v47
	v_lshlrev_b16 v196, 8, v196
	v_or_b32_sdwa v194, v194, v196 dst_sel:DWORD dst_unused:UNUSED_PAD src0_sel:BYTE_0 src1_sel:DWORD
	v_sub_nc_u16 v196, v197, v200
	v_lshrrev_b32_e32 v200, 24, v195
	v_or_b32_sdwa v47, v196, v47 dst_sel:WORD_1 dst_unused:UNUSED_PAD src0_sel:BYTE_0 src1_sel:DWORD
	v_or_b32_sdwa v194, v194, v47 dst_sel:DWORD dst_unused:UNUSED_PAD src0_sel:WORD_0 src1_sel:DWORD
	v_ashrrev_i32_e32 v47, s15, v48
	v_dot4c_i32_i8 v214, v194, v4
	v_and_b32_e32 v48, 0x3030303, v47
	v_bfe_u32 v47, v47, 24, 2
	v_lshrrev_b16 v197, 8, v48
	v_lshrrev_b32_e32 v196, 16, v48
	v_sub_nc_u16 v48, v48, v195
	v_sub_nc_u16 v47, v47, v200
	;; [unrolled: 1-line block ×3, first 2 shown]
	ds_read2_b32 v[201:202], v206 offset1:1
	v_lshlrev_b16 v47, 8, v47
	v_lshlrev_b16 v195, 8, v195
	v_or_b32_sdwa v48, v48, v195 dst_sel:DWORD dst_unused:UNUSED_PAD src0_sel:BYTE_0 src1_sel:DWORD
	v_sub_nc_u16 v195, v196, v199
	v_or_b32_sdwa v47, v195, v47 dst_sel:WORD_1 dst_unused:UNUSED_PAD src0_sel:BYTE_0 src1_sel:DWORD
	v_or_b32_sdwa v196, v48, v47 dst_sel:DWORD dst_unused:UNUSED_PAD src0_sel:WORD_0 src1_sel:DWORD
	v_add3_u32 v47, s17, v161, v122
	s_waitcnt lgkmcnt(0)
	v_ashrrev_i32_e32 v201, s1, v201
	v_dot4c_i32_i8 v214, v196, v5
	ds_read_b32 v195, v47
	v_add_nc_u32_e32 v47, 0x3180, v198
	v_lshlrev_b32_e32 v201, 2, v201
	ds_read2_b32 v[47:48], v47 offset1:1
	v_and_b32_e32 v201, 0x4040404, v201
	v_lshrrev_b32_e32 v207, 24, v201
	v_lshrrev_b16 v215, 8, v201
	v_lshrrev_b32_e32 v203, 16, v201
	s_waitcnt lgkmcnt(0)
	v_ashrrev_i32_e32 v197, s15, v47
	v_and_b32_e32 v199, 0x3030303, v197
	v_bfe_u32 v197, v197, 24, 2
	v_lshrrev_b16 v200, 8, v199
	v_lshrrev_b32_e32 v47, 16, v199
	v_sub_nc_u16 v197, v197, v207
	v_sub_nc_u16 v199, v199, v201
	v_ashrrev_i32_e32 v201, s1, v202
	v_sub_nc_u16 v200, v200, v215
	v_sub_nc_u16 v47, v47, v203
	v_lshlrev_b16 v197, 8, v197
	v_lshlrev_b32_e32 v201, 2, v201
	v_lshlrev_b16 v200, 8, v200
	v_or_b32_sdwa v47, v47, v197 dst_sel:WORD_1 dst_unused:UNUSED_PAD src0_sel:BYTE_0 src1_sel:DWORD
	v_and_b32_e32 v201, 0x4040404, v201
	v_or_b32_sdwa v199, v199, v200 dst_sel:DWORD dst_unused:UNUSED_PAD src0_sel:BYTE_0 src1_sel:DWORD
	v_lshrrev_b32_e32 v203, 24, v201
	v_or_b32_sdwa v200, v199, v47 dst_sel:DWORD dst_unused:UNUSED_PAD src0_sel:WORD_0 src1_sel:DWORD
	v_ashrrev_i32_e32 v47, s15, v48
	v_lshrrev_b16 v207, 8, v201
	v_lshrrev_b32_e32 v202, 16, v201
	v_and_b32_e32 v48, 0x3030303, v47
	v_bfe_u32 v47, v47, 24, 2
	v_lshrrev_b16 v199, 8, v48
	v_lshrrev_b32_e32 v197, 16, v48
	v_sub_nc_u16 v47, v47, v203
	v_sub_nc_u16 v48, v48, v201
	;; [unrolled: 1-line block ×4, first 2 shown]
	v_lshlrev_b16 v47, 8, v47
	ds_read2_b32 v[202:203], v206 offset0:2 offset1:3
	v_lshlrev_b16 v199, 8, v199
	v_or_b32_sdwa v47, v197, v47 dst_sel:WORD_1 dst_unused:UNUSED_PAD src0_sel:BYTE_0 src1_sel:DWORD
	v_or_b32_sdwa v48, v48, v199 dst_sel:DWORD dst_unused:UNUSED_PAD src0_sel:BYTE_0 src1_sel:DWORD
	v_or_b32_sdwa v201, v48, v47 dst_sel:DWORD dst_unused:UNUSED_PAD src0_sel:WORD_0 src1_sel:DWORD
	v_add_nc_u32_e32 v47, 0x3188, v198
	ds_read2_b32 v[47:48], v47 offset1:1
	s_waitcnt lgkmcnt(1)
	v_ashrrev_i32_e32 v202, s1, v202
	v_ashrrev_i32_e32 v203, s1, v203
	v_lshlrev_b32_e32 v202, 2, v202
	v_lshlrev_b32_e32 v203, 2, v203
	v_and_b32_e32 v202, 0x4040404, v202
	v_and_b32_e32 v203, 0x4040404, v203
	v_lshrrev_b32_e32 v216, 24, v202
	v_lshrrev_b16 v217, 8, v202
	v_lshrrev_b32_e32 v215, 16, v202
	s_waitcnt lgkmcnt(0)
	v_ashrrev_i32_e32 v47, s15, v47
	v_and_b32_e32 v197, 0x3030303, v47
	v_bfe_u32 v47, v47, 24, 2
	v_lshrrev_b16 v207, 8, v197
	v_lshrrev_b32_e32 v199, 16, v197
	v_sub_nc_u16 v197, v197, v202
	v_sub_nc_u16 v47, v47, v216
	v_lshrrev_b16 v216, 8, v203
	v_sub_nc_u16 v202, v207, v217
	v_sub_nc_u16 v199, v199, v215
	v_lshrrev_b32_e32 v215, 24, v203
	v_lshlrev_b16 v47, 8, v47
	v_lshrrev_b32_e32 v207, 16, v203
	v_lshlrev_b16 v202, 8, v202
	v_or_b32_sdwa v47, v199, v47 dst_sel:WORD_1 dst_unused:UNUSED_PAD src0_sel:BYTE_0 src1_sel:DWORD
	v_or_b32_sdwa v197, v197, v202 dst_sel:DWORD dst_unused:UNUSED_PAD src0_sel:BYTE_0 src1_sel:DWORD
	v_or_b32_sdwa v202, v197, v47 dst_sel:DWORD dst_unused:UNUSED_PAD src0_sel:WORD_0 src1_sel:DWORD
	v_ashrrev_i32_e32 v47, s15, v48
	v_and_b32_e32 v48, 0x3030303, v47
	v_bfe_u32 v47, v47, 24, 2
	v_lshrrev_b16 v199, 8, v48
	v_lshrrev_b32_e32 v197, 16, v48
	v_sub_nc_u16 v47, v47, v215
	v_sub_nc_u16 v48, v48, v203
	;; [unrolled: 1-line block ×4, first 2 shown]
	v_lshlrev_b16 v47, 8, v47
	ds_read2_b32 v[215:216], v206 offset0:4 offset1:5
	v_lshlrev_b16 v199, 8, v199
	v_or_b32_sdwa v47, v197, v47 dst_sel:WORD_1 dst_unused:UNUSED_PAD src0_sel:BYTE_0 src1_sel:DWORD
	v_or_b32_sdwa v48, v48, v199 dst_sel:DWORD dst_unused:UNUSED_PAD src0_sel:BYTE_0 src1_sel:DWORD
	v_or_b32_sdwa v203, v48, v47 dst_sel:DWORD dst_unused:UNUSED_PAD src0_sel:WORD_0 src1_sel:DWORD
	v_add_nc_u32_e32 v47, 0x3190, v198
	ds_read2_b32 v[47:48], v47 offset1:1
	s_waitcnt lgkmcnt(1)
	v_ashrrev_i32_e32 v215, s1, v215
	v_lshlrev_b32_e32 v215, 2, v215
	v_and_b32_e32 v215, 0x4040404, v215
	v_lshrrev_b32_e32 v218, 24, v215
	v_lshrrev_b16 v219, 8, v215
	v_lshrrev_b32_e32 v217, 16, v215
	s_waitcnt lgkmcnt(0)
	v_ashrrev_i32_e32 v47, s15, v47
	v_and_b32_e32 v197, 0x3030303, v47
	v_bfe_u32 v47, v47, 24, 2
	v_lshrrev_b16 v207, 8, v197
	v_lshrrev_b32_e32 v199, 16, v197
	v_sub_nc_u16 v197, v197, v215
	v_sub_nc_u16 v47, v47, v218
	v_ashrrev_i32_e32 v215, s1, v216
	v_sub_nc_u16 v207, v207, v219
	v_sub_nc_u16 v199, v199, v217
	v_lshlrev_b16 v47, 8, v47
	v_lshlrev_b32_e32 v215, 2, v215
	v_lshlrev_b16 v207, 8, v207
	v_or_b32_sdwa v47, v199, v47 dst_sel:WORD_1 dst_unused:UNUSED_PAD src0_sel:BYTE_0 src1_sel:DWORD
	v_and_b32_e32 v215, 0x4040404, v215
	v_or_b32_sdwa v197, v197, v207 dst_sel:DWORD dst_unused:UNUSED_PAD src0_sel:BYTE_0 src1_sel:DWORD
	v_lshrrev_b32_e32 v217, 24, v215
	v_or_b32_sdwa v197, v197, v47 dst_sel:DWORD dst_unused:UNUSED_PAD src0_sel:WORD_0 src1_sel:DWORD
	v_ashrrev_i32_e32 v47, s15, v48
	v_lshrrev_b16 v218, 8, v215
	v_lshrrev_b32_e32 v216, 16, v215
	v_and_b32_e32 v48, 0x3030303, v47
	v_bfe_u32 v47, v47, 24, 2
	v_lshrrev_b16 v207, 8, v48
	v_lshrrev_b32_e32 v199, 16, v48
	v_sub_nc_u16 v47, v47, v217
	v_sub_nc_u16 v48, v48, v215
	;; [unrolled: 1-line block ×4, first 2 shown]
	v_lshlrev_b16 v47, 8, v47
	v_lshlrev_b16 v207, 8, v207
	v_or_b32_sdwa v47, v199, v47 dst_sel:WORD_1 dst_unused:UNUSED_PAD src0_sel:BYTE_0 src1_sel:DWORD
	v_or_b32_sdwa v48, v48, v207 dst_sel:DWORD dst_unused:UNUSED_PAD src0_sel:BYTE_0 src1_sel:DWORD
	ds_read2_b32 v[206:207], v206 offset0:6 offset1:7
	v_or_b32_sdwa v48, v48, v47 dst_sel:DWORD dst_unused:UNUSED_PAD src0_sel:WORD_0 src1_sel:DWORD
	v_add_nc_u32_e32 v47, 0x3198, v198
	ds_read2_b32 v[198:199], v47 offset1:1
	s_waitcnt lgkmcnt(1)
	v_ashrrev_i32_e32 v206, s1, v206
	v_ashrrev_i32_e32 v207, s1, v207
	s_add_i32 s1, s1, 1
	s_cmp_lt_u32 s15, 6
	v_lshlrev_b32_e32 v206, 2, v206
	v_lshlrev_b32_e32 v207, 2, v207
	s_waitcnt lgkmcnt(0)
	v_ashrrev_i32_e32 v47, s15, v198
	v_and_b32_e32 v206, 0x4040404, v206
	v_and_b32_e32 v207, 0x4040404, v207
	;; [unrolled: 1-line block ×3, first 2 shown]
	v_bfe_u32 v47, v47, 24, 2
	v_lshrrev_b16 v219, 8, v206
	v_lshrrev_b32_e32 v217, 16, v206
	v_lshrrev_b32_e32 v218, 24, v206
	v_lshrrev_b16 v216, 8, v198
	v_lshrrev_b32_e32 v215, 16, v198
	v_sub_nc_u16 v198, v198, v206
	v_sub_nc_u16 v47, v47, v218
	;; [unrolled: 1-line block ×3, first 2 shown]
	v_lshrrev_b16 v218, 8, v207
	v_lshrrev_b32_e32 v216, 16, v207
	v_mov_b32_e32 v219, 0
	v_lshlrev_b16 v47, 8, v47
	v_lshlrev_b16 v206, 8, v206
	v_or_b32_sdwa v198, v198, v206 dst_sel:DWORD dst_unused:UNUSED_PAD src0_sel:BYTE_0 src1_sel:DWORD
	v_sub_nc_u16 v206, v215, v217
	v_lshrrev_b32_e32 v217, 24, v207
	v_or_b32_sdwa v47, v206, v47 dst_sel:WORD_1 dst_unused:UNUSED_PAD src0_sel:BYTE_0 src1_sel:DWORD
	v_or_b32_sdwa v198, v198, v47 dst_sel:DWORD dst_unused:UNUSED_PAD src0_sel:WORD_0 src1_sel:DWORD
	v_ashrrev_i32_e32 v47, s15, v199
	v_and_b32_e32 v199, 0x3030303, v47
	v_bfe_u32 v47, v47, 24, 2
	v_lshrrev_b16 v215, 8, v199
	v_lshrrev_b32_e32 v206, 16, v199
	v_sub_nc_u16 v199, v199, v207
	v_sub_nc_u16 v47, v47, v217
	v_mov_b32_e32 v217, 0
	v_sub_nc_u16 v207, v215, v218
	v_mov_b32_e32 v215, 0
	v_sub_nc_u16 v206, v206, v216
	v_lshlrev_b16 v47, 8, v47
	v_dot4c_i32_i8 v217, v197, v2
	v_lshlrev_b16 v207, 8, v207
	v_dot4c_i32_i8 v215, v200, v6
	v_mov_b32_e32 v218, 0
	v_or_b32_sdwa v47, v206, v47 dst_sel:WORD_1 dst_unused:UNUSED_PAD src0_sel:BYTE_0 src1_sel:DWORD
	v_dot4c_i32_i8 v217, v48, v3
	v_or_b32_sdwa v199, v199, v207 dst_sel:DWORD dst_unused:UNUSED_PAD src0_sel:BYTE_0 src1_sel:DWORD
	v_dot4c_i32_i8 v215, v201, v7
	v_add_nc_u32_e32 v216, s16, v135
	s_mov_b32 s16, s15
	v_dot4c_i32_i8 v217, v198, v4
	v_or_b32_sdwa v199, v199, v47 dst_sel:DWORD dst_unused:UNUSED_PAD src0_sel:WORD_0 src1_sel:DWORD
	v_add3_u32 v47, s17, v163, v124
	v_dot4c_i32_i8 v215, v202, v8
	v_dot4c_i32_i8 v217, v199, v5
	ds_read_b32 v47, v47
	v_dot4c_i32_i8 v215, v203, v9
	ds_read_b128 v[6:9], v168 offset:1024
	ds_read_b128 v[2:5], v168 offset:1040
	ds_read_u16 v205, v205 offset:2
	s_waitcnt lgkmcnt(2)
	v_dot4c_i32_i8 v218, v170, v6
	s_waitcnt lgkmcnt(1)
	v_dot4c_i32_i8 v219, v174, v2
	s_waitcnt lgkmcnt(0)
	v_lshrrev_b16 v207, 8, v205
	v_bfe_i32 v206, v205, 0, 8
	v_dot4c_i32_i8 v218, v171, v7
	v_dot4c_i32_i8 v219, v175, v3
	v_bfe_i32 v207, v207, 0, 8
	v_dot4c_i32_i8 v218, v172, v8
	v_dot4c_i32_i8 v219, v176, v4
	v_mul_lo_u32 v205, v208, v207
	v_dot4c_i32_i8 v218, v173, v9
	v_dot4c_i32_i8 v219, v177, v5
	v_mad_u64_u32 v[204:205], null, v204, v206, v[205:206]
	v_mul_lo_u32 v208, v218, v206
	v_mul_f32_e32 v205, v178, v45
	v_cvt_f32_i32_e32 v204, v204
	v_mad_u64_u32 v[218:219], null, v219, v207, v[208:209]
	v_mul_f32_e32 v208, v178, v46
	v_fmac_f32_e32 v10, v205, v204
	ds_read_u16 v204, v209 offset:2
	v_mov_b32_e32 v205, 0
	v_cvt_f32_i32_e32 v218, v218
	v_dot4c_i32_i8 v205, v179, v6
	v_fma_f32 v11, v208, v218, v11
	v_mov_b32_e32 v218, 0
	v_dot4c_i32_i8 v205, v180, v7
	v_dot4c_i32_i8 v218, v183, v2
	;; [unrolled: 1-line block ×3, first 2 shown]
	s_waitcnt lgkmcnt(0)
	v_lshrrev_b16 v209, 8, v204
	v_dot4c_i32_i8 v218, v184, v3
	v_dot4c_i32_i8 v205, v182, v9
	v_bfe_i32 v208, v204, 0, 8
	v_bfe_i32 v209, v209, 0, 8
	v_dot4c_i32_i8 v218, v185, v4
	v_mul_lo_u32 v205, v205, v208
	v_mul_lo_u32 v204, v211, v209
	v_dot4c_i32_i8 v218, v187, v5
	v_mad_u64_u32 v[218:219], null, v218, v209, v[205:206]
                                        ; kill: def $vgpr205 killed $sgpr0 killed $exec
	v_mad_u64_u32 v[204:205], null, v210, v208, v[204:205]
	v_mul_f32_e32 v205, v186, v45
	v_mul_f32_e32 v210, v186, v46
	v_cvt_f32_i32_e32 v211, v218
	v_mov_b32_e32 v218, 0
	v_cvt_f32_i32_e32 v204, v204
	v_fma_f32 v40, v210, v211, v40
	v_dot4c_i32_i8 v218, v192, v2
	v_fmac_f32_e32 v39, v205, v204
	v_mov_b32_e32 v205, 0
	ds_read_u16 v204, v213 offset:2
	v_dot4c_i32_i8 v218, v193, v3
	v_dot4c_i32_i8 v205, v188, v6
	;; [unrolled: 1-line block ×7, first 2 shown]
	s_waitcnt lgkmcnt(0)
	v_bfe_i32 v210, v204, 0, 8
	v_lshrrev_b16 v211, 8, v204
	v_mul_lo_u32 v205, v205, v210
	v_bfe_i32 v211, v211, 0, 8
	v_mul_lo_u32 v204, v214, v211
	v_mad_u64_u32 v[213:214], null, v218, v211, v[205:206]
                                        ; kill: def $vgpr205 killed $sgpr0 killed $exec
	v_mov_b32_e32 v214, 0
	v_mad_u64_u32 v[204:205], null, v212, v210, v[204:205]
	v_mul_f32_e32 v212, v195, v46
	v_cvt_f32_i32_e32 v213, v213
	v_mul_f32_e32 v205, v195, v45
	v_fma_f32 v42, v212, v213, v42
	v_mov_b32_e32 v212, 0
	v_cvt_f32_i32_e32 v204, v204
	v_mov_b32_e32 v213, 0
	v_dot4c_i32_i8 v212, v200, v6
	v_mov_b32_e32 v6, 0
	v_fmac_f32_e32 v41, v205, v204
	v_dot4c_i32_i8 v212, v201, v7
	v_dot4c_i32_i8 v6, v197, v2
	ds_read_u16 v2, v216 offset:2
	v_mov_b32_e32 v216, 0
	v_dot4c_i32_i8 v212, v202, v8
	v_dot4c_i32_i8 v6, v48, v3
	;; [unrolled: 1-line block ×4, first 2 shown]
                                        ; kill: def $vgpr4 killed $sgpr0 killed $exec
	v_dot4c_i32_i8 v6, v199, v5
	s_waitcnt lgkmcnt(0)
	v_lshrrev_b16 v3, 8, v2
	v_bfe_i32 v204, v2, 0, 8
	v_bfe_i32 v205, v3, 0, 8
	v_mul_lo_u32 v3, v212, v204
	v_mov_b32_e32 v212, 0
	v_mul_lo_u32 v2, v217, v205
	v_mad_u64_u32 v[3:4], null, v6, v205, v[3:4]
	v_mad_u64_u32 v[4:5], null, v215, v204, v[2:3]
	v_mul_f32_e32 v2, v47, v45
	v_mul_f32_e32 v5, v47, v46
	v_cvt_f32_i32_e32 v3, v3
	v_mov_b32_e32 v215, 0
	v_cvt_f32_i32_e32 v4, v4
	v_fma_f32 v44, v5, v3, v44
	v_fmac_f32_e32 v43, v2, v4
	ds_read2_b32 v[45:46], v169 offset0:64 offset1:96
	ds_read_b128 v[6:9], v168 offset:2048
	ds_read_b128 v[2:5], v168 offset:2064
	s_waitcnt lgkmcnt(1)
	v_dot4c_i32_i8 v213, v170, v6
	v_dot4c_i32_i8 v214, v179, v6
	;; [unrolled: 1-line block ×4, first 2 shown]
	v_mov_b32_e32 v6, 0
	s_waitcnt lgkmcnt(0)
	v_dot4c_i32_i8 v221, v174, v2
	v_dot4c_i32_i8 v223, v183, v2
	;; [unrolled: 1-line block ×20, first 2 shown]
	ds_read_b128 v[217:220], v168 offset:3072
	ds_read_b128 v[2:5], v168 offset:3088
	v_dot4c_i32_i8 v213, v172, v8
	v_dot4c_i32_i8 v214, v181, v8
	;; [unrolled: 1-line block ×4, first 2 shown]
	v_mov_b32_e32 v8, 0
	v_dot4c_i32_i8 v213, v173, v9
	v_dot4c_i32_i8 v214, v182, v9
	;; [unrolled: 1-line block ×4, first 2 shown]
	v_mov_b32_e32 v9, 0
	v_mul_lo_u32 v7, v221, v207
	s_waitcnt lgkmcnt(1)
	v_dot4c_i32_i8 v8, v170, v217
	s_waitcnt lgkmcnt(0)
	v_dot4c_i32_i8 v9, v174, v2
	v_dot4c_i32_i8 v8, v171, v218
	;; [unrolled: 1-line block ×7, first 2 shown]
	v_mul_lo_u32 v8, v8, v206
	v_mad_u64_u32 v[8:9], null, v9, v207, v[8:9]
	v_mul_f32_e32 v9, v178, v46
	v_mad_u64_u32 v[221:222], null, v213, v206, v[7:8]
	v_cvt_f32_i32_e32 v8, v8
	v_mul_f32_e32 v7, v178, v45
	v_mov_b32_e32 v222, 0
	v_fma_f32 v36, v9, v8, v36
	v_mov_b32_e32 v8, 0
	v_mov_b32_e32 v9, 0
	v_cvt_f32_i32_e32 v213, v221
	v_mov_b32_e32 v221, 0
	v_dot4c_i32_i8 v8, v179, v217
	v_dot4c_i32_i8 v9, v183, v2
	v_fmac_f32_e32 v35, v7, v213
	v_mul_lo_u32 v7, v223, v209
	v_dot4c_i32_i8 v8, v180, v218
	v_dot4c_i32_i8 v9, v184, v3
	;; [unrolled: 1-line block ×6, first 2 shown]
	v_mul_lo_u32 v8, v8, v208
	v_mad_u64_u32 v[8:9], null, v9, v209, v[8:9]
	v_mul_f32_e32 v9, v186, v46
	v_mad_u64_u32 v[213:214], null, v214, v208, v[7:8]
	v_cvt_f32_i32_e32 v8, v8
	v_mul_f32_e32 v7, v186, v45
	v_fma_f32 v38, v9, v8, v38
	v_mov_b32_e32 v8, 0
	v_mov_b32_e32 v9, 0
	v_cvt_f32_i32_e32 v213, v213
	v_dot4c_i32_i8 v8, v188, v217
	v_dot4c_i32_i8 v9, v192, v2
	v_fmac_f32_e32 v37, v7, v213
	v_mul_lo_u32 v7, v216, v211
	v_mov_b32_e32 v216, 0
	v_dot4c_i32_i8 v8, v189, v218
	v_dot4c_i32_i8 v9, v193, v3
	;; [unrolled: 1-line block ×6, first 2 shown]
	v_mul_lo_u32 v8, v8, v210
	v_mad_u64_u32 v[8:9], null, v9, v211, v[8:9]
	v_mul_f32_e32 v9, v195, v46
	v_mad_u64_u32 v[213:214], null, v215, v210, v[7:8]
	v_mul_f32_e32 v7, v195, v45
	v_cvt_f32_i32_e32 v8, v8
	v_cvt_f32_i32_e32 v213, v213
	v_fma_f32 v32, v9, v8, v32
	v_mov_b32_e32 v8, 0
	v_mov_b32_e32 v9, 0
	v_fmac_f32_e32 v31, v7, v213
	v_mov_b32_e32 v7, 0
	v_dot4c_i32_i8 v8, v197, v2
	v_mul_lo_u32 v2, v6, v205
	v_dot4c_i32_i8 v7, v200, v217
	v_dot4c_i32_i8 v8, v48, v3
	v_mov_b32_e32 v217, 0
	v_dot4c_i32_i8 v7, v201, v218
	v_dot4c_i32_i8 v8, v198, v4
                                        ; kill: def $vgpr4 killed $sgpr0 killed $exec
	v_mov_b32_e32 v218, 0
	v_dot4c_i32_i8 v7, v202, v219
	v_dot4c_i32_i8 v8, v199, v5
	v_mov_b32_e32 v219, 0
	v_dot4c_i32_i8 v7, v203, v220
	v_mov_b32_e32 v220, 0
	v_mul_lo_u32 v3, v7, v204
	v_mad_u64_u32 v[3:4], null, v8, v205, v[3:4]
	v_mov_b32_e32 v8, 0
	v_mad_u64_u32 v[4:5], null, v212, v204, v[2:3]
	v_mul_f32_e32 v2, v47, v45
	v_mul_f32_e32 v5, v47, v46
	v_cvt_f32_i32_e32 v3, v3
	v_mov_b32_e32 v45, 0
	v_cvt_f32_i32_e32 v4, v4
	v_fma_f32 v34, v5, v3, v34
	v_fmac_f32_e32 v33, v2, v4
	ds_read2_b32 v[2:3], v169 offset0:128 offset1:160
	ds_read_b128 v[4:7], v168 offset:4096
	ds_read_b128 v[212:215], v168 offset:4112
	s_waitcnt lgkmcnt(1)
	v_dot4c_i32_i8 v216, v170, v4
	s_waitcnt lgkmcnt(0)
	v_dot4c_i32_i8 v8, v174, v212
	v_dot4c_i32_i8 v217, v179, v4
	;; [unrolled: 1-line block ×31, first 2 shown]
	ds_read_b128 v[4:7], v168 offset:5120
	ds_read_b128 v[212:215], v168 offset:5136
	v_mul_lo_u32 v8, v8, v207
	s_waitcnt lgkmcnt(1)
	v_dot4c_i32_i8 v9, v170, v4
	s_waitcnt lgkmcnt(0)
	v_dot4c_i32_i8 v45, v174, v212
	v_dot4c_i32_i8 v9, v171, v5
	;; [unrolled: 1-line block ×7, first 2 shown]
	v_mul_lo_u32 v9, v9, v206
	v_mad_u64_u32 v[45:46], null, v45, v207, v[9:10]
                                        ; kill: def $vgpr9 killed $sgpr0 killed $exec
	v_mul_f32_e32 v46, v178, v3
	v_mad_u64_u32 v[8:9], null, v216, v206, v[8:9]
	v_mul_f32_e32 v9, v178, v2
	v_mov_b32_e32 v216, 0
	v_cvt_f32_i32_e32 v45, v45
	v_cvt_f32_i32_e32 v8, v8
	v_fma_f32 v26, v46, v45, v26
	v_mov_b32_e32 v45, 0
	v_fmac_f32_e32 v25, v9, v8
	v_mov_b32_e32 v9, 0
	v_mul_lo_u32 v8, v218, v209
	v_dot4c_i32_i8 v45, v183, v212
	v_mov_b32_e32 v218, 0
	v_dot4c_i32_i8 v9, v179, v4
	v_dot4c_i32_i8 v45, v184, v213
	;; [unrolled: 1-line block ×7, first 2 shown]
	v_mul_lo_u32 v9, v9, v208
	v_mad_u64_u32 v[45:46], null, v45, v209, v[9:10]
                                        ; kill: def $vgpr9 killed $sgpr0 killed $exec
	v_mul_f32_e32 v46, v186, v3
	v_mad_u64_u32 v[8:9], null, v217, v208, v[8:9]
	v_mul_f32_e32 v9, v186, v2
	v_mov_b32_e32 v217, 0
	v_cvt_f32_i32_e32 v45, v45
	v_cvt_f32_i32_e32 v8, v8
	v_fma_f32 v28, v46, v45, v28
	v_mov_b32_e32 v45, 0
	v_fmac_f32_e32 v27, v9, v8
	v_mov_b32_e32 v9, 0
	v_mul_lo_u32 v8, v220, v211
	v_dot4c_i32_i8 v45, v192, v212
	v_mov_b32_e32 v220, 0
	v_dot4c_i32_i8 v9, v188, v4
	v_dot4c_i32_i8 v45, v193, v213
	;; [unrolled: 1-line block ×7, first 2 shown]
	v_mul_lo_u32 v9, v9, v210
	v_mad_u64_u32 v[45:46], null, v45, v211, v[9:10]
                                        ; kill: def $vgpr9 killed $sgpr0 killed $exec
	v_mul_f32_e32 v46, v195, v3
	v_mad_u64_u32 v[8:9], null, v219, v210, v[8:9]
	v_mul_f32_e32 v9, v195, v2
	v_mul_f32_e32 v2, v47, v2
	;; [unrolled: 1-line block ×3, first 2 shown]
	v_cvt_f32_i32_e32 v45, v45
	v_mov_b32_e32 v219, 0
	v_cvt_f32_i32_e32 v8, v8
	v_fma_f32 v30, v46, v45, v30
	v_mov_b32_e32 v45, 0
	v_mov_b32_e32 v46, 0
	v_fmac_f32_e32 v29, v9, v8
	v_mov_b32_e32 v8, 0
	v_mov_b32_e32 v9, 0
	v_dot4c_i32_i8 v8, v200, v4
	v_mul_lo_u32 v4, v222, v205
	v_dot4c_i32_i8 v8, v201, v5
	v_dot4c_i32_i8 v8, v202, v6
	v_mov_b32_e32 v6, 0
	v_dot4c_i32_i8 v8, v203, v7
	v_dot4c_i32_i8 v6, v197, v212
	v_mul_lo_u32 v5, v8, v204
	v_dot4c_i32_i8 v6, v48, v213
	v_mov_b32_e32 v8, 0
	v_dot4c_i32_i8 v6, v198, v214
	v_dot4c_i32_i8 v6, v199, v215
	v_mad_u64_u32 v[5:6], null, v6, v205, v[5:6]
	v_mad_u64_u32 v[6:7], null, v221, v204, v[4:5]
	v_cvt_f32_i32_e32 v5, v5
	v_fma_f32 v24, v3, v5, v24
	v_cvt_f32_i32_e32 v4, v6
	v_fmac_f32_e32 v23, v2, v4
	ds_read2_b32 v[6:7], v169 offset0:192 offset1:224
	ds_read_b128 v[2:5], v168 offset:6144
	ds_read_b128 v[212:215], v168 offset:6160
	v_add_nc_u32_e32 v169, 4, v169
	s_waitcnt lgkmcnt(1)
	v_dot4c_i32_i8 v216, v170, v2
	s_waitcnt lgkmcnt(0)
	v_dot4c_i32_i8 v45, v174, v212
	v_dot4c_i32_i8 v217, v179, v2
	;; [unrolled: 1-line block ×31, first 2 shown]
	ds_read_b128 v[212:215], v168 offset:7168
	ds_read_b128 v[2:5], v168 offset:7184
	v_mul_lo_u32 v45, v45, v207
	v_add_nc_u32_e32 v168, 32, v168
	s_waitcnt lgkmcnt(1)
	v_dot4c_i32_i8 v46, v170, v212
	v_mov_b32_e32 v170, 0
	v_dot4c_i32_i8 v46, v171, v213
	s_waitcnt lgkmcnt(0)
	v_dot4c_i32_i8 v170, v174, v2
	v_dot4c_i32_i8 v46, v172, v214
	;; [unrolled: 1-line block ×5, first 2 shown]
	v_mul_lo_u32 v46, v46, v206
	v_dot4c_i32_i8 v170, v177, v5
	v_mad_u64_u32 v[170:171], null, v170, v207, v[46:47]
                                        ; kill: def $vgpr46 killed $sgpr0 killed $exec
	v_mul_f32_e32 v171, v178, v7
	v_mad_u64_u32 v[45:46], null, v216, v206, v[45:46]
	v_mul_f32_e32 v46, v178, v6
	v_cvt_f32_i32_e32 v170, v170
	v_cvt_f32_i32_e32 v45, v45
	v_fma_f32 v14, v171, v170, v14
	v_mov_b32_e32 v170, 0
	v_fmac_f32_e32 v13, v46, v45
	v_mov_b32_e32 v46, 0
	v_mul_lo_u32 v45, v218, v209
	v_dot4c_i32_i8 v170, v183, v2
	v_dot4c_i32_i8 v46, v179, v212
	;; [unrolled: 1-line block ×8, first 2 shown]
	v_mul_lo_u32 v46, v46, v208
	v_mad_u64_u32 v[170:171], null, v170, v209, v[46:47]
                                        ; kill: def $vgpr46 killed $sgpr0 killed $exec
	v_mul_f32_e32 v171, v186, v7
	v_mad_u64_u32 v[45:46], null, v217, v208, v[45:46]
	v_mul_f32_e32 v46, v186, v6
	v_cvt_f32_i32_e32 v170, v170
	v_cvt_f32_i32_e32 v45, v45
	v_fma_f32 v16, v171, v170, v16
	v_mov_b32_e32 v170, 0
	v_fmac_f32_e32 v15, v46, v45
	v_mov_b32_e32 v46, 0
	v_mul_lo_u32 v45, v220, v211
	v_dot4c_i32_i8 v170, v192, v2
	v_dot4c_i32_i8 v46, v188, v212
	;; [unrolled: 1-line block ×8, first 2 shown]
	v_mul_lo_u32 v46, v46, v210
	v_mad_u64_u32 v[170:171], null, v170, v211, v[46:47]
                                        ; kill: def $vgpr46 killed $sgpr0 killed $exec
	v_mul_f32_e32 v171, v195, v7
	v_mad_u64_u32 v[45:46], null, v219, v210, v[45:46]
	v_mul_f32_e32 v46, v195, v6
	v_cvt_f32_i32_e32 v170, v170
	v_cvt_f32_i32_e32 v45, v45
	v_fma_f32 v18, v171, v170, v18
	v_fmac_f32_e32 v17, v46, v45
	v_mov_b32_e32 v45, 0
	v_mov_b32_e32 v46, 0
	v_dot4c_i32_i8 v45, v200, v212
	v_dot4c_i32_i8 v46, v197, v2
	;; [unrolled: 1-line block ×4, first 2 shown]
                                        ; kill: def $vgpr3 killed $sgpr0 killed $exec
	v_dot4c_i32_i8 v45, v202, v214
	v_dot4c_i32_i8 v46, v198, v4
	v_mul_lo_u32 v4, v9, v205
	v_dot4c_i32_i8 v45, v203, v215
	v_dot4c_i32_i8 v46, v199, v5
	v_mul_lo_u32 v2, v45, v204
	v_mad_u64_u32 v[2:3], null, v46, v205, v[2:3]
	v_mad_u64_u32 v[3:4], null, v8, v204, v[4:5]
	v_mul_f32_e32 v4, v47, v6
	v_mul_f32_e32 v5, v47, v7
	v_cvt_f32_i32_e32 v2, v2
	v_cvt_f32_i32_e32 v3, v3
	v_fma_f32 v20, v5, v2, v20
	v_fmac_f32_e32 v19, v4, v3
	s_cbranch_scc1 .LBB149_7
; %bb.8:                                ;   in Loop: Header=BB149_6 Depth=1
	v_add_nc_u32_e32 v168, s0, v125
	v_add_nc_u32_e32 v47, 4, v167
	s_barrier
	buffer_gl0_inv
	v_add_nc_u32_e32 v2, v168, v109
	v_add_nc_u32_e32 v4, v168, v110
	;; [unrolled: 1-line block ×5, first 2 shown]
	v_mad_u64_u32 v[47:48], null, v47, 36, s[2:3]
	v_mad_i64_i32 v[2:3], null, v2, 36, v[21:22]
	v_add_nc_u32_e32 v169, v168, v114
	v_mad_i64_i32 v[4:5], null, v4, 36, v[21:22]
	v_add_nc_u32_e32 v170, v168, v115
	;; [unrolled: 2-line block ×3, first 2 shown]
	v_mad_i64_i32 v[8:9], null, v8, 36, v[21:22]
	v_mad_i64_i32 v[45:46], null, v45, 36, v[21:22]
	;; [unrolled: 1-line block ×5, first 2 shown]
	s_clause 0x8
	global_load_dword v47, v[47:48], off
	global_load_dword v2, v[2:3], off offset:4
	global_load_dword v3, v[4:5], off offset:4
	;; [unrolled: 1-line block ×8, first 2 shown]
	v_mov_b32_e32 v168, v137
	v_mov_b32_e32 v169, v136
	s_mov_b32 s1, 4
	s_mov_b32 s14, 8
	;; [unrolled: 1-line block ×3, first 2 shown]
	s_waitcnt vmcnt(8)
	v_cvt_f32_f16_e32 v45, v47
	s_waitcnt vmcnt(7)
	ds_write_b32 v150, v2
	s_waitcnt vmcnt(6)
	ds_write_b32 v151, v3
	;; [unrolled: 2-line block ×8, first 2 shown]
	ds_write_b32 v108, v45
	s_waitcnt lgkmcnt(0)
	s_barrier
	buffer_gl0_inv
.LBB149_9:                              ;   Parent Loop BB149_6 Depth=1
                                        ; =>  This Inner Loop Header: Depth=2
	s_add_i32 s15, s17, 2
	ds_read2_b32 v[45:46], v169 offset1:32
	ds_read_b128 v[6:9], v168
	ds_read_b128 v[2:5], v168 offset:16
	s_lshr_b32 s20, s15, 4
	s_and_b32 s19, s15, 0x3ffffff8
	s_add_i32 s16, s17, -6
	v_lshl_add_u32 v198, s19, 2, v117
	s_lshl_b32 s19, s20, 5
	s_and_b32 s18, s14, -16
	s_addk_i32 s19, 0x4200
	s_add_i32 s17, s17, s18
	v_add3_u32 v176, s19, v164, v118
	ds_read2_b32 v[47:48], v198 offset1:1
	s_lshl_b32 s18, s20, 2
	v_add3_u32 v184, s19, v158, v119
	s_add_i32 s18, s18, 0x9380
	ds_read2_b32 v[170:171], v176 offset1:1
	v_add3_u32 v194, s19, v160, v121
	v_add3_u32 v206, s19, v162, v123
	v_mov_b32_e32 v204, 0
	v_mov_b32_e32 v207, 0
	v_mov_b32_e32 v208, 0
	v_mov_b32_e32 v210, 0
	v_mov_b32_e32 v211, 0
	v_mov_b32_e32 v213, 0
	v_add_nc_u32_e32 v205, s17, v128
	v_add_nc_u32_e32 v209, s17, v129
	;; [unrolled: 1-line block ×3, first 2 shown]
	v_mov_b32_e32 v220, 0
	v_mov_b32_e32 v221, 0
	;; [unrolled: 1-line block ×3, first 2 shown]
	s_add_i32 s14, s14, 2
	s_waitcnt lgkmcnt(1)
	v_ashrrev_i32_e32 v47, s16, v47
	s_waitcnt lgkmcnt(0)
	v_ashrrev_i32_e32 v170, s1, v170
	v_and_b32_e32 v172, 0x3030303, v47
	v_bfe_u32 v47, v47, 24, 2
	v_ashrrev_i32_e32 v171, s1, v171
	v_lshlrev_b32_e32 v170, 2, v170
	v_lshrrev_b16 v174, 8, v172
	v_lshrrev_b32_e32 v173, 16, v172
	v_lshlrev_b32_e32 v171, 2, v171
	v_and_b32_e32 v170, 0x4040404, v170
	v_and_b32_e32 v171, 0x4040404, v171
	v_lshrrev_b16 v178, 8, v170
	v_lshrrev_b32_e32 v175, 16, v170
	v_lshrrev_b32_e32 v177, 24, v170
	v_sub_nc_u16 v170, v172, v170
	v_sub_nc_u16 v172, v174, v178
	v_lshrrev_b32_e32 v174, 16, v171
	v_sub_nc_u16 v47, v47, v177
	v_lshrrev_b16 v177, 8, v171
	v_lshlrev_b16 v172, 8, v172
	v_lshlrev_b16 v47, 8, v47
	v_or_b32_sdwa v170, v170, v172 dst_sel:DWORD dst_unused:UNUSED_PAD src0_sel:BYTE_0 src1_sel:DWORD
	v_sub_nc_u16 v172, v173, v175
	v_lshrrev_b32_e32 v175, 24, v171
	v_or_b32_sdwa v47, v172, v47 dst_sel:WORD_1 dst_unused:UNUSED_PAD src0_sel:BYTE_0 src1_sel:DWORD
	v_or_b32_sdwa v170, v170, v47 dst_sel:DWORD dst_unused:UNUSED_PAD src0_sel:WORD_0 src1_sel:DWORD
	v_ashrrev_i32_e32 v47, s16, v48
	v_dot4c_i32_i8 v204, v170, v6
	v_and_b32_e32 v48, 0x3030303, v47
	v_bfe_u32 v47, v47, 24, 2
	v_lshrrev_b16 v173, 8, v48
	v_lshrrev_b32_e32 v172, 16, v48
	v_sub_nc_u16 v48, v48, v171
	v_sub_nc_u16 v47, v47, v175
	v_sub_nc_u16 v171, v173, v177
	v_lshlrev_b16 v47, 8, v47
	v_lshlrev_b16 v171, 8, v171
	v_or_b32_sdwa v48, v48, v171 dst_sel:DWORD dst_unused:UNUSED_PAD src0_sel:BYTE_0 src1_sel:DWORD
	v_sub_nc_u16 v171, v172, v174
	ds_read2_b32 v[172:173], v176 offset0:2 offset1:3
	v_or_b32_sdwa v47, v171, v47 dst_sel:WORD_1 dst_unused:UNUSED_PAD src0_sel:BYTE_0 src1_sel:DWORD
	v_or_b32_sdwa v171, v48, v47 dst_sel:DWORD dst_unused:UNUSED_PAD src0_sel:WORD_0 src1_sel:DWORD
	ds_read2_b32 v[47:48], v198 offset0:2 offset1:3
	v_dot4c_i32_i8 v204, v171, v7
	s_waitcnt lgkmcnt(1)
	v_ashrrev_i32_e32 v172, s1, v172
	v_ashrrev_i32_e32 v173, s1, v173
	v_lshlrev_b32_e32 v172, 2, v172
	v_lshlrev_b32_e32 v173, 2, v173
	s_waitcnt lgkmcnt(0)
	v_ashrrev_i32_e32 v47, s16, v47
	v_and_b32_e32 v172, 0x4040404, v172
	v_and_b32_e32 v173, 0x4040404, v173
	v_and_b32_e32 v174, 0x3030303, v47
	v_bfe_u32 v47, v47, 24, 2
	v_lshrrev_b16 v180, 8, v172
	v_lshrrev_b32_e32 v178, 16, v172
	v_lshrrev_b32_e32 v179, 24, v172
	v_lshrrev_b16 v177, 8, v174
	v_lshrrev_b32_e32 v175, 16, v174
	v_sub_nc_u16 v172, v174, v172
	v_sub_nc_u16 v47, v47, v179
	v_sub_nc_u16 v174, v177, v180
	v_lshrrev_b16 v179, 8, v173
	v_lshrrev_b32_e32 v177, 16, v173
	v_lshlrev_b16 v47, 8, v47
	v_lshlrev_b16 v174, 8, v174
	v_or_b32_sdwa v172, v172, v174 dst_sel:DWORD dst_unused:UNUSED_PAD src0_sel:BYTE_0 src1_sel:DWORD
	v_sub_nc_u16 v174, v175, v178
	v_lshrrev_b32_e32 v178, 24, v173
	v_or_b32_sdwa v47, v174, v47 dst_sel:WORD_1 dst_unused:UNUSED_PAD src0_sel:BYTE_0 src1_sel:DWORD
	v_or_b32_sdwa v172, v172, v47 dst_sel:DWORD dst_unused:UNUSED_PAD src0_sel:WORD_0 src1_sel:DWORD
	v_ashrrev_i32_e32 v47, s16, v48
	v_dot4c_i32_i8 v204, v172, v8
	v_and_b32_e32 v48, 0x3030303, v47
	v_bfe_u32 v47, v47, 24, 2
	v_lshrrev_b16 v175, 8, v48
	v_lshrrev_b32_e32 v174, 16, v48
	v_sub_nc_u16 v48, v48, v173
	v_sub_nc_u16 v47, v47, v178
	v_sub_nc_u16 v173, v175, v179
	v_lshlrev_b16 v47, 8, v47
	v_lshlrev_b16 v173, 8, v173
	v_or_b32_sdwa v48, v48, v173 dst_sel:DWORD dst_unused:UNUSED_PAD src0_sel:BYTE_0 src1_sel:DWORD
	v_sub_nc_u16 v173, v174, v177
	ds_read2_b32 v[174:175], v176 offset0:4 offset1:5
	v_or_b32_sdwa v47, v173, v47 dst_sel:WORD_1 dst_unused:UNUSED_PAD src0_sel:BYTE_0 src1_sel:DWORD
	v_or_b32_sdwa v173, v48, v47 dst_sel:DWORD dst_unused:UNUSED_PAD src0_sel:WORD_0 src1_sel:DWORD
	ds_read2_b32 v[47:48], v198 offset0:4 offset1:5
	v_dot4c_i32_i8 v204, v173, v9
	s_waitcnt lgkmcnt(1)
	v_ashrrev_i32_e32 v174, s1, v174
	v_ashrrev_i32_e32 v175, s1, v175
	v_lshlrev_b32_e32 v174, 2, v174
	v_lshlrev_b32_e32 v175, 2, v175
	s_waitcnt lgkmcnt(0)
	v_ashrrev_i32_e32 v47, s16, v47
	v_and_b32_e32 v174, 0x4040404, v174
	v_and_b32_e32 v175, 0x4040404, v175
	v_and_b32_e32 v177, 0x3030303, v47
	v_bfe_u32 v47, v47, 24, 2
	v_lshrrev_b16 v182, 8, v174
	v_lshrrev_b32_e32 v180, 16, v174
	v_lshrrev_b32_e32 v181, 24, v174
	v_lshrrev_b16 v179, 8, v177
	v_lshrrev_b32_e32 v178, 16, v177
	v_sub_nc_u16 v174, v177, v174
	v_sub_nc_u16 v47, v47, v181
	v_sub_nc_u16 v177, v179, v182
	v_lshrrev_b16 v181, 8, v175
	v_lshrrev_b32_e32 v179, 16, v175
	;; [unrolled: 46-line block ×3, first 2 shown]
	v_lshlrev_b16 v47, 8, v47
	v_lshlrev_b16 v178, 8, v178
	v_or_b32_sdwa v176, v176, v178 dst_sel:DWORD dst_unused:UNUSED_PAD src0_sel:BYTE_0 src1_sel:DWORD
	v_sub_nc_u16 v178, v179, v181
	v_lshrrev_b32_e32 v181, 24, v177
	v_or_b32_sdwa v47, v178, v47 dst_sel:WORD_1 dst_unused:UNUSED_PAD src0_sel:BYTE_0 src1_sel:DWORD
	v_or_b32_sdwa v176, v176, v47 dst_sel:DWORD dst_unused:UNUSED_PAD src0_sel:WORD_0 src1_sel:DWORD
	v_ashrrev_i32_e32 v47, s16, v48
	v_dot4c_i32_i8 v207, v176, v4
	v_and_b32_e32 v48, 0x3030303, v47
	v_bfe_u32 v47, v47, 24, 2
	v_lshrrev_b16 v179, 8, v48
	v_lshrrev_b32_e32 v178, 16, v48
	v_sub_nc_u16 v48, v48, v177
	v_sub_nc_u16 v47, v47, v181
	;; [unrolled: 1-line block ×3, first 2 shown]
	v_lshlrev_b16 v47, 8, v47
	v_lshlrev_b16 v177, 8, v177
	v_or_b32_sdwa v48, v48, v177 dst_sel:DWORD dst_unused:UNUSED_PAD src0_sel:BYTE_0 src1_sel:DWORD
	v_sub_nc_u16 v177, v178, v180
	ds_read2_b32 v[179:180], v184 offset1:1
	v_or_b32_sdwa v47, v177, v47 dst_sel:WORD_1 dst_unused:UNUSED_PAD src0_sel:BYTE_0 src1_sel:DWORD
	v_or_b32_sdwa v178, v48, v47 dst_sel:DWORD dst_unused:UNUSED_PAD src0_sel:WORD_0 src1_sel:DWORD
	v_add3_u32 v47, s18, v165, v166
	v_dot4c_i32_i8 v207, v178, v5
	ds_read_b32 v177, v47
	v_add_nc_u32_e32 v47, 0x1080, v198
	s_waitcnt lgkmcnt(1)
	v_ashrrev_i32_e32 v179, s1, v179
	ds_read2_b32 v[47:48], v47 offset1:1
	v_ashrrev_i32_e32 v180, s1, v180
	v_lshlrev_b32_e32 v179, 2, v179
	v_lshlrev_b32_e32 v180, 2, v180
	v_and_b32_e32 v179, 0x4040404, v179
	v_and_b32_e32 v180, 0x4040404, v180
	v_lshrrev_b16 v187, 8, v179
	v_lshrrev_b32_e32 v185, 16, v179
	v_lshrrev_b32_e32 v186, 24, v179
	s_waitcnt lgkmcnt(0)
	v_ashrrev_i32_e32 v47, s16, v47
	v_and_b32_e32 v181, 0x3030303, v47
	v_bfe_u32 v47, v47, 24, 2
	v_lshrrev_b16 v183, 8, v181
	v_lshrrev_b32_e32 v182, 16, v181
	v_sub_nc_u16 v179, v181, v179
	v_sub_nc_u16 v47, v47, v186
	v_lshrrev_b16 v186, 8, v180
	v_sub_nc_u16 v181, v183, v187
	v_lshrrev_b32_e32 v183, 16, v180
	v_lshlrev_b16 v47, 8, v47
	v_lshlrev_b16 v181, 8, v181
	v_or_b32_sdwa v179, v179, v181 dst_sel:DWORD dst_unused:UNUSED_PAD src0_sel:BYTE_0 src1_sel:DWORD
	v_sub_nc_u16 v181, v182, v185
	v_lshrrev_b32_e32 v185, 24, v180
	v_or_b32_sdwa v47, v181, v47 dst_sel:WORD_1 dst_unused:UNUSED_PAD src0_sel:BYTE_0 src1_sel:DWORD
	v_or_b32_sdwa v181, v179, v47 dst_sel:DWORD dst_unused:UNUSED_PAD src0_sel:WORD_0 src1_sel:DWORD
	v_ashrrev_i32_e32 v47, s16, v48
	v_dot4c_i32_i8 v208, v181, v6
	v_and_b32_e32 v48, 0x3030303, v47
	v_bfe_u32 v47, v47, 24, 2
	v_lshrrev_b16 v182, 8, v48
	v_lshrrev_b32_e32 v179, 16, v48
	v_sub_nc_u16 v48, v48, v180
	v_sub_nc_u16 v47, v47, v185
	;; [unrolled: 1-line block ×4, first 2 shown]
	v_lshlrev_b16 v47, 8, v47
	v_lshlrev_b16 v180, 8, v180
	v_or_b32_sdwa v47, v179, v47 dst_sel:WORD_1 dst_unused:UNUSED_PAD src0_sel:BYTE_0 src1_sel:DWORD
	v_or_b32_sdwa v48, v48, v180 dst_sel:DWORD dst_unused:UNUSED_PAD src0_sel:BYTE_0 src1_sel:DWORD
	ds_read2_b32 v[179:180], v184 offset0:2 offset1:3
	v_or_b32_sdwa v182, v48, v47 dst_sel:DWORD dst_unused:UNUSED_PAD src0_sel:WORD_0 src1_sel:DWORD
	v_add_nc_u32_e32 v47, 0x1088, v198
	v_dot4c_i32_i8 v208, v182, v7
	ds_read2_b32 v[47:48], v47 offset1:1
	s_waitcnt lgkmcnt(1)
	v_ashrrev_i32_e32 v179, s1, v179
	v_ashrrev_i32_e32 v180, s1, v180
	v_lshlrev_b32_e32 v179, 2, v179
	v_lshlrev_b32_e32 v180, 2, v180
	s_waitcnt lgkmcnt(0)
	v_ashrrev_i32_e32 v47, s16, v47
	v_and_b32_e32 v179, 0x4040404, v179
	v_and_b32_e32 v180, 0x4040404, v180
	;; [unrolled: 1-line block ×3, first 2 shown]
	v_bfe_u32 v47, v47, 24, 2
	v_lshrrev_b16 v189, 8, v179
	v_lshrrev_b32_e32 v187, 16, v179
	v_lshrrev_b32_e32 v188, 24, v179
	v_lshrrev_b16 v186, 8, v183
	v_lshrrev_b32_e32 v185, 16, v183
	v_sub_nc_u16 v179, v183, v179
	v_sub_nc_u16 v47, v47, v188
	;; [unrolled: 1-line block ×3, first 2 shown]
	v_lshrrev_b16 v188, 8, v180
	v_lshrrev_b32_e32 v186, 16, v180
	v_lshlrev_b16 v47, 8, v47
	v_lshlrev_b16 v183, 8, v183
	v_or_b32_sdwa v179, v179, v183 dst_sel:DWORD dst_unused:UNUSED_PAD src0_sel:BYTE_0 src1_sel:DWORD
	v_sub_nc_u16 v183, v185, v187
	v_lshrrev_b32_e32 v187, 24, v180
	v_or_b32_sdwa v47, v183, v47 dst_sel:WORD_1 dst_unused:UNUSED_PAD src0_sel:BYTE_0 src1_sel:DWORD
	v_or_b32_sdwa v183, v179, v47 dst_sel:DWORD dst_unused:UNUSED_PAD src0_sel:WORD_0 src1_sel:DWORD
	v_ashrrev_i32_e32 v47, s16, v48
	v_dot4c_i32_i8 v208, v183, v8
	v_and_b32_e32 v48, 0x3030303, v47
	v_bfe_u32 v47, v47, 24, 2
	v_lshrrev_b16 v185, 8, v48
	v_lshrrev_b32_e32 v179, 16, v48
	v_sub_nc_u16 v48, v48, v180
	v_sub_nc_u16 v47, v47, v187
	;; [unrolled: 1-line block ×4, first 2 shown]
	v_lshlrev_b16 v47, 8, v47
	v_lshlrev_b16 v180, 8, v180
	v_or_b32_sdwa v47, v179, v47 dst_sel:WORD_1 dst_unused:UNUSED_PAD src0_sel:BYTE_0 src1_sel:DWORD
	v_or_b32_sdwa v48, v48, v180 dst_sel:DWORD dst_unused:UNUSED_PAD src0_sel:BYTE_0 src1_sel:DWORD
	ds_read2_b32 v[179:180], v184 offset0:4 offset1:5
	v_or_b32_sdwa v185, v48, v47 dst_sel:DWORD dst_unused:UNUSED_PAD src0_sel:WORD_0 src1_sel:DWORD
	v_add_nc_u32_e32 v47, 0x1090, v198
	v_dot4c_i32_i8 v208, v185, v9
	ds_read2_b32 v[47:48], v47 offset1:1
	s_waitcnt lgkmcnt(1)
	v_ashrrev_i32_e32 v179, s1, v179
	v_ashrrev_i32_e32 v180, s1, v180
	v_lshlrev_b32_e32 v179, 2, v179
	v_lshlrev_b32_e32 v180, 2, v180
	s_waitcnt lgkmcnt(0)
	v_ashrrev_i32_e32 v47, s16, v47
	v_and_b32_e32 v179, 0x4040404, v179
	v_and_b32_e32 v180, 0x4040404, v180
	;; [unrolled: 1-line block ×3, first 2 shown]
	v_bfe_u32 v47, v47, 24, 2
	v_lshrrev_b16 v191, 8, v179
	v_lshrrev_b32_e32 v189, 16, v179
	v_lshrrev_b32_e32 v190, 24, v179
	v_lshrrev_b16 v188, 8, v186
	v_lshrrev_b32_e32 v187, 16, v186
	v_sub_nc_u16 v179, v186, v179
	v_sub_nc_u16 v47, v47, v190
	;; [unrolled: 1-line block ×3, first 2 shown]
	v_lshrrev_b16 v190, 8, v180
	v_lshrrev_b32_e32 v188, 16, v180
	v_lshlrev_b16 v47, 8, v47
	v_lshlrev_b16 v186, 8, v186
	v_or_b32_sdwa v179, v179, v186 dst_sel:DWORD dst_unused:UNUSED_PAD src0_sel:BYTE_0 src1_sel:DWORD
	v_sub_nc_u16 v186, v187, v189
	v_lshrrev_b32_e32 v189, 24, v180
	v_or_b32_sdwa v47, v186, v47 dst_sel:WORD_1 dst_unused:UNUSED_PAD src0_sel:BYTE_0 src1_sel:DWORD
	v_or_b32_sdwa v179, v179, v47 dst_sel:DWORD dst_unused:UNUSED_PAD src0_sel:WORD_0 src1_sel:DWORD
	v_ashrrev_i32_e32 v47, s16, v48
	v_dot4c_i32_i8 v210, v179, v2
	v_and_b32_e32 v48, 0x3030303, v47
	v_bfe_u32 v47, v47, 24, 2
	v_lshrrev_b16 v187, 8, v48
	v_lshrrev_b32_e32 v186, 16, v48
	v_sub_nc_u16 v48, v48, v180
	v_sub_nc_u16 v47, v47, v189
	;; [unrolled: 1-line block ×3, first 2 shown]
	v_lshlrev_b16 v47, 8, v47
	v_lshlrev_b16 v180, 8, v180
	v_or_b32_sdwa v48, v48, v180 dst_sel:DWORD dst_unused:UNUSED_PAD src0_sel:BYTE_0 src1_sel:DWORD
	v_sub_nc_u16 v180, v186, v188
	ds_read2_b32 v[186:187], v184 offset0:6 offset1:7
	v_or_b32_sdwa v47, v180, v47 dst_sel:WORD_1 dst_unused:UNUSED_PAD src0_sel:BYTE_0 src1_sel:DWORD
	v_or_b32_sdwa v180, v48, v47 dst_sel:DWORD dst_unused:UNUSED_PAD src0_sel:WORD_0 src1_sel:DWORD
	v_add_nc_u32_e32 v47, 0x1098, v198
	v_dot4c_i32_i8 v210, v180, v3
	ds_read2_b32 v[47:48], v47 offset1:1
	s_waitcnt lgkmcnt(1)
	v_ashrrev_i32_e32 v184, s1, v186
	v_ashrrev_i32_e32 v187, s1, v187
	v_lshlrev_b32_e32 v184, 2, v184
	v_lshlrev_b32_e32 v187, 2, v187
	v_and_b32_e32 v184, 0x4040404, v184
	v_and_b32_e32 v187, 0x4040404, v187
	s_waitcnt lgkmcnt(0)
	v_ashrrev_i32_e32 v47, s16, v47
	v_lshrrev_b32_e32 v191, 24, v184
	v_lshrrev_b16 v192, 8, v184
	v_lshrrev_b32_e32 v186, 16, v184
	v_and_b32_e32 v188, 0x3030303, v47
	v_bfe_u32 v47, v47, 24, 2
	v_lshrrev_b16 v190, 8, v188
	v_lshrrev_b32_e32 v189, 16, v188
	v_sub_nc_u16 v184, v188, v184
	v_sub_nc_u16 v47, v47, v191
	v_lshrrev_b16 v191, 8, v187
	v_sub_nc_u16 v188, v190, v192
	v_sub_nc_u16 v186, v189, v186
	v_lshrrev_b32_e32 v190, 24, v187
	v_lshrrev_b32_e32 v189, 16, v187
	v_lshlrev_b16 v47, 8, v47
	v_lshlrev_b16 v188, 8, v188
	v_or_b32_sdwa v47, v186, v47 dst_sel:WORD_1 dst_unused:UNUSED_PAD src0_sel:BYTE_0 src1_sel:DWORD
	v_or_b32_sdwa v184, v184, v188 dst_sel:DWORD dst_unused:UNUSED_PAD src0_sel:BYTE_0 src1_sel:DWORD
	v_or_b32_sdwa v184, v184, v47 dst_sel:DWORD dst_unused:UNUSED_PAD src0_sel:WORD_0 src1_sel:DWORD
	v_ashrrev_i32_e32 v47, s16, v48
	v_dot4c_i32_i8 v210, v184, v4
	v_and_b32_e32 v48, 0x3030303, v47
	v_bfe_u32 v47, v47, 24, 2
	v_lshrrev_b16 v188, 8, v48
	v_lshrrev_b32_e32 v186, 16, v48
	v_sub_nc_u16 v48, v48, v187
	v_sub_nc_u16 v47, v47, v190
	;; [unrolled: 1-line block ×4, first 2 shown]
	ds_read2_b32 v[188:189], v194 offset1:1
	v_lshlrev_b16 v47, 8, v47
	v_lshlrev_b16 v187, 8, v187
	v_or_b32_sdwa v47, v186, v47 dst_sel:WORD_1 dst_unused:UNUSED_PAD src0_sel:BYTE_0 src1_sel:DWORD
	v_or_b32_sdwa v48, v48, v187 dst_sel:DWORD dst_unused:UNUSED_PAD src0_sel:BYTE_0 src1_sel:DWORD
	v_or_b32_sdwa v187, v48, v47 dst_sel:DWORD dst_unused:UNUSED_PAD src0_sel:WORD_0 src1_sel:DWORD
	v_add3_u32 v47, s18, v159, v120
	v_dot4c_i32_i8 v210, v187, v5
	ds_read_b32 v186, v47
	v_add_nc_u32_e32 v47, 0x2100, v198
	s_waitcnt lgkmcnt(1)
	v_ashrrev_i32_e32 v188, s1, v188
	v_ashrrev_i32_e32 v189, s1, v189
	ds_read2_b32 v[47:48], v47 offset1:1
	v_lshlrev_b32_e32 v188, 2, v188
	v_lshlrev_b32_e32 v189, 2, v189
	v_and_b32_e32 v188, 0x4040404, v188
	v_and_b32_e32 v189, 0x4040404, v189
	v_lshrrev_b16 v196, 8, v188
	v_lshrrev_b32_e32 v193, 16, v188
	v_lshrrev_b32_e32 v195, 24, v188
	s_waitcnt lgkmcnt(0)
	v_ashrrev_i32_e32 v47, s16, v47
	v_and_b32_e32 v190, 0x3030303, v47
	v_bfe_u32 v47, v47, 24, 2
	v_lshrrev_b16 v192, 8, v190
	v_lshrrev_b32_e32 v191, 16, v190
	v_sub_nc_u16 v188, v190, v188
	v_sub_nc_u16 v47, v47, v195
	v_lshrrev_b16 v195, 8, v189
	v_sub_nc_u16 v190, v192, v196
	v_lshrrev_b32_e32 v192, 16, v189
	v_lshlrev_b16 v47, 8, v47
	v_lshlrev_b16 v190, 8, v190
	v_or_b32_sdwa v188, v188, v190 dst_sel:DWORD dst_unused:UNUSED_PAD src0_sel:BYTE_0 src1_sel:DWORD
	v_sub_nc_u16 v190, v191, v193
	v_lshrrev_b32_e32 v193, 24, v189
	v_or_b32_sdwa v47, v190, v47 dst_sel:WORD_1 dst_unused:UNUSED_PAD src0_sel:BYTE_0 src1_sel:DWORD
	v_or_b32_sdwa v188, v188, v47 dst_sel:DWORD dst_unused:UNUSED_PAD src0_sel:WORD_0 src1_sel:DWORD
	v_ashrrev_i32_e32 v47, s16, v48
	v_dot4c_i32_i8 v211, v188, v6
	v_and_b32_e32 v48, 0x3030303, v47
	v_bfe_u32 v47, v47, 24, 2
	v_lshrrev_b16 v191, 8, v48
	v_lshrrev_b32_e32 v190, 16, v48
	v_sub_nc_u16 v48, v48, v189
	v_sub_nc_u16 v47, v47, v193
	v_sub_nc_u16 v189, v191, v195
	v_lshlrev_b16 v47, 8, v47
	v_lshlrev_b16 v189, 8, v189
	v_or_b32_sdwa v48, v48, v189 dst_sel:DWORD dst_unused:UNUSED_PAD src0_sel:BYTE_0 src1_sel:DWORD
	v_sub_nc_u16 v189, v190, v192
	ds_read2_b32 v[190:191], v194 offset0:2 offset1:3
	v_or_b32_sdwa v47, v189, v47 dst_sel:WORD_1 dst_unused:UNUSED_PAD src0_sel:BYTE_0 src1_sel:DWORD
	v_or_b32_sdwa v189, v48, v47 dst_sel:DWORD dst_unused:UNUSED_PAD src0_sel:WORD_0 src1_sel:DWORD
	v_add_nc_u32_e32 v47, 0x2108, v198
	v_dot4c_i32_i8 v211, v189, v7
	ds_read2_b32 v[47:48], v47 offset1:1
	s_waitcnt lgkmcnt(1)
	v_ashrrev_i32_e32 v190, s1, v190
	v_ashrrev_i32_e32 v191, s1, v191
	v_lshlrev_b32_e32 v190, 2, v190
	v_lshlrev_b32_e32 v191, 2, v191
	v_and_b32_e32 v190, 0x4040404, v190
	v_and_b32_e32 v191, 0x4040404, v191
	s_waitcnt lgkmcnt(0)
	v_ashrrev_i32_e32 v47, s16, v47
	v_lshrrev_b16 v199, 8, v190
	v_lshrrev_b32_e32 v196, 16, v190
	v_lshrrev_b32_e32 v197, 24, v190
	v_and_b32_e32 v192, 0x3030303, v47
	v_bfe_u32 v47, v47, 24, 2
	v_lshrrev_b16 v195, 8, v192
	v_lshrrev_b32_e32 v193, 16, v192
	v_sub_nc_u16 v190, v192, v190
	v_sub_nc_u16 v47, v47, v197
	v_lshrrev_b16 v197, 8, v191
	v_sub_nc_u16 v192, v195, v199
	v_lshrrev_b32_e32 v195, 16, v191
	v_lshlrev_b16 v47, 8, v47
	v_lshlrev_b16 v192, 8, v192
	v_or_b32_sdwa v190, v190, v192 dst_sel:DWORD dst_unused:UNUSED_PAD src0_sel:BYTE_0 src1_sel:DWORD
	v_sub_nc_u16 v192, v193, v196
	v_lshrrev_b32_e32 v196, 24, v191
	v_or_b32_sdwa v47, v192, v47 dst_sel:WORD_1 dst_unused:UNUSED_PAD src0_sel:BYTE_0 src1_sel:DWORD
	v_or_b32_sdwa v190, v190, v47 dst_sel:DWORD dst_unused:UNUSED_PAD src0_sel:WORD_0 src1_sel:DWORD
	v_ashrrev_i32_e32 v47, s16, v48
	v_dot4c_i32_i8 v211, v190, v8
	v_and_b32_e32 v48, 0x3030303, v47
	v_bfe_u32 v47, v47, 24, 2
	v_lshrrev_b16 v193, 8, v48
	v_lshrrev_b32_e32 v192, 16, v48
	v_sub_nc_u16 v48, v48, v191
	v_sub_nc_u16 v47, v47, v196
	v_sub_nc_u16 v191, v193, v197
	v_lshlrev_b16 v47, 8, v47
	v_lshlrev_b16 v191, 8, v191
	v_or_b32_sdwa v48, v48, v191 dst_sel:DWORD dst_unused:UNUSED_PAD src0_sel:BYTE_0 src1_sel:DWORD
	v_sub_nc_u16 v191, v192, v195
	ds_read2_b32 v[192:193], v194 offset0:4 offset1:5
	v_or_b32_sdwa v47, v191, v47 dst_sel:WORD_1 dst_unused:UNUSED_PAD src0_sel:BYTE_0 src1_sel:DWORD
	v_or_b32_sdwa v191, v48, v47 dst_sel:DWORD dst_unused:UNUSED_PAD src0_sel:WORD_0 src1_sel:DWORD
	v_add_nc_u32_e32 v47, 0x2110, v198
	v_dot4c_i32_i8 v211, v191, v9
	ds_read2_b32 v[47:48], v47 offset1:1
	s_waitcnt lgkmcnt(1)
	v_ashrrev_i32_e32 v192, s1, v192
	v_ashrrev_i32_e32 v193, s1, v193
	v_lshlrev_b32_e32 v192, 2, v192
	v_lshlrev_b32_e32 v193, 2, v193
	v_and_b32_e32 v192, 0x4040404, v192
	v_and_b32_e32 v193, 0x4040404, v193
	s_waitcnt lgkmcnt(0)
	v_ashrrev_i32_e32 v47, s16, v47
	v_lshrrev_b16 v201, 8, v192
	v_lshrrev_b32_e32 v199, 16, v192
	v_lshrrev_b32_e32 v200, 24, v192
	;; [unrolled: 47-line block ×3, first 2 shown]
	v_and_b32_e32 v196, 0x3030303, v47
	v_bfe_u32 v47, v47, 24, 2
	v_lshrrev_b16 v199, 8, v196
	v_lshrrev_b32_e32 v197, 16, v196
	v_sub_nc_u16 v194, v196, v194
	v_sub_nc_u16 v47, v47, v201
	v_lshrrev_b16 v201, 8, v195
	v_sub_nc_u16 v196, v199, v202
	v_lshrrev_b32_e32 v199, 16, v195
	v_lshlrev_b16 v47, 8, v47
	v_lshlrev_b16 v196, 8, v196
	v_or_b32_sdwa v194, v194, v196 dst_sel:DWORD dst_unused:UNUSED_PAD src0_sel:BYTE_0 src1_sel:DWORD
	v_sub_nc_u16 v196, v197, v200
	v_lshrrev_b32_e32 v200, 24, v195
	v_or_b32_sdwa v47, v196, v47 dst_sel:WORD_1 dst_unused:UNUSED_PAD src0_sel:BYTE_0 src1_sel:DWORD
	v_or_b32_sdwa v194, v194, v47 dst_sel:DWORD dst_unused:UNUSED_PAD src0_sel:WORD_0 src1_sel:DWORD
	v_ashrrev_i32_e32 v47, s16, v48
	v_dot4c_i32_i8 v213, v194, v4
	v_and_b32_e32 v48, 0x3030303, v47
	v_bfe_u32 v47, v47, 24, 2
	v_lshrrev_b16 v197, 8, v48
	v_lshrrev_b32_e32 v196, 16, v48
	v_sub_nc_u16 v48, v48, v195
	v_sub_nc_u16 v47, v47, v200
	v_sub_nc_u16 v195, v197, v201
	ds_read2_b32 v[201:202], v206 offset1:1
	v_lshlrev_b16 v47, 8, v47
	v_lshlrev_b16 v195, 8, v195
	v_or_b32_sdwa v48, v48, v195 dst_sel:DWORD dst_unused:UNUSED_PAD src0_sel:BYTE_0 src1_sel:DWORD
	v_sub_nc_u16 v195, v196, v199
	v_or_b32_sdwa v47, v195, v47 dst_sel:WORD_1 dst_unused:UNUSED_PAD src0_sel:BYTE_0 src1_sel:DWORD
	v_or_b32_sdwa v196, v48, v47 dst_sel:DWORD dst_unused:UNUSED_PAD src0_sel:WORD_0 src1_sel:DWORD
	v_add3_u32 v47, s18, v161, v122
	s_waitcnt lgkmcnt(0)
	v_ashrrev_i32_e32 v201, s1, v201
	v_dot4c_i32_i8 v213, v196, v5
	ds_read_b32 v195, v47
	v_add_nc_u32_e32 v47, 0x3180, v198
	v_lshlrev_b32_e32 v201, 2, v201
	ds_read2_b32 v[47:48], v47 offset1:1
	v_and_b32_e32 v201, 0x4040404, v201
	v_lshrrev_b32_e32 v214, 24, v201
	v_lshrrev_b16 v215, 8, v201
	v_lshrrev_b32_e32 v203, 16, v201
	s_waitcnt lgkmcnt(0)
	v_ashrrev_i32_e32 v197, s16, v47
	v_and_b32_e32 v199, 0x3030303, v197
	v_bfe_u32 v197, v197, 24, 2
	v_lshrrev_b16 v200, 8, v199
	v_lshrrev_b32_e32 v47, 16, v199
	v_sub_nc_u16 v197, v197, v214
	v_sub_nc_u16 v199, v199, v201
	v_ashrrev_i32_e32 v201, s1, v202
	v_sub_nc_u16 v200, v200, v215
	v_sub_nc_u16 v47, v47, v203
	v_lshlrev_b16 v197, 8, v197
	v_lshlrev_b32_e32 v201, 2, v201
	v_lshlrev_b16 v200, 8, v200
	v_or_b32_sdwa v47, v47, v197 dst_sel:WORD_1 dst_unused:UNUSED_PAD src0_sel:BYTE_0 src1_sel:DWORD
	v_and_b32_e32 v201, 0x4040404, v201
	v_or_b32_sdwa v199, v199, v200 dst_sel:DWORD dst_unused:UNUSED_PAD src0_sel:BYTE_0 src1_sel:DWORD
	v_lshrrev_b32_e32 v203, 24, v201
	v_or_b32_sdwa v200, v199, v47 dst_sel:DWORD dst_unused:UNUSED_PAD src0_sel:WORD_0 src1_sel:DWORD
	v_ashrrev_i32_e32 v47, s16, v48
	v_lshrrev_b16 v214, 8, v201
	v_lshrrev_b32_e32 v202, 16, v201
	v_and_b32_e32 v48, 0x3030303, v47
	v_bfe_u32 v47, v47, 24, 2
	v_lshrrev_b16 v199, 8, v48
	v_lshrrev_b32_e32 v197, 16, v48
	v_sub_nc_u16 v47, v47, v203
	v_sub_nc_u16 v48, v48, v201
	;; [unrolled: 1-line block ×4, first 2 shown]
	v_lshlrev_b16 v47, 8, v47
	ds_read2_b32 v[202:203], v206 offset0:2 offset1:3
	v_lshlrev_b16 v199, 8, v199
	v_or_b32_sdwa v47, v197, v47 dst_sel:WORD_1 dst_unused:UNUSED_PAD src0_sel:BYTE_0 src1_sel:DWORD
	v_or_b32_sdwa v48, v48, v199 dst_sel:DWORD dst_unused:UNUSED_PAD src0_sel:BYTE_0 src1_sel:DWORD
	v_or_b32_sdwa v201, v48, v47 dst_sel:DWORD dst_unused:UNUSED_PAD src0_sel:WORD_0 src1_sel:DWORD
	v_add_nc_u32_e32 v47, 0x3188, v198
	ds_read2_b32 v[47:48], v47 offset1:1
	s_waitcnt lgkmcnt(1)
	v_ashrrev_i32_e32 v202, s1, v202
	v_ashrrev_i32_e32 v203, s1, v203
	v_lshlrev_b32_e32 v202, 2, v202
	v_lshlrev_b32_e32 v203, 2, v203
	v_and_b32_e32 v202, 0x4040404, v202
	v_and_b32_e32 v203, 0x4040404, v203
	v_lshrrev_b32_e32 v216, 24, v202
	v_lshrrev_b16 v217, 8, v202
	v_lshrrev_b32_e32 v215, 16, v202
	s_waitcnt lgkmcnt(0)
	v_ashrrev_i32_e32 v47, s16, v47
	v_and_b32_e32 v197, 0x3030303, v47
	v_bfe_u32 v47, v47, 24, 2
	v_lshrrev_b16 v214, 8, v197
	v_lshrrev_b32_e32 v199, 16, v197
	v_sub_nc_u16 v197, v197, v202
	v_sub_nc_u16 v47, v47, v216
	v_lshrrev_b16 v216, 8, v203
	v_sub_nc_u16 v202, v214, v217
	v_sub_nc_u16 v199, v199, v215
	v_lshrrev_b32_e32 v215, 24, v203
	v_lshrrev_b32_e32 v214, 16, v203
	v_lshlrev_b16 v47, 8, v47
	v_lshlrev_b16 v202, 8, v202
	v_or_b32_sdwa v47, v199, v47 dst_sel:WORD_1 dst_unused:UNUSED_PAD src0_sel:BYTE_0 src1_sel:DWORD
	v_or_b32_sdwa v197, v197, v202 dst_sel:DWORD dst_unused:UNUSED_PAD src0_sel:BYTE_0 src1_sel:DWORD
	v_or_b32_sdwa v202, v197, v47 dst_sel:DWORD dst_unused:UNUSED_PAD src0_sel:WORD_0 src1_sel:DWORD
	v_ashrrev_i32_e32 v47, s16, v48
	v_and_b32_e32 v48, 0x3030303, v47
	v_bfe_u32 v47, v47, 24, 2
	v_lshrrev_b16 v199, 8, v48
	v_lshrrev_b32_e32 v197, 16, v48
	v_sub_nc_u16 v47, v47, v215
	v_sub_nc_u16 v48, v48, v203
	;; [unrolled: 1-line block ×4, first 2 shown]
	v_lshlrev_b16 v47, 8, v47
	ds_read2_b32 v[216:217], v206 offset0:4 offset1:5
	v_lshlrev_b16 v199, 8, v199
	v_or_b32_sdwa v47, v197, v47 dst_sel:WORD_1 dst_unused:UNUSED_PAD src0_sel:BYTE_0 src1_sel:DWORD
	v_or_b32_sdwa v48, v48, v199 dst_sel:DWORD dst_unused:UNUSED_PAD src0_sel:BYTE_0 src1_sel:DWORD
	v_or_b32_sdwa v203, v48, v47 dst_sel:DWORD dst_unused:UNUSED_PAD src0_sel:WORD_0 src1_sel:DWORD
	v_add_nc_u32_e32 v47, 0x3190, v198
	ds_read2_b32 v[214:215], v47 offset1:1
	s_waitcnt lgkmcnt(0)
	v_ashrrev_i32_e32 v47, s16, v214
	v_ashrrev_i32_e32 v214, s1, v216
	v_and_b32_e32 v48, 0x3030303, v47
	v_lshlrev_b32_e32 v214, 2, v214
	v_bfe_u32 v47, v47, 24, 2
	v_lshrrev_b16 v199, 8, v48
	v_and_b32_e32 v214, 0x4040404, v214
	v_lshrrev_b32_e32 v197, 16, v48
	v_lshrrev_b32_e32 v218, 24, v214
	v_lshrrev_b16 v219, 8, v214
	v_lshrrev_b32_e32 v216, 16, v214
	v_sub_nc_u16 v48, v48, v214
	v_sub_nc_u16 v47, v47, v218
	;; [unrolled: 1-line block ×4, first 2 shown]
	v_lshlrev_b16 v47, 8, v47
	v_lshlrev_b16 v199, 8, v199
	v_or_b32_sdwa v47, v197, v47 dst_sel:WORD_1 dst_unused:UNUSED_PAD src0_sel:BYTE_0 src1_sel:DWORD
	v_or_b32_sdwa v48, v48, v199 dst_sel:DWORD dst_unused:UNUSED_PAD src0_sel:BYTE_0 src1_sel:DWORD
	v_or_b32_sdwa v48, v48, v47 dst_sel:DWORD dst_unused:UNUSED_PAD src0_sel:WORD_0 src1_sel:DWORD
	v_ashrrev_i32_e32 v47, s16, v215
	v_ashrrev_i32_e32 v215, s1, v217
	v_and_b32_e32 v197, 0x3030303, v47
	v_lshlrev_b32_e32 v215, 2, v215
	v_bfe_u32 v47, v47, 24, 2
	v_lshrrev_b16 v214, 8, v197
	v_and_b32_e32 v215, 0x4040404, v215
	v_lshrrev_b32_e32 v199, 16, v197
	v_lshrrev_b32_e32 v217, 24, v215
	v_lshrrev_b16 v218, 8, v215
	v_lshrrev_b32_e32 v216, 16, v215
	v_sub_nc_u16 v197, v197, v215
	v_sub_nc_u16 v47, v47, v217
	;; [unrolled: 1-line block ×4, first 2 shown]
	v_lshlrev_b16 v47, 8, v47
	v_lshlrev_b16 v214, 8, v214
	v_or_b32_sdwa v47, v199, v47 dst_sel:WORD_1 dst_unused:UNUSED_PAD src0_sel:BYTE_0 src1_sel:DWORD
	v_or_b32_sdwa v197, v197, v214 dst_sel:DWORD dst_unused:UNUSED_PAD src0_sel:BYTE_0 src1_sel:DWORD
	ds_read2_b32 v[214:215], v206 offset0:6 offset1:7
	v_or_b32_sdwa v197, v197, v47 dst_sel:DWORD dst_unused:UNUSED_PAD src0_sel:WORD_0 src1_sel:DWORD
	v_add_nc_u32_e32 v47, 0x3198, v198
	ds_read2_b32 v[198:199], v47 offset1:1
	s_waitcnt lgkmcnt(1)
	v_ashrrev_i32_e32 v206, s1, v214
	v_ashrrev_i32_e32 v215, s1, v215
	s_add_i32 s1, s1, 1
	s_cmp_lt_u32 s15, 14
	v_lshlrev_b32_e32 v206, 2, v206
	v_lshlrev_b32_e32 v215, 2, v215
	s_waitcnt lgkmcnt(0)
	v_ashrrev_i32_e32 v47, s16, v198
	v_and_b32_e32 v206, 0x4040404, v206
	v_and_b32_e32 v215, 0x4040404, v215
	;; [unrolled: 1-line block ×3, first 2 shown]
	v_lshrrev_b16 v219, 8, v206
	v_bfe_u32 v47, v47, 24, 2
	v_lshrrev_b32_e32 v214, 16, v206
	v_lshrrev_b32_e32 v218, 24, v206
	v_lshrrev_b16 v217, 8, v198
	v_lshrrev_b32_e32 v216, 16, v198
	v_sub_nc_u16 v198, v198, v206
	v_sub_nc_u16 v47, v47, v218
	;; [unrolled: 1-line block ×3, first 2 shown]
	v_lshrrev_b16 v218, 8, v215
	v_lshrrev_b32_e32 v217, 24, v215
	v_lshlrev_b16 v47, 8, v47
	v_lshlrev_b16 v206, 8, v206
	v_or_b32_sdwa v198, v198, v206 dst_sel:DWORD dst_unused:UNUSED_PAD src0_sel:BYTE_0 src1_sel:DWORD
	v_sub_nc_u16 v206, v216, v214
	v_lshrrev_b32_e32 v216, 16, v215
	v_or_b32_sdwa v47, v206, v47 dst_sel:WORD_1 dst_unused:UNUSED_PAD src0_sel:BYTE_0 src1_sel:DWORD
	v_or_b32_sdwa v198, v198, v47 dst_sel:DWORD dst_unused:UNUSED_PAD src0_sel:WORD_0 src1_sel:DWORD
	v_ashrrev_i32_e32 v47, s16, v199
	v_and_b32_e32 v199, 0x3030303, v47
	v_bfe_u32 v47, v47, 24, 2
	v_lshrrev_b16 v214, 8, v199
	v_lshrrev_b32_e32 v206, 16, v199
	v_sub_nc_u16 v199, v199, v215
	v_sub_nc_u16 v47, v47, v217
	v_mov_b32_e32 v217, 0
	v_sub_nc_u16 v214, v214, v218
	v_sub_nc_u16 v206, v206, v216
	v_mov_b32_e32 v216, 0
	v_lshlrev_b16 v47, 8, v47
	v_mov_b32_e32 v218, 0
	v_lshlrev_b16 v214, 8, v214
	v_add_nc_u32_e32 v215, s17, v131
	v_dot4c_i32_i8 v216, v48, v2
	v_or_b32_sdwa v47, v206, v47 dst_sel:WORD_1 dst_unused:UNUSED_PAD src0_sel:BYTE_0 src1_sel:DWORD
	s_mov_b32 s17, s15
	v_or_b32_sdwa v199, v199, v214 dst_sel:DWORD dst_unused:UNUSED_PAD src0_sel:BYTE_0 src1_sel:DWORD
	v_mov_b32_e32 v214, 0
	v_dot4c_i32_i8 v216, v197, v3
	v_or_b32_sdwa v199, v199, v47 dst_sel:DWORD dst_unused:UNUSED_PAD src0_sel:WORD_0 src1_sel:DWORD
	v_dot4c_i32_i8 v214, v200, v6
	v_add3_u32 v47, s18, v163, v124
	v_dot4c_i32_i8 v216, v198, v4
	v_dot4c_i32_i8 v214, v201, v7
	ds_read_b32 v47, v47
	v_dot4c_i32_i8 v216, v199, v5
	v_dot4c_i32_i8 v214, v202, v8
	v_dot4c_i32_i8 v214, v203, v9
	ds_read_b128 v[6:9], v168 offset:1024
	ds_read_b128 v[2:5], v168 offset:1040
	ds_read_u16 v205, v205 offset:33538
	s_waitcnt lgkmcnt(2)
	v_dot4c_i32_i8 v217, v170, v6
	s_waitcnt lgkmcnt(1)
	v_dot4c_i32_i8 v218, v174, v2
	s_waitcnt lgkmcnt(0)
	v_lshrrev_b16 v206, 8, v205
	v_bfe_i32 v205, v205, 0, 8
	v_dot4c_i32_i8 v217, v171, v7
	v_dot4c_i32_i8 v218, v175, v3
	v_bfe_i32 v206, v206, 0, 8
	v_dot4c_i32_i8 v217, v172, v8
	v_dot4c_i32_i8 v218, v176, v4
	v_mul_lo_u32 v207, v207, v206
	v_dot4c_i32_i8 v217, v173, v9
	v_dot4c_i32_i8 v218, v178, v5
	v_mul_lo_u32 v217, v217, v205
	v_mad_u64_u32 v[217:218], null, v218, v206, v[217:218]
	v_mad_u64_u32 v[218:219], null, v204, v205, v[207:208]
	v_mul_f32_e32 v204, v177, v45
	v_mul_f32_e32 v207, v177, v46
	v_mov_b32_e32 v219, 0
	v_cvt_f32_i32_e32 v217, v217
	v_cvt_f32_i32_e32 v218, v218
	v_fma_f32 v11, v207, v217, v11
	v_mov_b32_e32 v217, 0
	v_fmac_f32_e32 v10, v204, v218
	ds_read_u16 v204, v209 offset:34562
	v_mov_b32_e32 v218, 0
	v_dot4c_i32_i8 v217, v181, v6
	v_dot4c_i32_i8 v218, v179, v2
	;; [unrolled: 1-line block ×7, first 2 shown]
	s_waitcnt lgkmcnt(0)
	v_lshrrev_b16 v207, 8, v204
	v_bfe_i32 v204, v204, 0, 8
	v_dot4c_i32_i8 v218, v187, v5
	v_bfe_i32 v207, v207, 0, 8
	v_mul_lo_u32 v209, v210, v207
	v_mul_lo_u32 v210, v217, v204
	v_mad_u64_u32 v[217:218], null, v218, v207, v[210:211]
                                        ; kill: def $vgpr210 killed $sgpr0 killed $exec
	v_mad_u64_u32 v[208:209], null, v208, v204, v[209:210]
	v_mul_f32_e32 v209, v186, v45
	v_mul_f32_e32 v210, v186, v46
	v_mov_b32_e32 v218, 0
	v_cvt_f32_i32_e32 v217, v217
	v_cvt_f32_i32_e32 v208, v208
	v_dot4c_i32_i8 v218, v192, v2
	v_fma_f32 v40, v210, v217, v40
	v_mov_b32_e32 v217, 0
	v_fmac_f32_e32 v39, v209, v208
	ds_read_u16 v208, v212 offset:35586
	v_dot4c_i32_i8 v218, v193, v3
	v_dot4c_i32_i8 v217, v188, v6
	;; [unrolled: 1-line block ×7, first 2 shown]
	s_waitcnt lgkmcnt(0)
	v_lshrrev_b16 v209, 8, v208
	v_bfe_i32 v208, v208, 0, 8
	v_bfe_i32 v209, v209, 0, 8
	v_mul_lo_u32 v212, v217, v208
	v_mov_b32_e32 v217, 0
	v_mul_lo_u32 v210, v213, v209
                                        ; kill: def $vgpr213 killed $sgpr0 killed $exec
	v_mad_u64_u32 v[212:213], null, v218, v209, v[212:213]
	v_mul_f32_e32 v213, v195, v46
	v_mov_b32_e32 v218, 0
	v_mad_u64_u32 v[210:211], null, v211, v208, v[210:211]
	v_mul_f32_e32 v211, v195, v45
	v_cvt_f32_i32_e32 v212, v212
	v_cvt_f32_i32_e32 v210, v210
	v_fma_f32 v42, v213, v212, v42
	v_fmac_f32_e32 v41, v211, v210
	v_mov_b32_e32 v210, 0
	v_dot4c_i32_i8 v210, v200, v6
	v_mov_b32_e32 v6, 0
	v_dot4c_i32_i8 v210, v201, v7
	v_dot4c_i32_i8 v6, v48, v2
	ds_read_u16 v2, v215 offset:36610
	v_mov_b32_e32 v215, 0
	v_dot4c_i32_i8 v210, v202, v8
	v_dot4c_i32_i8 v6, v197, v3
	v_dot4c_i32_i8 v210, v203, v9
	v_dot4c_i32_i8 v6, v198, v4
                                        ; kill: def $vgpr4 killed $sgpr0 killed $exec
	v_dot4c_i32_i8 v6, v199, v5
	s_waitcnt lgkmcnt(0)
	v_lshrrev_b16 v3, 8, v2
	v_bfe_i32 v8, v2, 0, 8
	v_bfe_i32 v9, v3, 0, 8
	v_mul_lo_u32 v3, v210, v8
	v_mul_lo_u32 v2, v216, v9
	v_mov_b32_e32 v216, 0
	v_mad_u64_u32 v[3:4], null, v6, v9, v[3:4]
	v_mad_u64_u32 v[4:5], null, v214, v8, v[2:3]
	v_mul_f32_e32 v2, v47, v45
	v_mul_f32_e32 v5, v47, v46
	v_cvt_f32_i32_e32 v3, v3
	v_mov_b32_e32 v45, 0
	v_mov_b32_e32 v46, 0
	;; [unrolled: 1-line block ×3, first 2 shown]
	v_cvt_f32_i32_e32 v4, v4
	v_fma_f32 v44, v5, v3, v44
	v_fmac_f32_e32 v43, v2, v4
	ds_read2_b32 v[6:7], v169 offset0:64 offset1:96
	ds_read_b128 v[210:213], v168 offset:2048
	ds_read_b128 v[2:5], v168 offset:2064
	s_waitcnt lgkmcnt(1)
	v_dot4c_i32_i8 v45, v170, v210
	s_waitcnt lgkmcnt(0)
	v_dot4c_i32_i8 v46, v174, v2
	v_dot4c_i32_i8 v216, v181, v210
	v_dot4c_i32_i8 v217, v179, v2
	v_dot4c_i32_i8 v218, v188, v210
	v_dot4c_i32_i8 v219, v192, v2
	v_dot4c_i32_i8 v220, v200, v210
	v_dot4c_i32_i8 v221, v48, v2
	v_dot4c_i32_i8 v45, v171, v211
	v_dot4c_i32_i8 v46, v175, v3
	v_dot4c_i32_i8 v216, v182, v211
	v_dot4c_i32_i8 v217, v180, v3
	v_dot4c_i32_i8 v218, v189, v211
	v_dot4c_i32_i8 v219, v193, v3
	v_dot4c_i32_i8 v220, v201, v211
	v_dot4c_i32_i8 v221, v197, v3
	v_dot4c_i32_i8 v45, v172, v212
	v_dot4c_i32_i8 v46, v176, v4
	v_dot4c_i32_i8 v216, v183, v212
	v_dot4c_i32_i8 v217, v184, v4
	v_dot4c_i32_i8 v218, v190, v212
	v_dot4c_i32_i8 v219, v194, v4
	v_dot4c_i32_i8 v220, v202, v212
	v_dot4c_i32_i8 v221, v198, v4
	v_dot4c_i32_i8 v45, v173, v213
	v_dot4c_i32_i8 v46, v178, v5
	v_dot4c_i32_i8 v216, v185, v213
	v_dot4c_i32_i8 v217, v187, v5
	v_dot4c_i32_i8 v218, v191, v213
	v_dot4c_i32_i8 v219, v196, v5
	v_dot4c_i32_i8 v220, v203, v213
	v_dot4c_i32_i8 v221, v199, v5
	ds_read_b128 v[2:5], v168 offset:3072
	ds_read_b128 v[210:213], v168 offset:3088
	v_mul_lo_u32 v46, v46, v206
	v_mad_u64_u32 v[45:46], null, v45, v205, v[46:47]
	v_mul_f32_e32 v46, v177, v6
	v_cvt_f32_i32_e32 v45, v45
	s_waitcnt lgkmcnt(1)
	v_dot4c_i32_i8 v214, v170, v2
	s_waitcnt lgkmcnt(0)
	v_dot4c_i32_i8 v215, v174, v210
	v_fmac_f32_e32 v35, v46, v45
	v_mov_b32_e32 v46, 0
	v_dot4c_i32_i8 v214, v171, v3
	v_dot4c_i32_i8 v215, v175, v211
	v_mul_lo_u32 v45, v217, v207
	v_mov_b32_e32 v217, 0
	v_dot4c_i32_i8 v46, v181, v2
	v_dot4c_i32_i8 v214, v172, v4
	;; [unrolled: 1-line block ×7, first 2 shown]
	v_mul_lo_u32 v214, v214, v205
	v_dot4c_i32_i8 v46, v185, v5
	v_mad_u64_u32 v[214:215], null, v215, v206, v[214:215]
	v_mul_f32_e32 v215, v177, v7
	v_mul_lo_u32 v46, v46, v204
	v_cvt_f32_i32_e32 v214, v214
	v_fma_f32 v36, v215, v214, v36
	v_mov_b32_e32 v214, 0
	v_dot4c_i32_i8 v214, v179, v210
	v_dot4c_i32_i8 v214, v180, v211
	;; [unrolled: 1-line block ×4, first 2 shown]
	v_mad_u64_u32 v[214:215], null, v214, v207, v[46:47]
                                        ; kill: def $vgpr46 killed $sgpr0 killed $exec
	v_mul_f32_e32 v215, v186, v7
	v_mad_u64_u32 v[45:46], null, v216, v204, v[45:46]
	v_mul_f32_e32 v46, v186, v6
	v_mov_b32_e32 v216, 0
	v_cvt_f32_i32_e32 v214, v214
	v_cvt_f32_i32_e32 v45, v45
	v_fma_f32 v38, v215, v214, v38
	v_mov_b32_e32 v214, 0
	v_fmac_f32_e32 v37, v46, v45
	v_mov_b32_e32 v46, 0
	v_mul_lo_u32 v45, v219, v209
	v_dot4c_i32_i8 v214, v192, v210
	v_mov_b32_e32 v219, 0
	v_dot4c_i32_i8 v46, v188, v2
	v_dot4c_i32_i8 v214, v193, v211
	;; [unrolled: 1-line block ×7, first 2 shown]
	v_mul_lo_u32 v46, v46, v208
	v_mad_u64_u32 v[214:215], null, v214, v209, v[46:47]
                                        ; kill: def $vgpr46 killed $sgpr0 killed $exec
	v_mul_f32_e32 v215, v195, v7
	v_mad_u64_u32 v[45:46], null, v218, v208, v[45:46]
	v_mul_f32_e32 v46, v195, v6
	v_mov_b32_e32 v218, 0
	v_cvt_f32_i32_e32 v214, v214
	v_cvt_f32_i32_e32 v45, v45
	v_fma_f32 v32, v215, v214, v32
	v_mov_b32_e32 v214, 0
	v_fmac_f32_e32 v31, v46, v45
	v_mov_b32_e32 v45, 0
	v_mov_b32_e32 v46, 0
	v_dot4c_i32_i8 v45, v200, v2
	v_mul_lo_u32 v2, v221, v9
	v_mov_b32_e32 v221, 0
	v_dot4c_i32_i8 v45, v201, v3
	v_dot4c_i32_i8 v45, v202, v4
	v_mov_b32_e32 v4, 0
	v_dot4c_i32_i8 v45, v203, v5
	v_dot4c_i32_i8 v4, v48, v210
	v_mul_lo_u32 v3, v45, v8
	v_dot4c_i32_i8 v4, v197, v211
	v_mov_b32_e32 v45, 0
	v_dot4c_i32_i8 v4, v198, v212
	v_dot4c_i32_i8 v4, v199, v213
	v_mad_u64_u32 v[3:4], null, v4, v9, v[3:4]
	v_mad_u64_u32 v[4:5], null, v220, v8, v[2:3]
	v_mul_f32_e32 v2, v47, v6
	v_mul_f32_e32 v5, v47, v7
	v_cvt_f32_i32_e32 v3, v3
	v_mov_b32_e32 v220, 0
	v_cvt_f32_i32_e32 v4, v4
	v_fma_f32 v34, v5, v3, v34
	v_fmac_f32_e32 v33, v2, v4
	ds_read2_b32 v[2:3], v169 offset0:128 offset1:160
	ds_read_b128 v[4:7], v168 offset:4096
	ds_read_b128 v[210:213], v168 offset:4112
	s_waitcnt lgkmcnt(1)
	v_dot4c_i32_i8 v216, v170, v4
	s_waitcnt lgkmcnt(0)
	v_dot4c_i32_i8 v45, v174, v210
	v_dot4c_i32_i8 v217, v181, v4
	;; [unrolled: 1-line block ×31, first 2 shown]
	ds_read_b128 v[4:7], v168 offset:5120
	ds_read_b128 v[210:213], v168 offset:5136
	v_mul_lo_u32 v45, v45, v206
	s_waitcnt lgkmcnt(1)
	v_dot4c_i32_i8 v46, v170, v4
	s_waitcnt lgkmcnt(0)
	v_dot4c_i32_i8 v214, v174, v210
	v_dot4c_i32_i8 v46, v171, v5
	;; [unrolled: 1-line block ×7, first 2 shown]
	v_mul_lo_u32 v46, v46, v205
	v_mad_u64_u32 v[214:215], null, v214, v206, v[46:47]
                                        ; kill: def $vgpr46 killed $sgpr0 killed $exec
	v_mul_f32_e32 v215, v177, v3
	v_mad_u64_u32 v[45:46], null, v216, v205, v[45:46]
	v_mul_f32_e32 v46, v177, v2
	v_mov_b32_e32 v216, 0
	v_cvt_f32_i32_e32 v214, v214
	v_cvt_f32_i32_e32 v45, v45
	v_fma_f32 v26, v215, v214, v26
	v_mov_b32_e32 v214, 0
	v_fmac_f32_e32 v25, v46, v45
	v_mov_b32_e32 v46, 0
	v_mul_lo_u32 v45, v218, v207
	v_dot4c_i32_i8 v214, v179, v210
	v_mov_b32_e32 v218, 0
	v_dot4c_i32_i8 v46, v181, v4
	v_dot4c_i32_i8 v214, v180, v211
	;; [unrolled: 1-line block ×7, first 2 shown]
	v_mul_lo_u32 v46, v46, v204
	v_mad_u64_u32 v[214:215], null, v214, v207, v[46:47]
                                        ; kill: def $vgpr46 killed $sgpr0 killed $exec
	v_mul_f32_e32 v215, v186, v3
	v_mad_u64_u32 v[45:46], null, v217, v204, v[45:46]
	v_mul_f32_e32 v46, v186, v2
	v_mov_b32_e32 v217, 0
	v_cvt_f32_i32_e32 v214, v214
	v_cvt_f32_i32_e32 v45, v45
	v_fma_f32 v28, v215, v214, v28
	v_mov_b32_e32 v214, 0
	v_fmac_f32_e32 v27, v46, v45
	v_mov_b32_e32 v46, 0
	v_mul_lo_u32 v45, v220, v209
	v_dot4c_i32_i8 v214, v192, v210
	v_mov_b32_e32 v220, 0
	v_dot4c_i32_i8 v46, v188, v4
	v_dot4c_i32_i8 v214, v193, v211
	;; [unrolled: 1-line block ×7, first 2 shown]
	v_mul_lo_u32 v46, v46, v208
	v_mad_u64_u32 v[214:215], null, v214, v209, v[46:47]
                                        ; kill: def $vgpr46 killed $sgpr0 killed $exec
	v_mul_f32_e32 v215, v195, v3
	v_mad_u64_u32 v[45:46], null, v219, v208, v[45:46]
	v_mul_f32_e32 v46, v195, v2
	v_mul_f32_e32 v2, v47, v2
	;; [unrolled: 1-line block ×3, first 2 shown]
	v_cvt_f32_i32_e32 v214, v214
	v_mov_b32_e32 v219, 0
	v_cvt_f32_i32_e32 v45, v45
	v_fma_f32 v30, v215, v214, v30
	v_mov_b32_e32 v214, 0
	v_mov_b32_e32 v215, 0
	v_fmac_f32_e32 v29, v46, v45
	v_mov_b32_e32 v45, 0
	v_mov_b32_e32 v46, 0
	v_dot4c_i32_i8 v45, v200, v4
	v_mul_lo_u32 v4, v222, v9
	v_dot4c_i32_i8 v45, v201, v5
	v_dot4c_i32_i8 v45, v202, v6
	v_mov_b32_e32 v6, 0
	v_dot4c_i32_i8 v45, v203, v7
	v_dot4c_i32_i8 v6, v48, v210
	v_mul_lo_u32 v5, v45, v8
	v_dot4c_i32_i8 v6, v197, v211
	v_mov_b32_e32 v45, 0
	v_dot4c_i32_i8 v6, v198, v212
	v_dot4c_i32_i8 v6, v199, v213
	v_mad_u64_u32 v[5:6], null, v6, v9, v[5:6]
	v_mad_u64_u32 v[6:7], null, v221, v8, v[4:5]
	v_cvt_f32_i32_e32 v5, v5
	v_fma_f32 v24, v3, v5, v24
	v_cvt_f32_i32_e32 v4, v6
	v_fmac_f32_e32 v23, v2, v4
	ds_read2_b32 v[6:7], v169 offset0:192 offset1:224
	ds_read_b128 v[2:5], v168 offset:6144
	ds_read_b128 v[210:213], v168 offset:6160
	v_add_nc_u32_e32 v169, 4, v169
	s_waitcnt lgkmcnt(1)
	v_dot4c_i32_i8 v214, v170, v2
	s_waitcnt lgkmcnt(0)
	v_dot4c_i32_i8 v215, v174, v210
	v_dot4c_i32_i8 v216, v181, v2
	;; [unrolled: 1-line block ×31, first 2 shown]
	ds_read_b128 v[210:213], v168 offset:7168
	ds_read_b128 v[2:5], v168 offset:7184
	v_add_nc_u32_e32 v168, 32, v168
	s_waitcnt lgkmcnt(1)
	v_dot4c_i32_i8 v220, v170, v210
	v_mul_lo_u32 v170, v215, v206
	v_dot4c_i32_i8 v220, v171, v211
	v_dot4c_i32_i8 v220, v172, v212
	v_mov_b32_e32 v172, 0
	v_dot4c_i32_i8 v220, v173, v213
	s_waitcnt lgkmcnt(0)
	v_dot4c_i32_i8 v172, v174, v2
	v_mul_lo_u32 v171, v220, v205
	v_dot4c_i32_i8 v172, v175, v3
	v_dot4c_i32_i8 v172, v176, v4
	;; [unrolled: 1-line block ×3, first 2 shown]
	v_mad_u64_u32 v[171:172], null, v172, v206, v[171:172]
	v_mad_u64_u32 v[172:173], null, v214, v205, v[170:171]
	v_mul_f32_e32 v173, v177, v7
	v_cvt_f32_i32_e32 v171, v171
	v_mul_f32_e32 v170, v177, v6
	v_fma_f32 v14, v173, v171, v14
	v_mov_b32_e32 v171, 0
	v_cvt_f32_i32_e32 v172, v172
	v_dot4c_i32_i8 v171, v181, v210
	v_fmac_f32_e32 v13, v170, v172
	v_mov_b32_e32 v172, 0
	v_mul_lo_u32 v170, v217, v207
	v_dot4c_i32_i8 v171, v182, v211
	v_dot4c_i32_i8 v172, v179, v2
	;; [unrolled: 1-line block ×6, first 2 shown]
	v_mul_lo_u32 v171, v171, v204
	v_dot4c_i32_i8 v172, v187, v5
	v_mad_u64_u32 v[171:172], null, v172, v207, v[171:172]
	v_mad_u64_u32 v[172:173], null, v216, v204, v[170:171]
	v_mul_f32_e32 v173, v186, v7
	v_cvt_f32_i32_e32 v171, v171
	v_mul_f32_e32 v170, v186, v6
	v_fma_f32 v16, v173, v171, v16
	v_mov_b32_e32 v171, 0
	v_cvt_f32_i32_e32 v172, v172
	v_dot4c_i32_i8 v171, v188, v210
	v_fmac_f32_e32 v15, v170, v172
	v_mov_b32_e32 v172, 0
	v_mul_lo_u32 v170, v219, v209
	v_dot4c_i32_i8 v171, v189, v211
	v_dot4c_i32_i8 v172, v192, v2
	v_dot4c_i32_i8 v171, v190, v212
	v_dot4c_i32_i8 v172, v193, v3
	v_dot4c_i32_i8 v171, v191, v213
	v_dot4c_i32_i8 v172, v194, v4
	v_mul_lo_u32 v171, v171, v208
	v_dot4c_i32_i8 v172, v196, v5
	v_mad_u64_u32 v[171:172], null, v172, v209, v[171:172]
	v_mad_u64_u32 v[172:173], null, v218, v208, v[170:171]
	v_mul_f32_e32 v170, v195, v6
	v_mul_f32_e32 v173, v195, v7
	v_cvt_f32_i32_e32 v171, v171
	v_cvt_f32_i32_e32 v172, v172
	v_fma_f32 v18, v173, v171, v18
	v_mov_b32_e32 v171, 0
	v_fmac_f32_e32 v17, v170, v172
	v_mov_b32_e32 v170, 0
	v_dot4c_i32_i8 v171, v48, v2
	v_dot4c_i32_i8 v170, v200, v210
	;; [unrolled: 1-line block ×3, first 2 shown]
                                        ; kill: def $vgpr3 killed $sgpr0 killed $exec
	v_dot4c_i32_i8 v170, v201, v211
	v_dot4c_i32_i8 v171, v198, v4
	v_mul_lo_u32 v4, v46, v9
	v_dot4c_i32_i8 v170, v202, v212
	v_dot4c_i32_i8 v171, v199, v5
	;; [unrolled: 1-line block ×3, first 2 shown]
	v_mul_lo_u32 v2, v170, v8
	v_mad_u64_u32 v[2:3], null, v171, v9, v[2:3]
	v_mad_u64_u32 v[3:4], null, v45, v8, v[4:5]
	v_mul_f32_e32 v4, v47, v6
	v_mul_f32_e32 v5, v47, v7
	v_cvt_f32_i32_e32 v2, v2
	v_cvt_f32_i32_e32 v3, v3
	v_fma_f32 v20, v5, v2, v20
	v_fmac_f32_e32 v19, v4, v3
	s_cbranch_scc1 .LBB149_9
; %bb.10:                               ;   in Loop: Header=BB149_6 Depth=1
	s_or_b32 s1, s11, 1
	s_cmp_ge_i32 s1, s4
	s_barrier
	buffer_gl0_inv
	s_cbranch_scc1 .LBB149_5
; %bb.11:                               ;   in Loop: Header=BB149_6 Depth=1
	v_add_nc_u32_e32 v168, s0, v126
	v_add_nc_u32_e32 v47, 8, v167
	s_mov_b32 s1, 16
	s_mov_b32 s17, 14
	;; [unrolled: 1-line block ×3, first 2 shown]
	v_add_nc_u32_e32 v2, v168, v109
	v_add_nc_u32_e32 v4, v168, v110
	v_add_nc_u32_e32 v6, v168, v111
	v_add_nc_u32_e32 v8, v168, v112
	v_add_nc_u32_e32 v45, v168, v113
	v_mad_u64_u32 v[47:48], null, v47, 36, s[2:3]
	v_mad_i64_i32 v[2:3], null, v2, 36, v[21:22]
	v_add_nc_u32_e32 v169, v168, v114
	v_mad_i64_i32 v[4:5], null, v4, 36, v[21:22]
	v_add_nc_u32_e32 v170, v168, v115
	;; [unrolled: 2-line block ×3, first 2 shown]
	v_mad_i64_i32 v[8:9], null, v8, 36, v[21:22]
	v_mad_i64_i32 v[45:46], null, v45, 36, v[21:22]
	;; [unrolled: 1-line block ×5, first 2 shown]
	s_clause 0x8
	global_load_dword v47, v[47:48], off
	global_load_dword v2, v[2:3], off offset:4
	global_load_dword v3, v[4:5], off offset:4
	;; [unrolled: 1-line block ×8, first 2 shown]
	v_mov_b32_e32 v168, v137
	v_mov_b32_e32 v169, v136
	s_waitcnt vmcnt(8)
	v_cvt_f32_f16_e32 v45, v47
	s_waitcnt vmcnt(7)
	ds_write_b32 v150, v2
	s_waitcnt vmcnt(6)
	ds_write_b32 v151, v3
	;; [unrolled: 2-line block ×8, first 2 shown]
	ds_write_b32 v108, v45
	s_waitcnt lgkmcnt(0)
	s_barrier
	buffer_gl0_inv
.LBB149_12:                             ;   Parent Loop BB149_6 Depth=1
                                        ; =>  This Inner Loop Header: Depth=2
	s_add_i32 s15, s17, 2
	ds_read2_b32 v[45:46], v169 offset1:32
	ds_read_b128 v[6:9], v168
	ds_read_b128 v[2:5], v168 offset:16
	s_lshr_b32 s18, s15, 4
	s_and_b32 s19, s15, 0x3ffffff8
	s_add_i32 s16, s17, -14
	v_lshl_add_u32 v198, s19, 2, v117
	s_lshl_b32 s19, s18, 5
	s_lshl_b32 s18, s18, 2
	s_addk_i32 s19, 0x4200
	s_add_i32 s18, s18, 0x9380
	v_add3_u32 v176, s19, v164, v118
	ds_read2_b32 v[47:48], v198 offset1:1
	v_add3_u32 v184, s19, v158, v119
	v_add3_u32 v194, s19, v160, v121
	v_add3_u32 v206, s19, v162, v123
	ds_read2_b32 v[170:171], v176 offset1:1
	v_mov_b32_e32 v204, 0
	v_mov_b32_e32 v207, 0
	;; [unrolled: 1-line block ×6, first 2 shown]
	s_and_b32 s20, s1, -16
	v_mov_b32_e32 v220, 0
	s_add_i32 s17, s17, s20
	v_mov_b32_e32 v221, 0
	v_add_nc_u32_e32 v205, s17, v128
	v_add_nc_u32_e32 v209, s17, v129
	v_add_nc_u32_e32 v212, s17, v130
	v_mov_b32_e32 v222, 0
	s_add_i32 s1, s1, 2
	s_waitcnt lgkmcnt(1)
	v_ashrrev_i32_e32 v47, s16, v47
	s_waitcnt lgkmcnt(0)
	v_ashrrev_i32_e32 v170, s14, v170
	v_and_b32_e32 v172, 0x3030303, v47
	v_bfe_u32 v47, v47, 24, 2
	v_ashrrev_i32_e32 v171, s14, v171
	v_lshlrev_b32_e32 v170, 2, v170
	v_lshrrev_b16 v174, 8, v172
	v_lshrrev_b32_e32 v173, 16, v172
	v_lshlrev_b32_e32 v171, 2, v171
	v_and_b32_e32 v170, 0x4040404, v170
	v_and_b32_e32 v171, 0x4040404, v171
	v_lshrrev_b16 v178, 8, v170
	v_lshrrev_b32_e32 v175, 16, v170
	v_lshrrev_b32_e32 v177, 24, v170
	v_sub_nc_u16 v170, v172, v170
	v_sub_nc_u16 v172, v174, v178
	v_lshrrev_b32_e32 v174, 16, v171
	v_sub_nc_u16 v47, v47, v177
	v_lshrrev_b16 v177, 8, v171
	v_lshlrev_b16 v172, 8, v172
	v_lshlrev_b16 v47, 8, v47
	v_or_b32_sdwa v170, v170, v172 dst_sel:DWORD dst_unused:UNUSED_PAD src0_sel:BYTE_0 src1_sel:DWORD
	v_sub_nc_u16 v172, v173, v175
	v_lshrrev_b32_e32 v175, 24, v171
	v_or_b32_sdwa v47, v172, v47 dst_sel:WORD_1 dst_unused:UNUSED_PAD src0_sel:BYTE_0 src1_sel:DWORD
	v_or_b32_sdwa v170, v170, v47 dst_sel:DWORD dst_unused:UNUSED_PAD src0_sel:WORD_0 src1_sel:DWORD
	v_ashrrev_i32_e32 v47, s16, v48
	v_dot4c_i32_i8 v204, v170, v6
	v_and_b32_e32 v48, 0x3030303, v47
	v_bfe_u32 v47, v47, 24, 2
	v_lshrrev_b16 v173, 8, v48
	v_lshrrev_b32_e32 v172, 16, v48
	v_sub_nc_u16 v48, v48, v171
	v_sub_nc_u16 v47, v47, v175
	v_sub_nc_u16 v171, v173, v177
	v_lshlrev_b16 v47, 8, v47
	v_lshlrev_b16 v171, 8, v171
	v_or_b32_sdwa v48, v48, v171 dst_sel:DWORD dst_unused:UNUSED_PAD src0_sel:BYTE_0 src1_sel:DWORD
	v_sub_nc_u16 v171, v172, v174
	ds_read2_b32 v[172:173], v176 offset0:2 offset1:3
	v_or_b32_sdwa v47, v171, v47 dst_sel:WORD_1 dst_unused:UNUSED_PAD src0_sel:BYTE_0 src1_sel:DWORD
	v_or_b32_sdwa v171, v48, v47 dst_sel:DWORD dst_unused:UNUSED_PAD src0_sel:WORD_0 src1_sel:DWORD
	ds_read2_b32 v[47:48], v198 offset0:2 offset1:3
	v_dot4c_i32_i8 v204, v171, v7
	s_waitcnt lgkmcnt(1)
	v_ashrrev_i32_e32 v172, s14, v172
	v_ashrrev_i32_e32 v173, s14, v173
	v_lshlrev_b32_e32 v172, 2, v172
	v_lshlrev_b32_e32 v173, 2, v173
	s_waitcnt lgkmcnt(0)
	v_ashrrev_i32_e32 v47, s16, v47
	v_and_b32_e32 v172, 0x4040404, v172
	v_and_b32_e32 v173, 0x4040404, v173
	v_and_b32_e32 v174, 0x3030303, v47
	v_bfe_u32 v47, v47, 24, 2
	v_lshrrev_b16 v180, 8, v172
	v_lshrrev_b32_e32 v178, 16, v172
	v_lshrrev_b32_e32 v179, 24, v172
	v_lshrrev_b16 v177, 8, v174
	v_lshrrev_b32_e32 v175, 16, v174
	v_sub_nc_u16 v172, v174, v172
	v_sub_nc_u16 v47, v47, v179
	v_sub_nc_u16 v174, v177, v180
	v_lshrrev_b16 v179, 8, v173
	v_lshrrev_b32_e32 v177, 16, v173
	v_lshlrev_b16 v47, 8, v47
	v_lshlrev_b16 v174, 8, v174
	v_or_b32_sdwa v172, v172, v174 dst_sel:DWORD dst_unused:UNUSED_PAD src0_sel:BYTE_0 src1_sel:DWORD
	v_sub_nc_u16 v174, v175, v178
	v_lshrrev_b32_e32 v178, 24, v173
	v_or_b32_sdwa v47, v174, v47 dst_sel:WORD_1 dst_unused:UNUSED_PAD src0_sel:BYTE_0 src1_sel:DWORD
	v_or_b32_sdwa v172, v172, v47 dst_sel:DWORD dst_unused:UNUSED_PAD src0_sel:WORD_0 src1_sel:DWORD
	v_ashrrev_i32_e32 v47, s16, v48
	v_dot4c_i32_i8 v204, v172, v8
	v_and_b32_e32 v48, 0x3030303, v47
	v_bfe_u32 v47, v47, 24, 2
	v_lshrrev_b16 v175, 8, v48
	v_lshrrev_b32_e32 v174, 16, v48
	v_sub_nc_u16 v48, v48, v173
	v_sub_nc_u16 v47, v47, v178
	v_sub_nc_u16 v173, v175, v179
	v_lshlrev_b16 v47, 8, v47
	v_lshlrev_b16 v173, 8, v173
	v_or_b32_sdwa v48, v48, v173 dst_sel:DWORD dst_unused:UNUSED_PAD src0_sel:BYTE_0 src1_sel:DWORD
	v_sub_nc_u16 v173, v174, v177
	ds_read2_b32 v[174:175], v176 offset0:4 offset1:5
	v_or_b32_sdwa v47, v173, v47 dst_sel:WORD_1 dst_unused:UNUSED_PAD src0_sel:BYTE_0 src1_sel:DWORD
	v_or_b32_sdwa v173, v48, v47 dst_sel:DWORD dst_unused:UNUSED_PAD src0_sel:WORD_0 src1_sel:DWORD
	ds_read2_b32 v[47:48], v198 offset0:4 offset1:5
	v_dot4c_i32_i8 v204, v173, v9
	s_waitcnt lgkmcnt(1)
	v_ashrrev_i32_e32 v174, s14, v174
	v_ashrrev_i32_e32 v175, s14, v175
	v_lshlrev_b32_e32 v174, 2, v174
	v_lshlrev_b32_e32 v175, 2, v175
	s_waitcnt lgkmcnt(0)
	v_ashrrev_i32_e32 v47, s16, v47
	v_and_b32_e32 v174, 0x4040404, v174
	v_and_b32_e32 v175, 0x4040404, v175
	v_and_b32_e32 v177, 0x3030303, v47
	v_bfe_u32 v47, v47, 24, 2
	v_lshrrev_b16 v182, 8, v174
	v_lshrrev_b32_e32 v180, 16, v174
	v_lshrrev_b32_e32 v181, 24, v174
	v_lshrrev_b16 v179, 8, v177
	v_lshrrev_b32_e32 v178, 16, v177
	v_sub_nc_u16 v174, v177, v174
	v_sub_nc_u16 v47, v47, v181
	v_sub_nc_u16 v177, v179, v182
	v_lshrrev_b16 v181, 8, v175
	v_lshrrev_b32_e32 v179, 16, v175
	;; [unrolled: 46-line block ×3, first 2 shown]
	v_lshlrev_b16 v47, 8, v47
	v_lshlrev_b16 v178, 8, v178
	v_or_b32_sdwa v176, v176, v178 dst_sel:DWORD dst_unused:UNUSED_PAD src0_sel:BYTE_0 src1_sel:DWORD
	v_sub_nc_u16 v178, v179, v181
	v_lshrrev_b32_e32 v181, 24, v177
	v_or_b32_sdwa v47, v178, v47 dst_sel:WORD_1 dst_unused:UNUSED_PAD src0_sel:BYTE_0 src1_sel:DWORD
	v_or_b32_sdwa v176, v176, v47 dst_sel:DWORD dst_unused:UNUSED_PAD src0_sel:WORD_0 src1_sel:DWORD
	v_ashrrev_i32_e32 v47, s16, v48
	v_dot4c_i32_i8 v207, v176, v4
	v_and_b32_e32 v48, 0x3030303, v47
	v_bfe_u32 v47, v47, 24, 2
	v_lshrrev_b16 v179, 8, v48
	v_lshrrev_b32_e32 v178, 16, v48
	v_sub_nc_u16 v48, v48, v177
	v_sub_nc_u16 v47, v47, v181
	;; [unrolled: 1-line block ×3, first 2 shown]
	v_lshlrev_b16 v47, 8, v47
	v_lshlrev_b16 v177, 8, v177
	v_or_b32_sdwa v48, v48, v177 dst_sel:DWORD dst_unused:UNUSED_PAD src0_sel:BYTE_0 src1_sel:DWORD
	v_sub_nc_u16 v177, v178, v180
	ds_read2_b32 v[179:180], v184 offset1:1
	v_or_b32_sdwa v47, v177, v47 dst_sel:WORD_1 dst_unused:UNUSED_PAD src0_sel:BYTE_0 src1_sel:DWORD
	v_or_b32_sdwa v178, v48, v47 dst_sel:DWORD dst_unused:UNUSED_PAD src0_sel:WORD_0 src1_sel:DWORD
	v_add3_u32 v47, s18, v165, v166
	v_dot4c_i32_i8 v207, v178, v5
	ds_read_b32 v177, v47
	v_add_nc_u32_e32 v47, 0x1080, v198
	s_waitcnt lgkmcnt(1)
	v_ashrrev_i32_e32 v179, s14, v179
	ds_read2_b32 v[47:48], v47 offset1:1
	v_ashrrev_i32_e32 v180, s14, v180
	v_lshlrev_b32_e32 v179, 2, v179
	v_lshlrev_b32_e32 v180, 2, v180
	v_and_b32_e32 v179, 0x4040404, v179
	v_and_b32_e32 v180, 0x4040404, v180
	v_lshrrev_b16 v187, 8, v179
	v_lshrrev_b32_e32 v185, 16, v179
	v_lshrrev_b32_e32 v186, 24, v179
	s_waitcnt lgkmcnt(0)
	v_ashrrev_i32_e32 v47, s16, v47
	v_and_b32_e32 v181, 0x3030303, v47
	v_bfe_u32 v47, v47, 24, 2
	v_lshrrev_b16 v183, 8, v181
	v_lshrrev_b32_e32 v182, 16, v181
	v_sub_nc_u16 v179, v181, v179
	v_sub_nc_u16 v47, v47, v186
	v_lshrrev_b16 v186, 8, v180
	v_sub_nc_u16 v181, v183, v187
	v_lshrrev_b32_e32 v183, 16, v180
	v_lshlrev_b16 v47, 8, v47
	v_lshlrev_b16 v181, 8, v181
	v_or_b32_sdwa v179, v179, v181 dst_sel:DWORD dst_unused:UNUSED_PAD src0_sel:BYTE_0 src1_sel:DWORD
	v_sub_nc_u16 v181, v182, v185
	v_lshrrev_b32_e32 v185, 24, v180
	v_or_b32_sdwa v47, v181, v47 dst_sel:WORD_1 dst_unused:UNUSED_PAD src0_sel:BYTE_0 src1_sel:DWORD
	v_or_b32_sdwa v181, v179, v47 dst_sel:DWORD dst_unused:UNUSED_PAD src0_sel:WORD_0 src1_sel:DWORD
	v_ashrrev_i32_e32 v47, s16, v48
	v_dot4c_i32_i8 v208, v181, v6
	v_and_b32_e32 v48, 0x3030303, v47
	v_bfe_u32 v47, v47, 24, 2
	v_lshrrev_b16 v182, 8, v48
	v_lshrrev_b32_e32 v179, 16, v48
	v_sub_nc_u16 v48, v48, v180
	v_sub_nc_u16 v47, v47, v185
	v_sub_nc_u16 v180, v182, v186
	v_sub_nc_u16 v179, v179, v183
	v_lshlrev_b16 v47, 8, v47
	v_lshlrev_b16 v180, 8, v180
	v_or_b32_sdwa v47, v179, v47 dst_sel:WORD_1 dst_unused:UNUSED_PAD src0_sel:BYTE_0 src1_sel:DWORD
	v_or_b32_sdwa v48, v48, v180 dst_sel:DWORD dst_unused:UNUSED_PAD src0_sel:BYTE_0 src1_sel:DWORD
	ds_read2_b32 v[179:180], v184 offset0:2 offset1:3
	v_or_b32_sdwa v182, v48, v47 dst_sel:DWORD dst_unused:UNUSED_PAD src0_sel:WORD_0 src1_sel:DWORD
	v_add_nc_u32_e32 v47, 0x1088, v198
	v_dot4c_i32_i8 v208, v182, v7
	ds_read2_b32 v[47:48], v47 offset1:1
	s_waitcnt lgkmcnt(1)
	v_ashrrev_i32_e32 v179, s14, v179
	v_ashrrev_i32_e32 v180, s14, v180
	v_lshlrev_b32_e32 v179, 2, v179
	v_lshlrev_b32_e32 v180, 2, v180
	s_waitcnt lgkmcnt(0)
	v_ashrrev_i32_e32 v47, s16, v47
	v_and_b32_e32 v179, 0x4040404, v179
	v_and_b32_e32 v180, 0x4040404, v180
	;; [unrolled: 1-line block ×3, first 2 shown]
	v_bfe_u32 v47, v47, 24, 2
	v_lshrrev_b16 v189, 8, v179
	v_lshrrev_b32_e32 v187, 16, v179
	v_lshrrev_b32_e32 v188, 24, v179
	v_lshrrev_b16 v186, 8, v183
	v_lshrrev_b32_e32 v185, 16, v183
	v_sub_nc_u16 v179, v183, v179
	v_sub_nc_u16 v47, v47, v188
	;; [unrolled: 1-line block ×3, first 2 shown]
	v_lshrrev_b16 v188, 8, v180
	v_lshrrev_b32_e32 v186, 16, v180
	v_lshlrev_b16 v47, 8, v47
	v_lshlrev_b16 v183, 8, v183
	v_or_b32_sdwa v179, v179, v183 dst_sel:DWORD dst_unused:UNUSED_PAD src0_sel:BYTE_0 src1_sel:DWORD
	v_sub_nc_u16 v183, v185, v187
	v_lshrrev_b32_e32 v187, 24, v180
	v_or_b32_sdwa v47, v183, v47 dst_sel:WORD_1 dst_unused:UNUSED_PAD src0_sel:BYTE_0 src1_sel:DWORD
	v_or_b32_sdwa v183, v179, v47 dst_sel:DWORD dst_unused:UNUSED_PAD src0_sel:WORD_0 src1_sel:DWORD
	v_ashrrev_i32_e32 v47, s16, v48
	v_dot4c_i32_i8 v208, v183, v8
	v_and_b32_e32 v48, 0x3030303, v47
	v_bfe_u32 v47, v47, 24, 2
	v_lshrrev_b16 v185, 8, v48
	v_lshrrev_b32_e32 v179, 16, v48
	v_sub_nc_u16 v48, v48, v180
	v_sub_nc_u16 v47, v47, v187
	;; [unrolled: 1-line block ×4, first 2 shown]
	v_lshlrev_b16 v47, 8, v47
	v_lshlrev_b16 v180, 8, v180
	v_or_b32_sdwa v47, v179, v47 dst_sel:WORD_1 dst_unused:UNUSED_PAD src0_sel:BYTE_0 src1_sel:DWORD
	v_or_b32_sdwa v48, v48, v180 dst_sel:DWORD dst_unused:UNUSED_PAD src0_sel:BYTE_0 src1_sel:DWORD
	ds_read2_b32 v[179:180], v184 offset0:4 offset1:5
	v_or_b32_sdwa v185, v48, v47 dst_sel:DWORD dst_unused:UNUSED_PAD src0_sel:WORD_0 src1_sel:DWORD
	v_add_nc_u32_e32 v47, 0x1090, v198
	v_dot4c_i32_i8 v208, v185, v9
	ds_read2_b32 v[47:48], v47 offset1:1
	s_waitcnt lgkmcnt(1)
	v_ashrrev_i32_e32 v179, s14, v179
	v_ashrrev_i32_e32 v180, s14, v180
	v_lshlrev_b32_e32 v179, 2, v179
	v_lshlrev_b32_e32 v180, 2, v180
	s_waitcnt lgkmcnt(0)
	v_ashrrev_i32_e32 v47, s16, v47
	v_and_b32_e32 v179, 0x4040404, v179
	v_and_b32_e32 v180, 0x4040404, v180
	;; [unrolled: 1-line block ×3, first 2 shown]
	v_bfe_u32 v47, v47, 24, 2
	v_lshrrev_b16 v191, 8, v179
	v_lshrrev_b32_e32 v189, 16, v179
	v_lshrrev_b32_e32 v190, 24, v179
	v_lshrrev_b16 v188, 8, v186
	v_lshrrev_b32_e32 v187, 16, v186
	v_sub_nc_u16 v179, v186, v179
	v_sub_nc_u16 v47, v47, v190
	;; [unrolled: 1-line block ×3, first 2 shown]
	v_lshrrev_b16 v190, 8, v180
	v_lshrrev_b32_e32 v188, 16, v180
	v_lshlrev_b16 v47, 8, v47
	v_lshlrev_b16 v186, 8, v186
	v_or_b32_sdwa v179, v179, v186 dst_sel:DWORD dst_unused:UNUSED_PAD src0_sel:BYTE_0 src1_sel:DWORD
	v_sub_nc_u16 v186, v187, v189
	v_lshrrev_b32_e32 v189, 24, v180
	v_or_b32_sdwa v47, v186, v47 dst_sel:WORD_1 dst_unused:UNUSED_PAD src0_sel:BYTE_0 src1_sel:DWORD
	v_or_b32_sdwa v179, v179, v47 dst_sel:DWORD dst_unused:UNUSED_PAD src0_sel:WORD_0 src1_sel:DWORD
	v_ashrrev_i32_e32 v47, s16, v48
	v_dot4c_i32_i8 v210, v179, v2
	v_and_b32_e32 v48, 0x3030303, v47
	v_bfe_u32 v47, v47, 24, 2
	v_lshrrev_b16 v187, 8, v48
	v_lshrrev_b32_e32 v186, 16, v48
	v_sub_nc_u16 v48, v48, v180
	v_sub_nc_u16 v47, v47, v189
	;; [unrolled: 1-line block ×3, first 2 shown]
	v_lshlrev_b16 v47, 8, v47
	v_lshlrev_b16 v180, 8, v180
	v_or_b32_sdwa v48, v48, v180 dst_sel:DWORD dst_unused:UNUSED_PAD src0_sel:BYTE_0 src1_sel:DWORD
	v_sub_nc_u16 v180, v186, v188
	ds_read2_b32 v[186:187], v184 offset0:6 offset1:7
	v_or_b32_sdwa v47, v180, v47 dst_sel:WORD_1 dst_unused:UNUSED_PAD src0_sel:BYTE_0 src1_sel:DWORD
	v_or_b32_sdwa v180, v48, v47 dst_sel:DWORD dst_unused:UNUSED_PAD src0_sel:WORD_0 src1_sel:DWORD
	v_add_nc_u32_e32 v47, 0x1098, v198
	v_dot4c_i32_i8 v210, v180, v3
	ds_read2_b32 v[47:48], v47 offset1:1
	s_waitcnt lgkmcnt(1)
	v_ashrrev_i32_e32 v184, s14, v186
	v_ashrrev_i32_e32 v187, s14, v187
	v_lshlrev_b32_e32 v184, 2, v184
	v_lshlrev_b32_e32 v187, 2, v187
	v_and_b32_e32 v184, 0x4040404, v184
	v_and_b32_e32 v187, 0x4040404, v187
	s_waitcnt lgkmcnt(0)
	v_ashrrev_i32_e32 v47, s16, v47
	v_lshrrev_b32_e32 v191, 24, v184
	v_lshrrev_b16 v192, 8, v184
	v_lshrrev_b32_e32 v186, 16, v184
	v_and_b32_e32 v188, 0x3030303, v47
	v_bfe_u32 v47, v47, 24, 2
	v_lshrrev_b16 v190, 8, v188
	v_lshrrev_b32_e32 v189, 16, v188
	v_sub_nc_u16 v184, v188, v184
	v_sub_nc_u16 v47, v47, v191
	v_lshrrev_b16 v191, 8, v187
	v_sub_nc_u16 v188, v190, v192
	v_sub_nc_u16 v186, v189, v186
	v_lshrrev_b32_e32 v190, 24, v187
	v_lshrrev_b32_e32 v189, 16, v187
	v_lshlrev_b16 v47, 8, v47
	v_lshlrev_b16 v188, 8, v188
	v_or_b32_sdwa v47, v186, v47 dst_sel:WORD_1 dst_unused:UNUSED_PAD src0_sel:BYTE_0 src1_sel:DWORD
	v_or_b32_sdwa v184, v184, v188 dst_sel:DWORD dst_unused:UNUSED_PAD src0_sel:BYTE_0 src1_sel:DWORD
	v_or_b32_sdwa v184, v184, v47 dst_sel:DWORD dst_unused:UNUSED_PAD src0_sel:WORD_0 src1_sel:DWORD
	v_ashrrev_i32_e32 v47, s16, v48
	v_dot4c_i32_i8 v210, v184, v4
	v_and_b32_e32 v48, 0x3030303, v47
	v_bfe_u32 v47, v47, 24, 2
	v_lshrrev_b16 v188, 8, v48
	v_lshrrev_b32_e32 v186, 16, v48
	v_sub_nc_u16 v48, v48, v187
	v_sub_nc_u16 v47, v47, v190
	;; [unrolled: 1-line block ×4, first 2 shown]
	ds_read2_b32 v[188:189], v194 offset1:1
	v_lshlrev_b16 v47, 8, v47
	v_lshlrev_b16 v187, 8, v187
	v_or_b32_sdwa v47, v186, v47 dst_sel:WORD_1 dst_unused:UNUSED_PAD src0_sel:BYTE_0 src1_sel:DWORD
	v_or_b32_sdwa v48, v48, v187 dst_sel:DWORD dst_unused:UNUSED_PAD src0_sel:BYTE_0 src1_sel:DWORD
	v_or_b32_sdwa v187, v48, v47 dst_sel:DWORD dst_unused:UNUSED_PAD src0_sel:WORD_0 src1_sel:DWORD
	v_add3_u32 v47, s18, v159, v120
	v_dot4c_i32_i8 v210, v187, v5
	ds_read_b32 v186, v47
	v_add_nc_u32_e32 v47, 0x2100, v198
	s_waitcnt lgkmcnt(1)
	v_ashrrev_i32_e32 v188, s14, v188
	v_ashrrev_i32_e32 v189, s14, v189
	ds_read2_b32 v[47:48], v47 offset1:1
	v_lshlrev_b32_e32 v188, 2, v188
	v_lshlrev_b32_e32 v189, 2, v189
	v_and_b32_e32 v188, 0x4040404, v188
	v_and_b32_e32 v189, 0x4040404, v189
	v_lshrrev_b16 v196, 8, v188
	v_lshrrev_b32_e32 v193, 16, v188
	v_lshrrev_b32_e32 v195, 24, v188
	s_waitcnt lgkmcnt(0)
	v_ashrrev_i32_e32 v47, s16, v47
	v_and_b32_e32 v190, 0x3030303, v47
	v_bfe_u32 v47, v47, 24, 2
	v_lshrrev_b16 v192, 8, v190
	v_lshrrev_b32_e32 v191, 16, v190
	v_sub_nc_u16 v188, v190, v188
	v_sub_nc_u16 v47, v47, v195
	v_lshrrev_b16 v195, 8, v189
	v_sub_nc_u16 v190, v192, v196
	v_lshrrev_b32_e32 v192, 16, v189
	v_lshlrev_b16 v47, 8, v47
	v_lshlrev_b16 v190, 8, v190
	v_or_b32_sdwa v188, v188, v190 dst_sel:DWORD dst_unused:UNUSED_PAD src0_sel:BYTE_0 src1_sel:DWORD
	v_sub_nc_u16 v190, v191, v193
	v_lshrrev_b32_e32 v193, 24, v189
	v_or_b32_sdwa v47, v190, v47 dst_sel:WORD_1 dst_unused:UNUSED_PAD src0_sel:BYTE_0 src1_sel:DWORD
	v_or_b32_sdwa v188, v188, v47 dst_sel:DWORD dst_unused:UNUSED_PAD src0_sel:WORD_0 src1_sel:DWORD
	v_ashrrev_i32_e32 v47, s16, v48
	v_dot4c_i32_i8 v211, v188, v6
	v_and_b32_e32 v48, 0x3030303, v47
	v_bfe_u32 v47, v47, 24, 2
	v_lshrrev_b16 v191, 8, v48
	v_lshrrev_b32_e32 v190, 16, v48
	v_sub_nc_u16 v48, v48, v189
	v_sub_nc_u16 v47, v47, v193
	v_sub_nc_u16 v189, v191, v195
	v_lshlrev_b16 v47, 8, v47
	v_lshlrev_b16 v189, 8, v189
	v_or_b32_sdwa v48, v48, v189 dst_sel:DWORD dst_unused:UNUSED_PAD src0_sel:BYTE_0 src1_sel:DWORD
	v_sub_nc_u16 v189, v190, v192
	ds_read2_b32 v[190:191], v194 offset0:2 offset1:3
	v_or_b32_sdwa v47, v189, v47 dst_sel:WORD_1 dst_unused:UNUSED_PAD src0_sel:BYTE_0 src1_sel:DWORD
	v_or_b32_sdwa v189, v48, v47 dst_sel:DWORD dst_unused:UNUSED_PAD src0_sel:WORD_0 src1_sel:DWORD
	v_add_nc_u32_e32 v47, 0x2108, v198
	v_dot4c_i32_i8 v211, v189, v7
	ds_read2_b32 v[47:48], v47 offset1:1
	s_waitcnt lgkmcnt(1)
	v_ashrrev_i32_e32 v190, s14, v190
	v_ashrrev_i32_e32 v191, s14, v191
	v_lshlrev_b32_e32 v190, 2, v190
	v_lshlrev_b32_e32 v191, 2, v191
	v_and_b32_e32 v190, 0x4040404, v190
	v_and_b32_e32 v191, 0x4040404, v191
	s_waitcnt lgkmcnt(0)
	v_ashrrev_i32_e32 v47, s16, v47
	v_lshrrev_b16 v199, 8, v190
	v_lshrrev_b32_e32 v196, 16, v190
	v_lshrrev_b32_e32 v197, 24, v190
	v_and_b32_e32 v192, 0x3030303, v47
	v_bfe_u32 v47, v47, 24, 2
	v_lshrrev_b16 v195, 8, v192
	v_lshrrev_b32_e32 v193, 16, v192
	v_sub_nc_u16 v190, v192, v190
	v_sub_nc_u16 v47, v47, v197
	v_lshrrev_b16 v197, 8, v191
	v_sub_nc_u16 v192, v195, v199
	v_lshrrev_b32_e32 v195, 16, v191
	v_lshlrev_b16 v47, 8, v47
	v_lshlrev_b16 v192, 8, v192
	v_or_b32_sdwa v190, v190, v192 dst_sel:DWORD dst_unused:UNUSED_PAD src0_sel:BYTE_0 src1_sel:DWORD
	v_sub_nc_u16 v192, v193, v196
	v_lshrrev_b32_e32 v196, 24, v191
	v_or_b32_sdwa v47, v192, v47 dst_sel:WORD_1 dst_unused:UNUSED_PAD src0_sel:BYTE_0 src1_sel:DWORD
	v_or_b32_sdwa v190, v190, v47 dst_sel:DWORD dst_unused:UNUSED_PAD src0_sel:WORD_0 src1_sel:DWORD
	v_ashrrev_i32_e32 v47, s16, v48
	v_dot4c_i32_i8 v211, v190, v8
	v_and_b32_e32 v48, 0x3030303, v47
	v_bfe_u32 v47, v47, 24, 2
	v_lshrrev_b16 v193, 8, v48
	v_lshrrev_b32_e32 v192, 16, v48
	v_sub_nc_u16 v48, v48, v191
	v_sub_nc_u16 v47, v47, v196
	v_sub_nc_u16 v191, v193, v197
	v_lshlrev_b16 v47, 8, v47
	v_lshlrev_b16 v191, 8, v191
	v_or_b32_sdwa v48, v48, v191 dst_sel:DWORD dst_unused:UNUSED_PAD src0_sel:BYTE_0 src1_sel:DWORD
	v_sub_nc_u16 v191, v192, v195
	ds_read2_b32 v[192:193], v194 offset0:4 offset1:5
	v_or_b32_sdwa v47, v191, v47 dst_sel:WORD_1 dst_unused:UNUSED_PAD src0_sel:BYTE_0 src1_sel:DWORD
	v_or_b32_sdwa v191, v48, v47 dst_sel:DWORD dst_unused:UNUSED_PAD src0_sel:WORD_0 src1_sel:DWORD
	v_add_nc_u32_e32 v47, 0x2110, v198
	v_dot4c_i32_i8 v211, v191, v9
	ds_read2_b32 v[47:48], v47 offset1:1
	s_waitcnt lgkmcnt(1)
	v_ashrrev_i32_e32 v192, s14, v192
	v_ashrrev_i32_e32 v193, s14, v193
	v_lshlrev_b32_e32 v192, 2, v192
	v_lshlrev_b32_e32 v193, 2, v193
	v_and_b32_e32 v192, 0x4040404, v192
	v_and_b32_e32 v193, 0x4040404, v193
	s_waitcnt lgkmcnt(0)
	v_ashrrev_i32_e32 v47, s16, v47
	v_lshrrev_b16 v201, 8, v192
	v_lshrrev_b32_e32 v199, 16, v192
	v_lshrrev_b32_e32 v200, 24, v192
	;; [unrolled: 47-line block ×3, first 2 shown]
	v_and_b32_e32 v196, 0x3030303, v47
	v_bfe_u32 v47, v47, 24, 2
	v_lshrrev_b16 v199, 8, v196
	v_lshrrev_b32_e32 v197, 16, v196
	v_sub_nc_u16 v194, v196, v194
	v_sub_nc_u16 v47, v47, v201
	v_lshrrev_b16 v201, 8, v195
	v_sub_nc_u16 v196, v199, v202
	v_lshrrev_b32_e32 v199, 16, v195
	v_lshlrev_b16 v47, 8, v47
	v_lshlrev_b16 v196, 8, v196
	v_or_b32_sdwa v194, v194, v196 dst_sel:DWORD dst_unused:UNUSED_PAD src0_sel:BYTE_0 src1_sel:DWORD
	v_sub_nc_u16 v196, v197, v200
	v_lshrrev_b32_e32 v200, 24, v195
	v_or_b32_sdwa v47, v196, v47 dst_sel:WORD_1 dst_unused:UNUSED_PAD src0_sel:BYTE_0 src1_sel:DWORD
	v_or_b32_sdwa v194, v194, v47 dst_sel:DWORD dst_unused:UNUSED_PAD src0_sel:WORD_0 src1_sel:DWORD
	v_ashrrev_i32_e32 v47, s16, v48
	v_dot4c_i32_i8 v213, v194, v4
	v_and_b32_e32 v48, 0x3030303, v47
	v_bfe_u32 v47, v47, 24, 2
	v_lshrrev_b16 v197, 8, v48
	v_lshrrev_b32_e32 v196, 16, v48
	v_sub_nc_u16 v48, v48, v195
	v_sub_nc_u16 v47, v47, v200
	;; [unrolled: 1-line block ×3, first 2 shown]
	ds_read2_b32 v[201:202], v206 offset1:1
	v_lshlrev_b16 v47, 8, v47
	v_lshlrev_b16 v195, 8, v195
	v_or_b32_sdwa v48, v48, v195 dst_sel:DWORD dst_unused:UNUSED_PAD src0_sel:BYTE_0 src1_sel:DWORD
	v_sub_nc_u16 v195, v196, v199
	v_or_b32_sdwa v47, v195, v47 dst_sel:WORD_1 dst_unused:UNUSED_PAD src0_sel:BYTE_0 src1_sel:DWORD
	v_or_b32_sdwa v196, v48, v47 dst_sel:DWORD dst_unused:UNUSED_PAD src0_sel:WORD_0 src1_sel:DWORD
	v_add3_u32 v47, s18, v161, v122
	s_waitcnt lgkmcnt(0)
	v_ashrrev_i32_e32 v201, s14, v201
	v_dot4c_i32_i8 v213, v196, v5
	ds_read_b32 v195, v47
	v_add_nc_u32_e32 v47, 0x3180, v198
	v_lshlrev_b32_e32 v201, 2, v201
	ds_read2_b32 v[47:48], v47 offset1:1
	v_and_b32_e32 v201, 0x4040404, v201
	v_lshrrev_b32_e32 v214, 24, v201
	v_lshrrev_b16 v215, 8, v201
	v_lshrrev_b32_e32 v203, 16, v201
	s_waitcnt lgkmcnt(0)
	v_ashrrev_i32_e32 v197, s16, v47
	v_and_b32_e32 v199, 0x3030303, v197
	v_bfe_u32 v197, v197, 24, 2
	v_lshrrev_b16 v200, 8, v199
	v_lshrrev_b32_e32 v47, 16, v199
	v_sub_nc_u16 v197, v197, v214
	v_sub_nc_u16 v199, v199, v201
	v_ashrrev_i32_e32 v201, s14, v202
	v_sub_nc_u16 v200, v200, v215
	v_sub_nc_u16 v47, v47, v203
	v_lshlrev_b16 v197, 8, v197
	v_lshlrev_b32_e32 v201, 2, v201
	v_lshlrev_b16 v200, 8, v200
	v_or_b32_sdwa v47, v47, v197 dst_sel:WORD_1 dst_unused:UNUSED_PAD src0_sel:BYTE_0 src1_sel:DWORD
	v_and_b32_e32 v201, 0x4040404, v201
	v_or_b32_sdwa v199, v199, v200 dst_sel:DWORD dst_unused:UNUSED_PAD src0_sel:BYTE_0 src1_sel:DWORD
	v_lshrrev_b32_e32 v203, 24, v201
	v_or_b32_sdwa v200, v199, v47 dst_sel:DWORD dst_unused:UNUSED_PAD src0_sel:WORD_0 src1_sel:DWORD
	v_ashrrev_i32_e32 v47, s16, v48
	v_lshrrev_b16 v214, 8, v201
	v_lshrrev_b32_e32 v202, 16, v201
	v_and_b32_e32 v48, 0x3030303, v47
	v_bfe_u32 v47, v47, 24, 2
	v_lshrrev_b16 v199, 8, v48
	v_lshrrev_b32_e32 v197, 16, v48
	v_sub_nc_u16 v47, v47, v203
	v_sub_nc_u16 v48, v48, v201
	;; [unrolled: 1-line block ×4, first 2 shown]
	v_lshlrev_b16 v47, 8, v47
	ds_read2_b32 v[202:203], v206 offset0:2 offset1:3
	v_lshlrev_b16 v199, 8, v199
	v_or_b32_sdwa v47, v197, v47 dst_sel:WORD_1 dst_unused:UNUSED_PAD src0_sel:BYTE_0 src1_sel:DWORD
	v_or_b32_sdwa v48, v48, v199 dst_sel:DWORD dst_unused:UNUSED_PAD src0_sel:BYTE_0 src1_sel:DWORD
	v_or_b32_sdwa v201, v48, v47 dst_sel:DWORD dst_unused:UNUSED_PAD src0_sel:WORD_0 src1_sel:DWORD
	v_add_nc_u32_e32 v47, 0x3188, v198
	ds_read2_b32 v[47:48], v47 offset1:1
	s_waitcnt lgkmcnt(1)
	v_ashrrev_i32_e32 v202, s14, v202
	v_ashrrev_i32_e32 v203, s14, v203
	v_lshlrev_b32_e32 v202, 2, v202
	v_lshlrev_b32_e32 v203, 2, v203
	v_and_b32_e32 v202, 0x4040404, v202
	v_and_b32_e32 v203, 0x4040404, v203
	v_lshrrev_b32_e32 v216, 24, v202
	v_lshrrev_b16 v217, 8, v202
	v_lshrrev_b32_e32 v215, 16, v202
	s_waitcnt lgkmcnt(0)
	v_ashrrev_i32_e32 v47, s16, v47
	v_and_b32_e32 v197, 0x3030303, v47
	v_bfe_u32 v47, v47, 24, 2
	v_lshrrev_b16 v214, 8, v197
	v_lshrrev_b32_e32 v199, 16, v197
	v_sub_nc_u16 v197, v197, v202
	v_sub_nc_u16 v47, v47, v216
	v_lshrrev_b16 v216, 8, v203
	v_sub_nc_u16 v202, v214, v217
	v_sub_nc_u16 v199, v199, v215
	v_lshrrev_b32_e32 v215, 24, v203
	v_lshrrev_b32_e32 v214, 16, v203
	v_lshlrev_b16 v47, 8, v47
	v_lshlrev_b16 v202, 8, v202
	v_or_b32_sdwa v47, v199, v47 dst_sel:WORD_1 dst_unused:UNUSED_PAD src0_sel:BYTE_0 src1_sel:DWORD
	v_or_b32_sdwa v197, v197, v202 dst_sel:DWORD dst_unused:UNUSED_PAD src0_sel:BYTE_0 src1_sel:DWORD
	v_or_b32_sdwa v202, v197, v47 dst_sel:DWORD dst_unused:UNUSED_PAD src0_sel:WORD_0 src1_sel:DWORD
	v_ashrrev_i32_e32 v47, s16, v48
	v_and_b32_e32 v48, 0x3030303, v47
	v_bfe_u32 v47, v47, 24, 2
	v_lshrrev_b16 v199, 8, v48
	v_lshrrev_b32_e32 v197, 16, v48
	v_sub_nc_u16 v47, v47, v215
	v_sub_nc_u16 v48, v48, v203
	;; [unrolled: 1-line block ×4, first 2 shown]
	v_lshlrev_b16 v47, 8, v47
	ds_read2_b32 v[216:217], v206 offset0:4 offset1:5
	v_lshlrev_b16 v199, 8, v199
	v_or_b32_sdwa v47, v197, v47 dst_sel:WORD_1 dst_unused:UNUSED_PAD src0_sel:BYTE_0 src1_sel:DWORD
	v_or_b32_sdwa v48, v48, v199 dst_sel:DWORD dst_unused:UNUSED_PAD src0_sel:BYTE_0 src1_sel:DWORD
	v_or_b32_sdwa v203, v48, v47 dst_sel:DWORD dst_unused:UNUSED_PAD src0_sel:WORD_0 src1_sel:DWORD
	v_add_nc_u32_e32 v47, 0x3190, v198
	ds_read2_b32 v[214:215], v47 offset1:1
	s_waitcnt lgkmcnt(0)
	v_ashrrev_i32_e32 v47, s16, v214
	v_ashrrev_i32_e32 v214, s14, v216
	v_and_b32_e32 v48, 0x3030303, v47
	v_lshlrev_b32_e32 v214, 2, v214
	v_bfe_u32 v47, v47, 24, 2
	v_lshrrev_b16 v199, 8, v48
	v_and_b32_e32 v214, 0x4040404, v214
	v_lshrrev_b32_e32 v197, 16, v48
	v_lshrrev_b32_e32 v218, 24, v214
	v_lshrrev_b16 v219, 8, v214
	v_lshrrev_b32_e32 v216, 16, v214
	v_sub_nc_u16 v48, v48, v214
	v_sub_nc_u16 v47, v47, v218
	;; [unrolled: 1-line block ×4, first 2 shown]
	v_lshlrev_b16 v47, 8, v47
	v_lshlrev_b16 v199, 8, v199
	v_or_b32_sdwa v47, v197, v47 dst_sel:WORD_1 dst_unused:UNUSED_PAD src0_sel:BYTE_0 src1_sel:DWORD
	v_or_b32_sdwa v48, v48, v199 dst_sel:DWORD dst_unused:UNUSED_PAD src0_sel:BYTE_0 src1_sel:DWORD
	v_or_b32_sdwa v48, v48, v47 dst_sel:DWORD dst_unused:UNUSED_PAD src0_sel:WORD_0 src1_sel:DWORD
	v_ashrrev_i32_e32 v47, s16, v215
	v_ashrrev_i32_e32 v215, s14, v217
	v_and_b32_e32 v197, 0x3030303, v47
	v_lshlrev_b32_e32 v215, 2, v215
	v_bfe_u32 v47, v47, 24, 2
	v_lshrrev_b16 v214, 8, v197
	v_and_b32_e32 v215, 0x4040404, v215
	v_lshrrev_b32_e32 v199, 16, v197
	v_lshrrev_b32_e32 v217, 24, v215
	v_lshrrev_b16 v218, 8, v215
	v_lshrrev_b32_e32 v216, 16, v215
	v_sub_nc_u16 v197, v197, v215
	v_sub_nc_u16 v47, v47, v217
	;; [unrolled: 1-line block ×4, first 2 shown]
	v_lshlrev_b16 v47, 8, v47
	v_lshlrev_b16 v214, 8, v214
	v_or_b32_sdwa v47, v199, v47 dst_sel:WORD_1 dst_unused:UNUSED_PAD src0_sel:BYTE_0 src1_sel:DWORD
	v_or_b32_sdwa v197, v197, v214 dst_sel:DWORD dst_unused:UNUSED_PAD src0_sel:BYTE_0 src1_sel:DWORD
	ds_read2_b32 v[214:215], v206 offset0:6 offset1:7
	v_or_b32_sdwa v197, v197, v47 dst_sel:DWORD dst_unused:UNUSED_PAD src0_sel:WORD_0 src1_sel:DWORD
	v_add_nc_u32_e32 v47, 0x3198, v198
	ds_read2_b32 v[198:199], v47 offset1:1
	s_waitcnt lgkmcnt(1)
	v_ashrrev_i32_e32 v206, s14, v214
	v_ashrrev_i32_e32 v215, s14, v215
	s_add_i32 s14, s14, 1
	s_cmp_lt_u32 s15, 22
	v_lshlrev_b32_e32 v206, 2, v206
	v_lshlrev_b32_e32 v215, 2, v215
	s_waitcnt lgkmcnt(0)
	v_ashrrev_i32_e32 v47, s16, v198
	v_and_b32_e32 v206, 0x4040404, v206
	v_and_b32_e32 v215, 0x4040404, v215
	;; [unrolled: 1-line block ×3, first 2 shown]
	v_lshrrev_b16 v219, 8, v206
	v_bfe_u32 v47, v47, 24, 2
	v_lshrrev_b32_e32 v214, 16, v206
	v_lshrrev_b32_e32 v218, 24, v206
	v_lshrrev_b16 v217, 8, v198
	v_lshrrev_b32_e32 v216, 16, v198
	v_sub_nc_u16 v198, v198, v206
	v_sub_nc_u16 v47, v47, v218
	;; [unrolled: 1-line block ×3, first 2 shown]
	v_lshrrev_b16 v218, 8, v215
	v_lshrrev_b32_e32 v217, 24, v215
	v_lshlrev_b16 v47, 8, v47
	v_lshlrev_b16 v206, 8, v206
	v_or_b32_sdwa v198, v198, v206 dst_sel:DWORD dst_unused:UNUSED_PAD src0_sel:BYTE_0 src1_sel:DWORD
	v_sub_nc_u16 v206, v216, v214
	v_lshrrev_b32_e32 v216, 16, v215
	v_or_b32_sdwa v47, v206, v47 dst_sel:WORD_1 dst_unused:UNUSED_PAD src0_sel:BYTE_0 src1_sel:DWORD
	v_or_b32_sdwa v198, v198, v47 dst_sel:DWORD dst_unused:UNUSED_PAD src0_sel:WORD_0 src1_sel:DWORD
	v_ashrrev_i32_e32 v47, s16, v199
	v_and_b32_e32 v199, 0x3030303, v47
	v_bfe_u32 v47, v47, 24, 2
	v_lshrrev_b16 v214, 8, v199
	v_lshrrev_b32_e32 v206, 16, v199
	v_sub_nc_u16 v199, v199, v215
	v_sub_nc_u16 v47, v47, v217
	v_mov_b32_e32 v217, 0
	v_sub_nc_u16 v214, v214, v218
	v_sub_nc_u16 v206, v206, v216
	v_mov_b32_e32 v216, 0
	v_lshlrev_b16 v47, 8, v47
	v_mov_b32_e32 v218, 0
	v_lshlrev_b16 v214, 8, v214
	v_add_nc_u32_e32 v215, s17, v131
	v_dot4c_i32_i8 v216, v48, v2
	v_or_b32_sdwa v47, v206, v47 dst_sel:WORD_1 dst_unused:UNUSED_PAD src0_sel:BYTE_0 src1_sel:DWORD
	s_mov_b32 s17, s15
	v_or_b32_sdwa v199, v199, v214 dst_sel:DWORD dst_unused:UNUSED_PAD src0_sel:BYTE_0 src1_sel:DWORD
	v_mov_b32_e32 v214, 0
	v_dot4c_i32_i8 v216, v197, v3
	v_or_b32_sdwa v199, v199, v47 dst_sel:DWORD dst_unused:UNUSED_PAD src0_sel:WORD_0 src1_sel:DWORD
	v_dot4c_i32_i8 v214, v200, v6
	v_add3_u32 v47, s18, v163, v124
	v_dot4c_i32_i8 v216, v198, v4
	v_dot4c_i32_i8 v214, v201, v7
	ds_read_b32 v47, v47
	v_dot4c_i32_i8 v216, v199, v5
	v_dot4c_i32_i8 v214, v202, v8
	;; [unrolled: 1-line block ×3, first 2 shown]
	ds_read_b128 v[6:9], v168 offset:1024
	ds_read_b128 v[2:5], v168 offset:1040
	ds_read_u16 v205, v205 offset:33522
	s_waitcnt lgkmcnt(2)
	v_dot4c_i32_i8 v217, v170, v6
	s_waitcnt lgkmcnt(1)
	v_dot4c_i32_i8 v218, v174, v2
	s_waitcnt lgkmcnt(0)
	v_lshrrev_b16 v206, 8, v205
	v_bfe_i32 v205, v205, 0, 8
	v_dot4c_i32_i8 v217, v171, v7
	v_dot4c_i32_i8 v218, v175, v3
	v_bfe_i32 v206, v206, 0, 8
	v_dot4c_i32_i8 v217, v172, v8
	v_dot4c_i32_i8 v218, v176, v4
	v_mul_lo_u32 v207, v207, v206
	v_dot4c_i32_i8 v217, v173, v9
	v_dot4c_i32_i8 v218, v178, v5
	v_mul_lo_u32 v217, v217, v205
	v_mad_u64_u32 v[217:218], null, v218, v206, v[217:218]
	v_mad_u64_u32 v[218:219], null, v204, v205, v[207:208]
	v_mul_f32_e32 v204, v177, v45
	v_mul_f32_e32 v207, v177, v46
	v_mov_b32_e32 v219, 0
	v_cvt_f32_i32_e32 v217, v217
	v_cvt_f32_i32_e32 v218, v218
	v_fma_f32 v11, v207, v217, v11
	v_mov_b32_e32 v217, 0
	v_fmac_f32_e32 v10, v204, v218
	ds_read_u16 v204, v209 offset:34546
	v_mov_b32_e32 v218, 0
	v_dot4c_i32_i8 v217, v181, v6
	v_dot4c_i32_i8 v218, v179, v2
	;; [unrolled: 1-line block ×7, first 2 shown]
	s_waitcnt lgkmcnt(0)
	v_lshrrev_b16 v207, 8, v204
	v_bfe_i32 v204, v204, 0, 8
	v_dot4c_i32_i8 v218, v187, v5
	v_bfe_i32 v207, v207, 0, 8
	v_mul_lo_u32 v209, v210, v207
	v_mul_lo_u32 v210, v217, v204
	v_mad_u64_u32 v[217:218], null, v218, v207, v[210:211]
                                        ; kill: def $vgpr210 killed $sgpr0 killed $exec
	v_mad_u64_u32 v[208:209], null, v208, v204, v[209:210]
	v_mul_f32_e32 v209, v186, v45
	v_mul_f32_e32 v210, v186, v46
	v_mov_b32_e32 v218, 0
	v_cvt_f32_i32_e32 v217, v217
	v_cvt_f32_i32_e32 v208, v208
	v_dot4c_i32_i8 v218, v192, v2
	v_fma_f32 v40, v210, v217, v40
	v_mov_b32_e32 v217, 0
	v_fmac_f32_e32 v39, v209, v208
	ds_read_u16 v208, v212 offset:35570
	v_dot4c_i32_i8 v218, v193, v3
	v_dot4c_i32_i8 v217, v188, v6
	;; [unrolled: 1-line block ×7, first 2 shown]
	s_waitcnt lgkmcnt(0)
	v_lshrrev_b16 v209, 8, v208
	v_bfe_i32 v208, v208, 0, 8
	v_bfe_i32 v209, v209, 0, 8
	v_mul_lo_u32 v212, v217, v208
	v_mov_b32_e32 v217, 0
	v_mul_lo_u32 v210, v213, v209
                                        ; kill: def $vgpr213 killed $sgpr0 killed $exec
	v_mad_u64_u32 v[212:213], null, v218, v209, v[212:213]
	v_mul_f32_e32 v213, v195, v46
	v_mov_b32_e32 v218, 0
	v_mad_u64_u32 v[210:211], null, v211, v208, v[210:211]
	v_mul_f32_e32 v211, v195, v45
	v_cvt_f32_i32_e32 v212, v212
	v_cvt_f32_i32_e32 v210, v210
	v_fma_f32 v42, v213, v212, v42
	v_fmac_f32_e32 v41, v211, v210
	v_mov_b32_e32 v210, 0
	v_dot4c_i32_i8 v210, v200, v6
	v_mov_b32_e32 v6, 0
	v_dot4c_i32_i8 v210, v201, v7
	v_dot4c_i32_i8 v6, v48, v2
	ds_read_u16 v2, v215 offset:36594
	v_mov_b32_e32 v215, 0
	v_dot4c_i32_i8 v210, v202, v8
	v_dot4c_i32_i8 v6, v197, v3
	;; [unrolled: 1-line block ×4, first 2 shown]
                                        ; kill: def $vgpr4 killed $sgpr0 killed $exec
	v_dot4c_i32_i8 v6, v199, v5
	s_waitcnt lgkmcnt(0)
	v_lshrrev_b16 v3, 8, v2
	v_bfe_i32 v8, v2, 0, 8
	v_bfe_i32 v9, v3, 0, 8
	v_mul_lo_u32 v3, v210, v8
	v_mul_lo_u32 v2, v216, v9
	v_mov_b32_e32 v216, 0
	v_mad_u64_u32 v[3:4], null, v6, v9, v[3:4]
	v_mad_u64_u32 v[4:5], null, v214, v8, v[2:3]
	v_mul_f32_e32 v2, v47, v45
	v_mul_f32_e32 v5, v47, v46
	v_cvt_f32_i32_e32 v3, v3
	v_mov_b32_e32 v45, 0
	v_mov_b32_e32 v46, 0
	;; [unrolled: 1-line block ×3, first 2 shown]
	v_cvt_f32_i32_e32 v4, v4
	v_fma_f32 v44, v5, v3, v44
	v_fmac_f32_e32 v43, v2, v4
	ds_read2_b32 v[6:7], v169 offset0:64 offset1:96
	ds_read_b128 v[210:213], v168 offset:2048
	ds_read_b128 v[2:5], v168 offset:2064
	s_waitcnt lgkmcnt(1)
	v_dot4c_i32_i8 v45, v170, v210
	s_waitcnt lgkmcnt(0)
	v_dot4c_i32_i8 v46, v174, v2
	v_dot4c_i32_i8 v216, v181, v210
	;; [unrolled: 1-line block ×31, first 2 shown]
	ds_read_b128 v[2:5], v168 offset:3072
	ds_read_b128 v[210:213], v168 offset:3088
	v_mul_lo_u32 v46, v46, v206
	v_mad_u64_u32 v[45:46], null, v45, v205, v[46:47]
	v_mul_f32_e32 v46, v177, v6
	v_cvt_f32_i32_e32 v45, v45
	s_waitcnt lgkmcnt(1)
	v_dot4c_i32_i8 v214, v170, v2
	s_waitcnt lgkmcnt(0)
	v_dot4c_i32_i8 v215, v174, v210
	v_fmac_f32_e32 v35, v46, v45
	v_mov_b32_e32 v46, 0
	v_dot4c_i32_i8 v214, v171, v3
	v_dot4c_i32_i8 v215, v175, v211
	v_mul_lo_u32 v45, v217, v207
	v_mov_b32_e32 v217, 0
	v_dot4c_i32_i8 v46, v181, v2
	v_dot4c_i32_i8 v214, v172, v4
	;; [unrolled: 1-line block ×7, first 2 shown]
	v_mul_lo_u32 v214, v214, v205
	v_dot4c_i32_i8 v46, v185, v5
	v_mad_u64_u32 v[214:215], null, v215, v206, v[214:215]
	v_mul_f32_e32 v215, v177, v7
	v_mul_lo_u32 v46, v46, v204
	v_cvt_f32_i32_e32 v214, v214
	v_fma_f32 v36, v215, v214, v36
	v_mov_b32_e32 v214, 0
	v_dot4c_i32_i8 v214, v179, v210
	v_dot4c_i32_i8 v214, v180, v211
	;; [unrolled: 1-line block ×4, first 2 shown]
	v_mad_u64_u32 v[214:215], null, v214, v207, v[46:47]
                                        ; kill: def $vgpr46 killed $sgpr0 killed $exec
	v_mul_f32_e32 v215, v186, v7
	v_mad_u64_u32 v[45:46], null, v216, v204, v[45:46]
	v_mul_f32_e32 v46, v186, v6
	v_mov_b32_e32 v216, 0
	v_cvt_f32_i32_e32 v214, v214
	v_cvt_f32_i32_e32 v45, v45
	v_fma_f32 v38, v215, v214, v38
	v_mov_b32_e32 v214, 0
	v_fmac_f32_e32 v37, v46, v45
	v_mov_b32_e32 v46, 0
	v_mul_lo_u32 v45, v219, v209
	v_dot4c_i32_i8 v214, v192, v210
	v_mov_b32_e32 v219, 0
	v_dot4c_i32_i8 v46, v188, v2
	v_dot4c_i32_i8 v214, v193, v211
	;; [unrolled: 1-line block ×7, first 2 shown]
	v_mul_lo_u32 v46, v46, v208
	v_mad_u64_u32 v[214:215], null, v214, v209, v[46:47]
                                        ; kill: def $vgpr46 killed $sgpr0 killed $exec
	v_mul_f32_e32 v215, v195, v7
	v_mad_u64_u32 v[45:46], null, v218, v208, v[45:46]
	v_mul_f32_e32 v46, v195, v6
	v_mov_b32_e32 v218, 0
	v_cvt_f32_i32_e32 v214, v214
	v_cvt_f32_i32_e32 v45, v45
	v_fma_f32 v32, v215, v214, v32
	v_mov_b32_e32 v214, 0
	v_fmac_f32_e32 v31, v46, v45
	v_mov_b32_e32 v45, 0
	v_mov_b32_e32 v46, 0
	v_dot4c_i32_i8 v45, v200, v2
	v_mul_lo_u32 v2, v221, v9
	v_mov_b32_e32 v221, 0
	v_dot4c_i32_i8 v45, v201, v3
	v_dot4c_i32_i8 v45, v202, v4
	v_mov_b32_e32 v4, 0
	v_dot4c_i32_i8 v45, v203, v5
	v_dot4c_i32_i8 v4, v48, v210
	v_mul_lo_u32 v3, v45, v8
	v_dot4c_i32_i8 v4, v197, v211
	v_mov_b32_e32 v45, 0
	v_dot4c_i32_i8 v4, v198, v212
	v_dot4c_i32_i8 v4, v199, v213
	v_mad_u64_u32 v[3:4], null, v4, v9, v[3:4]
	v_mad_u64_u32 v[4:5], null, v220, v8, v[2:3]
	v_mul_f32_e32 v2, v47, v6
	v_mul_f32_e32 v5, v47, v7
	v_cvt_f32_i32_e32 v3, v3
	v_mov_b32_e32 v220, 0
	v_cvt_f32_i32_e32 v4, v4
	v_fma_f32 v34, v5, v3, v34
	v_fmac_f32_e32 v33, v2, v4
	ds_read2_b32 v[2:3], v169 offset0:128 offset1:160
	ds_read_b128 v[4:7], v168 offset:4096
	ds_read_b128 v[210:213], v168 offset:4112
	s_waitcnt lgkmcnt(1)
	v_dot4c_i32_i8 v216, v170, v4
	s_waitcnt lgkmcnt(0)
	v_dot4c_i32_i8 v45, v174, v210
	v_dot4c_i32_i8 v217, v181, v4
	;; [unrolled: 1-line block ×31, first 2 shown]
	ds_read_b128 v[4:7], v168 offset:5120
	ds_read_b128 v[210:213], v168 offset:5136
	v_mul_lo_u32 v45, v45, v206
	s_waitcnt lgkmcnt(1)
	v_dot4c_i32_i8 v46, v170, v4
	s_waitcnt lgkmcnt(0)
	v_dot4c_i32_i8 v214, v174, v210
	v_dot4c_i32_i8 v46, v171, v5
	;; [unrolled: 1-line block ×7, first 2 shown]
	v_mul_lo_u32 v46, v46, v205
	v_mad_u64_u32 v[214:215], null, v214, v206, v[46:47]
                                        ; kill: def $vgpr46 killed $sgpr0 killed $exec
	v_mul_f32_e32 v215, v177, v3
	v_mad_u64_u32 v[45:46], null, v216, v205, v[45:46]
	v_mul_f32_e32 v46, v177, v2
	v_mov_b32_e32 v216, 0
	v_cvt_f32_i32_e32 v214, v214
	v_cvt_f32_i32_e32 v45, v45
	v_fma_f32 v26, v215, v214, v26
	v_mov_b32_e32 v214, 0
	v_fmac_f32_e32 v25, v46, v45
	v_mov_b32_e32 v46, 0
	v_mul_lo_u32 v45, v218, v207
	v_dot4c_i32_i8 v214, v179, v210
	v_mov_b32_e32 v218, 0
	v_dot4c_i32_i8 v46, v181, v4
	v_dot4c_i32_i8 v214, v180, v211
	;; [unrolled: 1-line block ×7, first 2 shown]
	v_mul_lo_u32 v46, v46, v204
	v_mad_u64_u32 v[214:215], null, v214, v207, v[46:47]
                                        ; kill: def $vgpr46 killed $sgpr0 killed $exec
	v_mul_f32_e32 v215, v186, v3
	v_mad_u64_u32 v[45:46], null, v217, v204, v[45:46]
	v_mul_f32_e32 v46, v186, v2
	v_mov_b32_e32 v217, 0
	v_cvt_f32_i32_e32 v214, v214
	v_cvt_f32_i32_e32 v45, v45
	v_fma_f32 v28, v215, v214, v28
	v_mov_b32_e32 v214, 0
	v_fmac_f32_e32 v27, v46, v45
	v_mov_b32_e32 v46, 0
	v_mul_lo_u32 v45, v220, v209
	v_dot4c_i32_i8 v214, v192, v210
	v_mov_b32_e32 v220, 0
	v_dot4c_i32_i8 v46, v188, v4
	v_dot4c_i32_i8 v214, v193, v211
	;; [unrolled: 1-line block ×7, first 2 shown]
	v_mul_lo_u32 v46, v46, v208
	v_mad_u64_u32 v[214:215], null, v214, v209, v[46:47]
                                        ; kill: def $vgpr46 killed $sgpr0 killed $exec
	v_mul_f32_e32 v215, v195, v3
	v_mad_u64_u32 v[45:46], null, v219, v208, v[45:46]
	v_mul_f32_e32 v46, v195, v2
	v_mul_f32_e32 v2, v47, v2
	;; [unrolled: 1-line block ×3, first 2 shown]
	v_cvt_f32_i32_e32 v214, v214
	v_mov_b32_e32 v219, 0
	v_cvt_f32_i32_e32 v45, v45
	v_fma_f32 v30, v215, v214, v30
	v_mov_b32_e32 v214, 0
	v_mov_b32_e32 v215, 0
	v_fmac_f32_e32 v29, v46, v45
	v_mov_b32_e32 v45, 0
	v_mov_b32_e32 v46, 0
	v_dot4c_i32_i8 v45, v200, v4
	v_mul_lo_u32 v4, v222, v9
	v_dot4c_i32_i8 v45, v201, v5
	v_dot4c_i32_i8 v45, v202, v6
	v_mov_b32_e32 v6, 0
	v_dot4c_i32_i8 v45, v203, v7
	v_dot4c_i32_i8 v6, v48, v210
	v_mul_lo_u32 v5, v45, v8
	v_dot4c_i32_i8 v6, v197, v211
	v_mov_b32_e32 v45, 0
	v_dot4c_i32_i8 v6, v198, v212
	v_dot4c_i32_i8 v6, v199, v213
	v_mad_u64_u32 v[5:6], null, v6, v9, v[5:6]
	v_mad_u64_u32 v[6:7], null, v221, v8, v[4:5]
	v_cvt_f32_i32_e32 v5, v5
	v_fma_f32 v24, v3, v5, v24
	v_cvt_f32_i32_e32 v4, v6
	v_fmac_f32_e32 v23, v2, v4
	ds_read2_b32 v[6:7], v169 offset0:192 offset1:224
	ds_read_b128 v[2:5], v168 offset:6144
	ds_read_b128 v[210:213], v168 offset:6160
	v_add_nc_u32_e32 v169, 4, v169
	s_waitcnt lgkmcnt(1)
	v_dot4c_i32_i8 v214, v170, v2
	s_waitcnt lgkmcnt(0)
	v_dot4c_i32_i8 v215, v174, v210
	v_dot4c_i32_i8 v216, v181, v2
	;; [unrolled: 1-line block ×31, first 2 shown]
	ds_read_b128 v[210:213], v168 offset:7168
	ds_read_b128 v[2:5], v168 offset:7184
	v_add_nc_u32_e32 v168, 32, v168
	s_waitcnt lgkmcnt(1)
	v_dot4c_i32_i8 v220, v170, v210
	v_mul_lo_u32 v170, v215, v206
	v_dot4c_i32_i8 v220, v171, v211
	v_dot4c_i32_i8 v220, v172, v212
	v_mov_b32_e32 v172, 0
	v_dot4c_i32_i8 v220, v173, v213
	s_waitcnt lgkmcnt(0)
	v_dot4c_i32_i8 v172, v174, v2
	v_mul_lo_u32 v171, v220, v205
	v_dot4c_i32_i8 v172, v175, v3
	v_dot4c_i32_i8 v172, v176, v4
	;; [unrolled: 1-line block ×3, first 2 shown]
	v_mad_u64_u32 v[171:172], null, v172, v206, v[171:172]
	v_mad_u64_u32 v[172:173], null, v214, v205, v[170:171]
	v_mul_f32_e32 v173, v177, v7
	v_cvt_f32_i32_e32 v171, v171
	v_mul_f32_e32 v170, v177, v6
	v_fma_f32 v14, v173, v171, v14
	v_mov_b32_e32 v171, 0
	v_cvt_f32_i32_e32 v172, v172
	v_dot4c_i32_i8 v171, v181, v210
	v_fmac_f32_e32 v13, v170, v172
	v_mov_b32_e32 v172, 0
	v_mul_lo_u32 v170, v217, v207
	v_dot4c_i32_i8 v171, v182, v211
	v_dot4c_i32_i8 v172, v179, v2
	;; [unrolled: 1-line block ×6, first 2 shown]
	v_mul_lo_u32 v171, v171, v204
	v_dot4c_i32_i8 v172, v187, v5
	v_mad_u64_u32 v[171:172], null, v172, v207, v[171:172]
	v_mad_u64_u32 v[172:173], null, v216, v204, v[170:171]
	v_mul_f32_e32 v173, v186, v7
	v_cvt_f32_i32_e32 v171, v171
	v_mul_f32_e32 v170, v186, v6
	v_fma_f32 v16, v173, v171, v16
	v_mov_b32_e32 v171, 0
	v_cvt_f32_i32_e32 v172, v172
	v_dot4c_i32_i8 v171, v188, v210
	v_fmac_f32_e32 v15, v170, v172
	v_mov_b32_e32 v172, 0
	v_mul_lo_u32 v170, v219, v209
	v_dot4c_i32_i8 v171, v189, v211
	v_dot4c_i32_i8 v172, v192, v2
	;; [unrolled: 1-line block ×6, first 2 shown]
	v_mul_lo_u32 v171, v171, v208
	v_dot4c_i32_i8 v172, v196, v5
	v_mad_u64_u32 v[171:172], null, v172, v209, v[171:172]
	v_mad_u64_u32 v[172:173], null, v218, v208, v[170:171]
	v_mul_f32_e32 v170, v195, v6
	v_mul_f32_e32 v173, v195, v7
	v_cvt_f32_i32_e32 v171, v171
	v_cvt_f32_i32_e32 v172, v172
	v_fma_f32 v18, v173, v171, v18
	v_mov_b32_e32 v171, 0
	v_fmac_f32_e32 v17, v170, v172
	v_mov_b32_e32 v170, 0
	v_dot4c_i32_i8 v171, v48, v2
	v_dot4c_i32_i8 v170, v200, v210
	;; [unrolled: 1-line block ×3, first 2 shown]
                                        ; kill: def $vgpr3 killed $sgpr0 killed $exec
	v_dot4c_i32_i8 v170, v201, v211
	v_dot4c_i32_i8 v171, v198, v4
	v_mul_lo_u32 v4, v46, v9
	v_dot4c_i32_i8 v170, v202, v212
	v_dot4c_i32_i8 v171, v199, v5
	;; [unrolled: 1-line block ×3, first 2 shown]
	v_mul_lo_u32 v2, v170, v8
	v_mad_u64_u32 v[2:3], null, v171, v9, v[2:3]
	v_mad_u64_u32 v[3:4], null, v45, v8, v[4:5]
	v_mul_f32_e32 v4, v47, v6
	v_mul_f32_e32 v5, v47, v7
	v_cvt_f32_i32_e32 v2, v2
	v_cvt_f32_i32_e32 v3, v3
	v_fma_f32 v20, v5, v2, v20
	v_fmac_f32_e32 v19, v4, v3
	s_cbranch_scc1 .LBB149_12
; %bb.13:                               ;   in Loop: Header=BB149_6 Depth=1
	v_add_nc_u32_e32 v168, s0, v127
	v_add_nc_u32_e32 v47, 12, v167
	s_barrier
	buffer_gl0_inv
	v_add_nc_u32_e32 v2, v168, v109
	v_add_nc_u32_e32 v4, v168, v110
	;; [unrolled: 1-line block ×5, first 2 shown]
	v_mad_u64_u32 v[47:48], null, v47, 36, s[2:3]
	v_mad_i64_i32 v[2:3], null, v2, 36, v[21:22]
	v_add_nc_u32_e32 v167, v168, v114
	v_mad_i64_i32 v[4:5], null, v4, 36, v[21:22]
	v_add_nc_u32_e32 v169, v168, v115
	;; [unrolled: 2-line block ×3, first 2 shown]
	v_mad_i64_i32 v[8:9], null, v8, 36, v[21:22]
	v_mad_i64_i32 v[45:46], null, v45, 36, v[21:22]
	;; [unrolled: 1-line block ×5, first 2 shown]
	s_clause 0x8
	global_load_dword v47, v[47:48], off
	global_load_dword v2, v[2:3], off offset:4
	global_load_dword v3, v[4:5], off offset:4
	;; [unrolled: 1-line block ×8, first 2 shown]
	v_mov_b32_e32 v167, v137
	v_mov_b32_e32 v168, v136
	s_mov_b32 s0, 24
	s_mov_b32 s16, 22
	;; [unrolled: 1-line block ×3, first 2 shown]
	s_waitcnt vmcnt(8)
	v_cvt_f32_f16_e32 v45, v47
	s_waitcnt vmcnt(7)
	ds_write_b32 v150, v2
	s_waitcnt vmcnt(6)
	ds_write_b32 v151, v3
	;; [unrolled: 2-line block ×8, first 2 shown]
	ds_write_b32 v108, v45
	s_waitcnt lgkmcnt(0)
	s_barrier
	buffer_gl0_inv
.LBB149_14:                             ;   Parent Loop BB149_6 Depth=1
                                        ; =>  This Inner Loop Header: Depth=2
	s_add_i32 s14, s16, 2
	ds_read2_b32 v[45:46], v168 offset1:32
	ds_read_b128 v[6:9], v167
	ds_read_b128 v[2:5], v167 offset:16
	s_lshr_b32 s17, s14, 4
	s_and_b32 s18, s14, 0x3ffffff8
	s_sub_i32 s15, s16, 22
	v_lshl_add_u32 v197, s18, 2, v117
	s_lshl_b32 s18, s17, 5
	s_lshl_b32 s17, s17, 2
	s_addk_i32 s18, 0x4200
	s_add_i32 s17, s17, 0x9380
	v_add3_u32 v175, s18, v164, v118
	ds_read2_b32 v[47:48], v197 offset1:1
	v_add3_u32 v183, s18, v158, v119
	v_add3_u32 v193, s18, v160, v121
	v_add3_u32 v205, s18, v162, v123
	ds_read2_b32 v[169:170], v175 offset1:1
	v_mov_b32_e32 v203, 0
	v_mov_b32_e32 v206, 0
	;; [unrolled: 1-line block ×6, first 2 shown]
	s_and_b32 s19, s0, -16
	v_mov_b32_e32 v219, 0
	s_add_i32 s16, s16, s19
	v_mov_b32_e32 v220, 0
	v_add_nc_u32_e32 v204, s16, v128
	v_add_nc_u32_e32 v208, s16, v129
	;; [unrolled: 1-line block ×3, first 2 shown]
	v_mov_b32_e32 v221, 0
	s_waitcnt lgkmcnt(1)
	v_ashrrev_i32_e32 v47, s15, v47
	s_waitcnt lgkmcnt(0)
	v_ashrrev_i32_e32 v169, s1, v169
	v_and_b32_e32 v171, 0x3030303, v47
	v_bfe_u32 v47, v47, 24, 2
	v_ashrrev_i32_e32 v170, s1, v170
	v_lshlrev_b32_e32 v169, 2, v169
	v_lshrrev_b16 v173, 8, v171
	v_lshrrev_b32_e32 v172, 16, v171
	v_lshlrev_b32_e32 v170, 2, v170
	v_and_b32_e32 v169, 0x4040404, v169
	v_and_b32_e32 v170, 0x4040404, v170
	v_lshrrev_b16 v177, 8, v169
	v_lshrrev_b32_e32 v174, 16, v169
	v_lshrrev_b32_e32 v176, 24, v169
	v_sub_nc_u16 v169, v171, v169
	v_sub_nc_u16 v171, v173, v177
	v_lshrrev_b32_e32 v173, 16, v170
	v_sub_nc_u16 v47, v47, v176
	v_lshrrev_b16 v176, 8, v170
	v_lshlrev_b16 v171, 8, v171
	v_lshlrev_b16 v47, 8, v47
	v_or_b32_sdwa v169, v169, v171 dst_sel:DWORD dst_unused:UNUSED_PAD src0_sel:BYTE_0 src1_sel:DWORD
	v_sub_nc_u16 v171, v172, v174
	v_lshrrev_b32_e32 v174, 24, v170
	v_or_b32_sdwa v47, v171, v47 dst_sel:WORD_1 dst_unused:UNUSED_PAD src0_sel:BYTE_0 src1_sel:DWORD
	v_or_b32_sdwa v169, v169, v47 dst_sel:DWORD dst_unused:UNUSED_PAD src0_sel:WORD_0 src1_sel:DWORD
	v_ashrrev_i32_e32 v47, s15, v48
	v_dot4c_i32_i8 v203, v169, v6
	v_and_b32_e32 v48, 0x3030303, v47
	v_bfe_u32 v47, v47, 24, 2
	v_lshrrev_b16 v172, 8, v48
	v_lshrrev_b32_e32 v171, 16, v48
	v_sub_nc_u16 v48, v48, v170
	v_sub_nc_u16 v47, v47, v174
	v_sub_nc_u16 v170, v172, v176
	v_lshlrev_b16 v47, 8, v47
	v_lshlrev_b16 v170, 8, v170
	v_or_b32_sdwa v48, v48, v170 dst_sel:DWORD dst_unused:UNUSED_PAD src0_sel:BYTE_0 src1_sel:DWORD
	v_sub_nc_u16 v170, v171, v173
	ds_read2_b32 v[171:172], v175 offset0:2 offset1:3
	v_or_b32_sdwa v47, v170, v47 dst_sel:WORD_1 dst_unused:UNUSED_PAD src0_sel:BYTE_0 src1_sel:DWORD
	v_or_b32_sdwa v170, v48, v47 dst_sel:DWORD dst_unused:UNUSED_PAD src0_sel:WORD_0 src1_sel:DWORD
	ds_read2_b32 v[47:48], v197 offset0:2 offset1:3
	v_dot4c_i32_i8 v203, v170, v7
	s_waitcnt lgkmcnt(1)
	v_ashrrev_i32_e32 v171, s1, v171
	v_ashrrev_i32_e32 v172, s1, v172
	v_lshlrev_b32_e32 v171, 2, v171
	v_lshlrev_b32_e32 v172, 2, v172
	s_waitcnt lgkmcnt(0)
	v_ashrrev_i32_e32 v47, s15, v47
	v_and_b32_e32 v171, 0x4040404, v171
	v_and_b32_e32 v172, 0x4040404, v172
	v_and_b32_e32 v173, 0x3030303, v47
	v_bfe_u32 v47, v47, 24, 2
	v_lshrrev_b16 v179, 8, v171
	v_lshrrev_b32_e32 v177, 16, v171
	v_lshrrev_b32_e32 v178, 24, v171
	v_lshrrev_b16 v176, 8, v173
	v_lshrrev_b32_e32 v174, 16, v173
	v_sub_nc_u16 v171, v173, v171
	v_sub_nc_u16 v47, v47, v178
	v_sub_nc_u16 v173, v176, v179
	v_lshrrev_b16 v178, 8, v172
	v_lshrrev_b32_e32 v176, 16, v172
	v_lshlrev_b16 v47, 8, v47
	v_lshlrev_b16 v173, 8, v173
	v_or_b32_sdwa v171, v171, v173 dst_sel:DWORD dst_unused:UNUSED_PAD src0_sel:BYTE_0 src1_sel:DWORD
	v_sub_nc_u16 v173, v174, v177
	v_lshrrev_b32_e32 v177, 24, v172
	v_or_b32_sdwa v47, v173, v47 dst_sel:WORD_1 dst_unused:UNUSED_PAD src0_sel:BYTE_0 src1_sel:DWORD
	v_or_b32_sdwa v171, v171, v47 dst_sel:DWORD dst_unused:UNUSED_PAD src0_sel:WORD_0 src1_sel:DWORD
	v_ashrrev_i32_e32 v47, s15, v48
	v_dot4c_i32_i8 v203, v171, v8
	v_and_b32_e32 v48, 0x3030303, v47
	v_bfe_u32 v47, v47, 24, 2
	v_lshrrev_b16 v174, 8, v48
	v_lshrrev_b32_e32 v173, 16, v48
	v_sub_nc_u16 v48, v48, v172
	v_sub_nc_u16 v47, v47, v177
	v_sub_nc_u16 v172, v174, v178
	v_lshlrev_b16 v47, 8, v47
	v_lshlrev_b16 v172, 8, v172
	v_or_b32_sdwa v48, v48, v172 dst_sel:DWORD dst_unused:UNUSED_PAD src0_sel:BYTE_0 src1_sel:DWORD
	v_sub_nc_u16 v172, v173, v176
	ds_read2_b32 v[173:174], v175 offset0:4 offset1:5
	v_or_b32_sdwa v47, v172, v47 dst_sel:WORD_1 dst_unused:UNUSED_PAD src0_sel:BYTE_0 src1_sel:DWORD
	v_or_b32_sdwa v172, v48, v47 dst_sel:DWORD dst_unused:UNUSED_PAD src0_sel:WORD_0 src1_sel:DWORD
	ds_read2_b32 v[47:48], v197 offset0:4 offset1:5
	v_dot4c_i32_i8 v203, v172, v9
	s_waitcnt lgkmcnt(1)
	v_ashrrev_i32_e32 v173, s1, v173
	v_ashrrev_i32_e32 v174, s1, v174
	v_lshlrev_b32_e32 v173, 2, v173
	v_lshlrev_b32_e32 v174, 2, v174
	s_waitcnt lgkmcnt(0)
	v_ashrrev_i32_e32 v47, s15, v47
	v_and_b32_e32 v173, 0x4040404, v173
	v_and_b32_e32 v174, 0x4040404, v174
	v_and_b32_e32 v176, 0x3030303, v47
	v_bfe_u32 v47, v47, 24, 2
	v_lshrrev_b16 v181, 8, v173
	v_lshrrev_b32_e32 v179, 16, v173
	v_lshrrev_b32_e32 v180, 24, v173
	v_lshrrev_b16 v178, 8, v176
	v_lshrrev_b32_e32 v177, 16, v176
	v_sub_nc_u16 v173, v176, v173
	v_sub_nc_u16 v47, v47, v180
	v_sub_nc_u16 v176, v178, v181
	v_lshrrev_b16 v180, 8, v174
	v_lshrrev_b32_e32 v178, 16, v174
	;; [unrolled: 46-line block ×3, first 2 shown]
	v_lshlrev_b16 v47, 8, v47
	v_lshlrev_b16 v177, 8, v177
	v_or_b32_sdwa v175, v175, v177 dst_sel:DWORD dst_unused:UNUSED_PAD src0_sel:BYTE_0 src1_sel:DWORD
	v_sub_nc_u16 v177, v178, v180
	v_lshrrev_b32_e32 v180, 24, v176
	v_or_b32_sdwa v47, v177, v47 dst_sel:WORD_1 dst_unused:UNUSED_PAD src0_sel:BYTE_0 src1_sel:DWORD
	v_or_b32_sdwa v175, v175, v47 dst_sel:DWORD dst_unused:UNUSED_PAD src0_sel:WORD_0 src1_sel:DWORD
	v_ashrrev_i32_e32 v47, s15, v48
	v_dot4c_i32_i8 v206, v175, v4
	v_and_b32_e32 v48, 0x3030303, v47
	v_bfe_u32 v47, v47, 24, 2
	v_lshrrev_b16 v178, 8, v48
	v_lshrrev_b32_e32 v177, 16, v48
	v_sub_nc_u16 v48, v48, v176
	v_sub_nc_u16 v47, v47, v180
	v_sub_nc_u16 v176, v178, v181
	v_lshlrev_b16 v47, 8, v47
	v_lshlrev_b16 v176, 8, v176
	v_or_b32_sdwa v48, v48, v176 dst_sel:DWORD dst_unused:UNUSED_PAD src0_sel:BYTE_0 src1_sel:DWORD
	v_sub_nc_u16 v176, v177, v179
	ds_read2_b32 v[178:179], v183 offset1:1
	v_or_b32_sdwa v47, v176, v47 dst_sel:WORD_1 dst_unused:UNUSED_PAD src0_sel:BYTE_0 src1_sel:DWORD
	v_or_b32_sdwa v177, v48, v47 dst_sel:DWORD dst_unused:UNUSED_PAD src0_sel:WORD_0 src1_sel:DWORD
	v_add3_u32 v47, s17, v165, v166
	v_dot4c_i32_i8 v206, v177, v5
	ds_read_b32 v176, v47
	v_add_nc_u32_e32 v47, 0x1080, v197
	s_waitcnt lgkmcnt(1)
	v_ashrrev_i32_e32 v178, s1, v178
	ds_read2_b32 v[47:48], v47 offset1:1
	v_ashrrev_i32_e32 v179, s1, v179
	v_lshlrev_b32_e32 v178, 2, v178
	v_lshlrev_b32_e32 v179, 2, v179
	v_and_b32_e32 v178, 0x4040404, v178
	v_and_b32_e32 v179, 0x4040404, v179
	v_lshrrev_b16 v186, 8, v178
	v_lshrrev_b32_e32 v184, 16, v178
	v_lshrrev_b32_e32 v185, 24, v178
	s_waitcnt lgkmcnt(0)
	v_ashrrev_i32_e32 v47, s15, v47
	v_and_b32_e32 v180, 0x3030303, v47
	v_bfe_u32 v47, v47, 24, 2
	v_lshrrev_b16 v182, 8, v180
	v_lshrrev_b32_e32 v181, 16, v180
	v_sub_nc_u16 v178, v180, v178
	v_sub_nc_u16 v47, v47, v185
	v_lshrrev_b16 v185, 8, v179
	v_sub_nc_u16 v180, v182, v186
	v_lshrrev_b32_e32 v182, 16, v179
	v_lshlrev_b16 v47, 8, v47
	v_lshlrev_b16 v180, 8, v180
	v_or_b32_sdwa v178, v178, v180 dst_sel:DWORD dst_unused:UNUSED_PAD src0_sel:BYTE_0 src1_sel:DWORD
	v_sub_nc_u16 v180, v181, v184
	v_lshrrev_b32_e32 v184, 24, v179
	v_or_b32_sdwa v47, v180, v47 dst_sel:WORD_1 dst_unused:UNUSED_PAD src0_sel:BYTE_0 src1_sel:DWORD
	v_or_b32_sdwa v180, v178, v47 dst_sel:DWORD dst_unused:UNUSED_PAD src0_sel:WORD_0 src1_sel:DWORD
	v_ashrrev_i32_e32 v47, s15, v48
	v_dot4c_i32_i8 v207, v180, v6
	v_and_b32_e32 v48, 0x3030303, v47
	v_bfe_u32 v47, v47, 24, 2
	v_lshrrev_b16 v181, 8, v48
	v_lshrrev_b32_e32 v178, 16, v48
	v_sub_nc_u16 v48, v48, v179
	v_sub_nc_u16 v47, v47, v184
	;; [unrolled: 1-line block ×4, first 2 shown]
	v_lshlrev_b16 v47, 8, v47
	v_lshlrev_b16 v179, 8, v179
	v_or_b32_sdwa v47, v178, v47 dst_sel:WORD_1 dst_unused:UNUSED_PAD src0_sel:BYTE_0 src1_sel:DWORD
	v_or_b32_sdwa v48, v48, v179 dst_sel:DWORD dst_unused:UNUSED_PAD src0_sel:BYTE_0 src1_sel:DWORD
	ds_read2_b32 v[178:179], v183 offset0:2 offset1:3
	v_or_b32_sdwa v181, v48, v47 dst_sel:DWORD dst_unused:UNUSED_PAD src0_sel:WORD_0 src1_sel:DWORD
	v_add_nc_u32_e32 v47, 0x1088, v197
	v_dot4c_i32_i8 v207, v181, v7
	ds_read2_b32 v[47:48], v47 offset1:1
	s_waitcnt lgkmcnt(1)
	v_ashrrev_i32_e32 v178, s1, v178
	v_ashrrev_i32_e32 v179, s1, v179
	v_lshlrev_b32_e32 v178, 2, v178
	v_lshlrev_b32_e32 v179, 2, v179
	s_waitcnt lgkmcnt(0)
	v_ashrrev_i32_e32 v47, s15, v47
	v_and_b32_e32 v178, 0x4040404, v178
	v_and_b32_e32 v179, 0x4040404, v179
	;; [unrolled: 1-line block ×3, first 2 shown]
	v_bfe_u32 v47, v47, 24, 2
	v_lshrrev_b16 v188, 8, v178
	v_lshrrev_b32_e32 v186, 16, v178
	v_lshrrev_b32_e32 v187, 24, v178
	v_lshrrev_b16 v185, 8, v182
	v_lshrrev_b32_e32 v184, 16, v182
	v_sub_nc_u16 v178, v182, v178
	v_sub_nc_u16 v47, v47, v187
	;; [unrolled: 1-line block ×3, first 2 shown]
	v_lshrrev_b16 v187, 8, v179
	v_lshrrev_b32_e32 v185, 16, v179
	v_lshlrev_b16 v47, 8, v47
	v_lshlrev_b16 v182, 8, v182
	v_or_b32_sdwa v178, v178, v182 dst_sel:DWORD dst_unused:UNUSED_PAD src0_sel:BYTE_0 src1_sel:DWORD
	v_sub_nc_u16 v182, v184, v186
	v_lshrrev_b32_e32 v186, 24, v179
	v_or_b32_sdwa v47, v182, v47 dst_sel:WORD_1 dst_unused:UNUSED_PAD src0_sel:BYTE_0 src1_sel:DWORD
	v_or_b32_sdwa v182, v178, v47 dst_sel:DWORD dst_unused:UNUSED_PAD src0_sel:WORD_0 src1_sel:DWORD
	v_ashrrev_i32_e32 v47, s15, v48
	v_dot4c_i32_i8 v207, v182, v8
	v_and_b32_e32 v48, 0x3030303, v47
	v_bfe_u32 v47, v47, 24, 2
	v_lshrrev_b16 v184, 8, v48
	v_lshrrev_b32_e32 v178, 16, v48
	v_sub_nc_u16 v48, v48, v179
	v_sub_nc_u16 v47, v47, v186
	;; [unrolled: 1-line block ×4, first 2 shown]
	v_lshlrev_b16 v47, 8, v47
	v_lshlrev_b16 v179, 8, v179
	v_or_b32_sdwa v47, v178, v47 dst_sel:WORD_1 dst_unused:UNUSED_PAD src0_sel:BYTE_0 src1_sel:DWORD
	v_or_b32_sdwa v48, v48, v179 dst_sel:DWORD dst_unused:UNUSED_PAD src0_sel:BYTE_0 src1_sel:DWORD
	ds_read2_b32 v[178:179], v183 offset0:4 offset1:5
	v_or_b32_sdwa v184, v48, v47 dst_sel:DWORD dst_unused:UNUSED_PAD src0_sel:WORD_0 src1_sel:DWORD
	v_add_nc_u32_e32 v47, 0x1090, v197
	v_dot4c_i32_i8 v207, v184, v9
	ds_read2_b32 v[47:48], v47 offset1:1
	s_waitcnt lgkmcnt(1)
	v_ashrrev_i32_e32 v178, s1, v178
	v_ashrrev_i32_e32 v179, s1, v179
	v_lshlrev_b32_e32 v178, 2, v178
	v_lshlrev_b32_e32 v179, 2, v179
	s_waitcnt lgkmcnt(0)
	v_ashrrev_i32_e32 v47, s15, v47
	v_and_b32_e32 v178, 0x4040404, v178
	v_and_b32_e32 v179, 0x4040404, v179
	;; [unrolled: 1-line block ×3, first 2 shown]
	v_bfe_u32 v47, v47, 24, 2
	v_lshrrev_b16 v190, 8, v178
	v_lshrrev_b32_e32 v188, 16, v178
	v_lshrrev_b32_e32 v189, 24, v178
	v_lshrrev_b16 v187, 8, v185
	v_lshrrev_b32_e32 v186, 16, v185
	v_sub_nc_u16 v178, v185, v178
	v_sub_nc_u16 v47, v47, v189
	;; [unrolled: 1-line block ×3, first 2 shown]
	v_lshrrev_b16 v189, 8, v179
	v_lshrrev_b32_e32 v187, 16, v179
	v_lshlrev_b16 v47, 8, v47
	v_lshlrev_b16 v185, 8, v185
	v_or_b32_sdwa v178, v178, v185 dst_sel:DWORD dst_unused:UNUSED_PAD src0_sel:BYTE_0 src1_sel:DWORD
	v_sub_nc_u16 v185, v186, v188
	v_lshrrev_b32_e32 v188, 24, v179
	v_or_b32_sdwa v47, v185, v47 dst_sel:WORD_1 dst_unused:UNUSED_PAD src0_sel:BYTE_0 src1_sel:DWORD
	v_or_b32_sdwa v178, v178, v47 dst_sel:DWORD dst_unused:UNUSED_PAD src0_sel:WORD_0 src1_sel:DWORD
	v_ashrrev_i32_e32 v47, s15, v48
	v_dot4c_i32_i8 v209, v178, v2
	v_and_b32_e32 v48, 0x3030303, v47
	v_bfe_u32 v47, v47, 24, 2
	v_lshrrev_b16 v186, 8, v48
	v_lshrrev_b32_e32 v185, 16, v48
	v_sub_nc_u16 v48, v48, v179
	v_sub_nc_u16 v47, v47, v188
	;; [unrolled: 1-line block ×3, first 2 shown]
	v_lshlrev_b16 v47, 8, v47
	v_lshlrev_b16 v179, 8, v179
	v_or_b32_sdwa v48, v48, v179 dst_sel:DWORD dst_unused:UNUSED_PAD src0_sel:BYTE_0 src1_sel:DWORD
	v_sub_nc_u16 v179, v185, v187
	ds_read2_b32 v[185:186], v183 offset0:6 offset1:7
	v_or_b32_sdwa v47, v179, v47 dst_sel:WORD_1 dst_unused:UNUSED_PAD src0_sel:BYTE_0 src1_sel:DWORD
	v_or_b32_sdwa v179, v48, v47 dst_sel:DWORD dst_unused:UNUSED_PAD src0_sel:WORD_0 src1_sel:DWORD
	v_add_nc_u32_e32 v47, 0x1098, v197
	v_dot4c_i32_i8 v209, v179, v3
	ds_read2_b32 v[47:48], v47 offset1:1
	s_waitcnt lgkmcnt(1)
	v_ashrrev_i32_e32 v183, s1, v185
	v_ashrrev_i32_e32 v186, s1, v186
	v_lshlrev_b32_e32 v183, 2, v183
	v_lshlrev_b32_e32 v186, 2, v186
	v_and_b32_e32 v183, 0x4040404, v183
	v_and_b32_e32 v186, 0x4040404, v186
	s_waitcnt lgkmcnt(0)
	v_ashrrev_i32_e32 v47, s15, v47
	v_lshrrev_b32_e32 v190, 24, v183
	v_lshrrev_b16 v191, 8, v183
	v_lshrrev_b32_e32 v185, 16, v183
	v_and_b32_e32 v187, 0x3030303, v47
	v_bfe_u32 v47, v47, 24, 2
	v_lshrrev_b16 v189, 8, v187
	v_lshrrev_b32_e32 v188, 16, v187
	v_sub_nc_u16 v183, v187, v183
	v_sub_nc_u16 v47, v47, v190
	v_lshrrev_b16 v190, 8, v186
	v_sub_nc_u16 v187, v189, v191
	v_sub_nc_u16 v185, v188, v185
	v_lshrrev_b32_e32 v189, 24, v186
	v_lshrrev_b32_e32 v188, 16, v186
	v_lshlrev_b16 v47, 8, v47
	v_lshlrev_b16 v187, 8, v187
	v_or_b32_sdwa v47, v185, v47 dst_sel:WORD_1 dst_unused:UNUSED_PAD src0_sel:BYTE_0 src1_sel:DWORD
	v_or_b32_sdwa v183, v183, v187 dst_sel:DWORD dst_unused:UNUSED_PAD src0_sel:BYTE_0 src1_sel:DWORD
	v_or_b32_sdwa v183, v183, v47 dst_sel:DWORD dst_unused:UNUSED_PAD src0_sel:WORD_0 src1_sel:DWORD
	v_ashrrev_i32_e32 v47, s15, v48
	v_dot4c_i32_i8 v209, v183, v4
	v_and_b32_e32 v48, 0x3030303, v47
	v_bfe_u32 v47, v47, 24, 2
	v_lshrrev_b16 v187, 8, v48
	v_lshrrev_b32_e32 v185, 16, v48
	v_sub_nc_u16 v48, v48, v186
	v_sub_nc_u16 v47, v47, v189
	;; [unrolled: 1-line block ×4, first 2 shown]
	ds_read2_b32 v[187:188], v193 offset1:1
	v_lshlrev_b16 v47, 8, v47
	v_lshlrev_b16 v186, 8, v186
	v_or_b32_sdwa v47, v185, v47 dst_sel:WORD_1 dst_unused:UNUSED_PAD src0_sel:BYTE_0 src1_sel:DWORD
	v_or_b32_sdwa v48, v48, v186 dst_sel:DWORD dst_unused:UNUSED_PAD src0_sel:BYTE_0 src1_sel:DWORD
	v_or_b32_sdwa v186, v48, v47 dst_sel:DWORD dst_unused:UNUSED_PAD src0_sel:WORD_0 src1_sel:DWORD
	v_add3_u32 v47, s17, v159, v120
	v_dot4c_i32_i8 v209, v186, v5
	ds_read_b32 v185, v47
	v_add_nc_u32_e32 v47, 0x2100, v197
	s_waitcnt lgkmcnt(1)
	v_ashrrev_i32_e32 v187, s1, v187
	v_ashrrev_i32_e32 v188, s1, v188
	ds_read2_b32 v[47:48], v47 offset1:1
	v_lshlrev_b32_e32 v187, 2, v187
	v_lshlrev_b32_e32 v188, 2, v188
	v_and_b32_e32 v187, 0x4040404, v187
	v_and_b32_e32 v188, 0x4040404, v188
	v_lshrrev_b16 v195, 8, v187
	v_lshrrev_b32_e32 v192, 16, v187
	v_lshrrev_b32_e32 v194, 24, v187
	s_waitcnt lgkmcnt(0)
	v_ashrrev_i32_e32 v47, s15, v47
	v_and_b32_e32 v189, 0x3030303, v47
	v_bfe_u32 v47, v47, 24, 2
	v_lshrrev_b16 v191, 8, v189
	v_lshrrev_b32_e32 v190, 16, v189
	v_sub_nc_u16 v187, v189, v187
	v_sub_nc_u16 v47, v47, v194
	v_lshrrev_b16 v194, 8, v188
	v_sub_nc_u16 v189, v191, v195
	v_lshrrev_b32_e32 v191, 16, v188
	v_lshlrev_b16 v47, 8, v47
	v_lshlrev_b16 v189, 8, v189
	v_or_b32_sdwa v187, v187, v189 dst_sel:DWORD dst_unused:UNUSED_PAD src0_sel:BYTE_0 src1_sel:DWORD
	v_sub_nc_u16 v189, v190, v192
	v_lshrrev_b32_e32 v192, 24, v188
	v_or_b32_sdwa v47, v189, v47 dst_sel:WORD_1 dst_unused:UNUSED_PAD src0_sel:BYTE_0 src1_sel:DWORD
	v_or_b32_sdwa v187, v187, v47 dst_sel:DWORD dst_unused:UNUSED_PAD src0_sel:WORD_0 src1_sel:DWORD
	v_ashrrev_i32_e32 v47, s15, v48
	v_dot4c_i32_i8 v210, v187, v6
	v_and_b32_e32 v48, 0x3030303, v47
	v_bfe_u32 v47, v47, 24, 2
	v_lshrrev_b16 v190, 8, v48
	v_lshrrev_b32_e32 v189, 16, v48
	v_sub_nc_u16 v48, v48, v188
	v_sub_nc_u16 v47, v47, v192
	v_sub_nc_u16 v188, v190, v194
	v_lshlrev_b16 v47, 8, v47
	v_lshlrev_b16 v188, 8, v188
	v_or_b32_sdwa v48, v48, v188 dst_sel:DWORD dst_unused:UNUSED_PAD src0_sel:BYTE_0 src1_sel:DWORD
	v_sub_nc_u16 v188, v189, v191
	ds_read2_b32 v[189:190], v193 offset0:2 offset1:3
	v_or_b32_sdwa v47, v188, v47 dst_sel:WORD_1 dst_unused:UNUSED_PAD src0_sel:BYTE_0 src1_sel:DWORD
	v_or_b32_sdwa v188, v48, v47 dst_sel:DWORD dst_unused:UNUSED_PAD src0_sel:WORD_0 src1_sel:DWORD
	v_add_nc_u32_e32 v47, 0x2108, v197
	v_dot4c_i32_i8 v210, v188, v7
	ds_read2_b32 v[47:48], v47 offset1:1
	s_waitcnt lgkmcnt(1)
	v_ashrrev_i32_e32 v189, s1, v189
	v_ashrrev_i32_e32 v190, s1, v190
	v_lshlrev_b32_e32 v189, 2, v189
	v_lshlrev_b32_e32 v190, 2, v190
	v_and_b32_e32 v189, 0x4040404, v189
	v_and_b32_e32 v190, 0x4040404, v190
	s_waitcnt lgkmcnt(0)
	v_ashrrev_i32_e32 v47, s15, v47
	v_lshrrev_b16 v198, 8, v189
	v_lshrrev_b32_e32 v195, 16, v189
	v_lshrrev_b32_e32 v196, 24, v189
	v_and_b32_e32 v191, 0x3030303, v47
	v_bfe_u32 v47, v47, 24, 2
	v_lshrrev_b16 v194, 8, v191
	v_lshrrev_b32_e32 v192, 16, v191
	v_sub_nc_u16 v189, v191, v189
	v_sub_nc_u16 v47, v47, v196
	v_lshrrev_b16 v196, 8, v190
	v_sub_nc_u16 v191, v194, v198
	v_lshrrev_b32_e32 v194, 16, v190
	v_lshlrev_b16 v47, 8, v47
	v_lshlrev_b16 v191, 8, v191
	v_or_b32_sdwa v189, v189, v191 dst_sel:DWORD dst_unused:UNUSED_PAD src0_sel:BYTE_0 src1_sel:DWORD
	v_sub_nc_u16 v191, v192, v195
	v_lshrrev_b32_e32 v195, 24, v190
	v_or_b32_sdwa v47, v191, v47 dst_sel:WORD_1 dst_unused:UNUSED_PAD src0_sel:BYTE_0 src1_sel:DWORD
	v_or_b32_sdwa v189, v189, v47 dst_sel:DWORD dst_unused:UNUSED_PAD src0_sel:WORD_0 src1_sel:DWORD
	v_ashrrev_i32_e32 v47, s15, v48
	v_dot4c_i32_i8 v210, v189, v8
	v_and_b32_e32 v48, 0x3030303, v47
	v_bfe_u32 v47, v47, 24, 2
	v_lshrrev_b16 v192, 8, v48
	v_lshrrev_b32_e32 v191, 16, v48
	v_sub_nc_u16 v48, v48, v190
	v_sub_nc_u16 v47, v47, v195
	v_sub_nc_u16 v190, v192, v196
	v_lshlrev_b16 v47, 8, v47
	v_lshlrev_b16 v190, 8, v190
	v_or_b32_sdwa v48, v48, v190 dst_sel:DWORD dst_unused:UNUSED_PAD src0_sel:BYTE_0 src1_sel:DWORD
	v_sub_nc_u16 v190, v191, v194
	ds_read2_b32 v[191:192], v193 offset0:4 offset1:5
	v_or_b32_sdwa v47, v190, v47 dst_sel:WORD_1 dst_unused:UNUSED_PAD src0_sel:BYTE_0 src1_sel:DWORD
	v_or_b32_sdwa v190, v48, v47 dst_sel:DWORD dst_unused:UNUSED_PAD src0_sel:WORD_0 src1_sel:DWORD
	v_add_nc_u32_e32 v47, 0x2110, v197
	v_dot4c_i32_i8 v210, v190, v9
	ds_read2_b32 v[47:48], v47 offset1:1
	s_waitcnt lgkmcnt(1)
	v_ashrrev_i32_e32 v191, s1, v191
	v_ashrrev_i32_e32 v192, s1, v192
	v_lshlrev_b32_e32 v191, 2, v191
	v_lshlrev_b32_e32 v192, 2, v192
	v_and_b32_e32 v191, 0x4040404, v191
	v_and_b32_e32 v192, 0x4040404, v192
	s_waitcnt lgkmcnt(0)
	v_ashrrev_i32_e32 v47, s15, v47
	v_lshrrev_b16 v200, 8, v191
	v_lshrrev_b32_e32 v198, 16, v191
	v_lshrrev_b32_e32 v199, 24, v191
	;; [unrolled: 47-line block ×3, first 2 shown]
	v_and_b32_e32 v195, 0x3030303, v47
	v_bfe_u32 v47, v47, 24, 2
	v_lshrrev_b16 v198, 8, v195
	v_lshrrev_b32_e32 v196, 16, v195
	v_sub_nc_u16 v193, v195, v193
	v_sub_nc_u16 v47, v47, v200
	v_lshrrev_b16 v200, 8, v194
	v_sub_nc_u16 v195, v198, v201
	v_lshrrev_b32_e32 v198, 16, v194
	v_lshlrev_b16 v47, 8, v47
	v_lshlrev_b16 v195, 8, v195
	v_or_b32_sdwa v193, v193, v195 dst_sel:DWORD dst_unused:UNUSED_PAD src0_sel:BYTE_0 src1_sel:DWORD
	v_sub_nc_u16 v195, v196, v199
	v_lshrrev_b32_e32 v199, 24, v194
	v_or_b32_sdwa v47, v195, v47 dst_sel:WORD_1 dst_unused:UNUSED_PAD src0_sel:BYTE_0 src1_sel:DWORD
	v_or_b32_sdwa v193, v193, v47 dst_sel:DWORD dst_unused:UNUSED_PAD src0_sel:WORD_0 src1_sel:DWORD
	v_ashrrev_i32_e32 v47, s15, v48
	v_dot4c_i32_i8 v212, v193, v4
	v_and_b32_e32 v48, 0x3030303, v47
	v_bfe_u32 v47, v47, 24, 2
	v_lshrrev_b16 v196, 8, v48
	v_lshrrev_b32_e32 v195, 16, v48
	v_sub_nc_u16 v48, v48, v194
	v_sub_nc_u16 v47, v47, v199
	v_sub_nc_u16 v194, v196, v200
	ds_read2_b32 v[200:201], v205 offset1:1
	v_lshlrev_b16 v47, 8, v47
	v_lshlrev_b16 v194, 8, v194
	v_or_b32_sdwa v48, v48, v194 dst_sel:DWORD dst_unused:UNUSED_PAD src0_sel:BYTE_0 src1_sel:DWORD
	v_sub_nc_u16 v194, v195, v198
	v_or_b32_sdwa v47, v194, v47 dst_sel:WORD_1 dst_unused:UNUSED_PAD src0_sel:BYTE_0 src1_sel:DWORD
	v_or_b32_sdwa v195, v48, v47 dst_sel:DWORD dst_unused:UNUSED_PAD src0_sel:WORD_0 src1_sel:DWORD
	v_add3_u32 v47, s17, v161, v122
	s_waitcnt lgkmcnt(0)
	v_ashrrev_i32_e32 v200, s1, v200
	v_dot4c_i32_i8 v212, v195, v5
	ds_read_b32 v194, v47
	v_add_nc_u32_e32 v47, 0x3180, v197
	v_lshlrev_b32_e32 v200, 2, v200
	ds_read2_b32 v[47:48], v47 offset1:1
	v_and_b32_e32 v200, 0x4040404, v200
	v_lshrrev_b32_e32 v213, 24, v200
	v_lshrrev_b16 v214, 8, v200
	v_lshrrev_b32_e32 v202, 16, v200
	s_waitcnt lgkmcnt(0)
	v_ashrrev_i32_e32 v196, s15, v47
	v_and_b32_e32 v198, 0x3030303, v196
	v_bfe_u32 v196, v196, 24, 2
	v_lshrrev_b16 v199, 8, v198
	v_lshrrev_b32_e32 v47, 16, v198
	v_sub_nc_u16 v196, v196, v213
	v_sub_nc_u16 v198, v198, v200
	v_ashrrev_i32_e32 v200, s1, v201
	v_sub_nc_u16 v199, v199, v214
	v_sub_nc_u16 v47, v47, v202
	v_lshlrev_b16 v196, 8, v196
	v_lshlrev_b32_e32 v200, 2, v200
	v_lshlrev_b16 v199, 8, v199
	v_or_b32_sdwa v47, v47, v196 dst_sel:WORD_1 dst_unused:UNUSED_PAD src0_sel:BYTE_0 src1_sel:DWORD
	v_and_b32_e32 v200, 0x4040404, v200
	v_or_b32_sdwa v198, v198, v199 dst_sel:DWORD dst_unused:UNUSED_PAD src0_sel:BYTE_0 src1_sel:DWORD
	v_lshrrev_b32_e32 v202, 24, v200
	v_or_b32_sdwa v199, v198, v47 dst_sel:DWORD dst_unused:UNUSED_PAD src0_sel:WORD_0 src1_sel:DWORD
	v_ashrrev_i32_e32 v47, s15, v48
	v_lshrrev_b16 v213, 8, v200
	v_lshrrev_b32_e32 v201, 16, v200
	v_and_b32_e32 v48, 0x3030303, v47
	v_bfe_u32 v47, v47, 24, 2
	v_lshrrev_b16 v198, 8, v48
	v_lshrrev_b32_e32 v196, 16, v48
	v_sub_nc_u16 v47, v47, v202
	v_sub_nc_u16 v48, v48, v200
	;; [unrolled: 1-line block ×4, first 2 shown]
	v_lshlrev_b16 v47, 8, v47
	ds_read2_b32 v[201:202], v205 offset0:2 offset1:3
	v_lshlrev_b16 v198, 8, v198
	v_or_b32_sdwa v47, v196, v47 dst_sel:WORD_1 dst_unused:UNUSED_PAD src0_sel:BYTE_0 src1_sel:DWORD
	v_or_b32_sdwa v48, v48, v198 dst_sel:DWORD dst_unused:UNUSED_PAD src0_sel:BYTE_0 src1_sel:DWORD
	v_or_b32_sdwa v200, v48, v47 dst_sel:DWORD dst_unused:UNUSED_PAD src0_sel:WORD_0 src1_sel:DWORD
	v_add_nc_u32_e32 v47, 0x3188, v197
	ds_read2_b32 v[47:48], v47 offset1:1
	s_waitcnt lgkmcnt(1)
	v_ashrrev_i32_e32 v201, s1, v201
	v_ashrrev_i32_e32 v202, s1, v202
	v_lshlrev_b32_e32 v201, 2, v201
	v_lshlrev_b32_e32 v202, 2, v202
	v_and_b32_e32 v201, 0x4040404, v201
	v_and_b32_e32 v202, 0x4040404, v202
	v_lshrrev_b32_e32 v215, 24, v201
	v_lshrrev_b16 v216, 8, v201
	v_lshrrev_b32_e32 v214, 16, v201
	s_waitcnt lgkmcnt(0)
	v_ashrrev_i32_e32 v47, s15, v47
	v_and_b32_e32 v196, 0x3030303, v47
	v_bfe_u32 v47, v47, 24, 2
	v_lshrrev_b16 v213, 8, v196
	v_lshrrev_b32_e32 v198, 16, v196
	v_sub_nc_u16 v196, v196, v201
	v_sub_nc_u16 v47, v47, v215
	v_lshrrev_b16 v215, 8, v202
	v_sub_nc_u16 v201, v213, v216
	v_sub_nc_u16 v198, v198, v214
	v_lshrrev_b32_e32 v214, 24, v202
	v_lshrrev_b32_e32 v213, 16, v202
	v_lshlrev_b16 v47, 8, v47
	v_lshlrev_b16 v201, 8, v201
	v_or_b32_sdwa v47, v198, v47 dst_sel:WORD_1 dst_unused:UNUSED_PAD src0_sel:BYTE_0 src1_sel:DWORD
	v_or_b32_sdwa v196, v196, v201 dst_sel:DWORD dst_unused:UNUSED_PAD src0_sel:BYTE_0 src1_sel:DWORD
	v_or_b32_sdwa v201, v196, v47 dst_sel:DWORD dst_unused:UNUSED_PAD src0_sel:WORD_0 src1_sel:DWORD
	v_ashrrev_i32_e32 v47, s15, v48
	v_and_b32_e32 v48, 0x3030303, v47
	v_bfe_u32 v47, v47, 24, 2
	v_lshrrev_b16 v198, 8, v48
	v_lshrrev_b32_e32 v196, 16, v48
	v_sub_nc_u16 v47, v47, v214
	v_sub_nc_u16 v48, v48, v202
	;; [unrolled: 1-line block ×4, first 2 shown]
	v_lshlrev_b16 v47, 8, v47
	ds_read2_b32 v[215:216], v205 offset0:4 offset1:5
	v_lshlrev_b16 v198, 8, v198
	v_or_b32_sdwa v47, v196, v47 dst_sel:WORD_1 dst_unused:UNUSED_PAD src0_sel:BYTE_0 src1_sel:DWORD
	v_or_b32_sdwa v48, v48, v198 dst_sel:DWORD dst_unused:UNUSED_PAD src0_sel:BYTE_0 src1_sel:DWORD
	v_or_b32_sdwa v202, v48, v47 dst_sel:DWORD dst_unused:UNUSED_PAD src0_sel:WORD_0 src1_sel:DWORD
	v_add_nc_u32_e32 v47, 0x3190, v197
	ds_read2_b32 v[213:214], v47 offset1:1
	s_waitcnt lgkmcnt(0)
	v_ashrrev_i32_e32 v47, s15, v213
	v_ashrrev_i32_e32 v213, s1, v215
	v_and_b32_e32 v48, 0x3030303, v47
	v_lshlrev_b32_e32 v213, 2, v213
	v_bfe_u32 v47, v47, 24, 2
	v_lshrrev_b16 v198, 8, v48
	v_and_b32_e32 v213, 0x4040404, v213
	v_lshrrev_b32_e32 v196, 16, v48
	v_lshrrev_b32_e32 v217, 24, v213
	v_lshrrev_b16 v218, 8, v213
	v_lshrrev_b32_e32 v215, 16, v213
	v_sub_nc_u16 v48, v48, v213
	v_sub_nc_u16 v47, v47, v217
	;; [unrolled: 1-line block ×4, first 2 shown]
	v_lshlrev_b16 v47, 8, v47
	v_lshlrev_b16 v198, 8, v198
	v_or_b32_sdwa v47, v196, v47 dst_sel:WORD_1 dst_unused:UNUSED_PAD src0_sel:BYTE_0 src1_sel:DWORD
	v_or_b32_sdwa v48, v48, v198 dst_sel:DWORD dst_unused:UNUSED_PAD src0_sel:BYTE_0 src1_sel:DWORD
	v_or_b32_sdwa v48, v48, v47 dst_sel:DWORD dst_unused:UNUSED_PAD src0_sel:WORD_0 src1_sel:DWORD
	v_ashrrev_i32_e32 v47, s15, v214
	v_ashrrev_i32_e32 v214, s1, v216
	v_and_b32_e32 v196, 0x3030303, v47
	v_lshlrev_b32_e32 v214, 2, v214
	v_bfe_u32 v47, v47, 24, 2
	v_lshrrev_b16 v213, 8, v196
	v_and_b32_e32 v214, 0x4040404, v214
	v_lshrrev_b32_e32 v198, 16, v196
	v_lshrrev_b32_e32 v216, 24, v214
	v_lshrrev_b16 v217, 8, v214
	v_lshrrev_b32_e32 v215, 16, v214
	v_sub_nc_u16 v196, v196, v214
	v_sub_nc_u16 v47, v47, v216
	;; [unrolled: 1-line block ×4, first 2 shown]
	v_lshlrev_b16 v47, 8, v47
	v_lshlrev_b16 v213, 8, v213
	v_or_b32_sdwa v47, v198, v47 dst_sel:WORD_1 dst_unused:UNUSED_PAD src0_sel:BYTE_0 src1_sel:DWORD
	v_or_b32_sdwa v196, v196, v213 dst_sel:DWORD dst_unused:UNUSED_PAD src0_sel:BYTE_0 src1_sel:DWORD
	ds_read2_b32 v[213:214], v205 offset0:6 offset1:7
	v_or_b32_sdwa v196, v196, v47 dst_sel:DWORD dst_unused:UNUSED_PAD src0_sel:WORD_0 src1_sel:DWORD
	v_add_nc_u32_e32 v47, 0x3198, v197
	ds_read2_b32 v[197:198], v47 offset1:1
	s_waitcnt lgkmcnt(1)
	v_ashrrev_i32_e32 v205, s1, v213
	v_ashrrev_i32_e32 v214, s1, v214
	s_add_i32 s1, s1, 1
	v_lshlrev_b32_e32 v205, 2, v205
	v_lshlrev_b32_e32 v214, 2, v214
	s_waitcnt lgkmcnt(0)
	v_ashrrev_i32_e32 v47, s15, v197
	v_and_b32_e32 v205, 0x4040404, v205
	v_and_b32_e32 v214, 0x4040404, v214
	;; [unrolled: 1-line block ×3, first 2 shown]
	v_lshrrev_b16 v218, 8, v205
	v_bfe_u32 v47, v47, 24, 2
	v_lshrrev_b32_e32 v213, 16, v205
	v_lshrrev_b32_e32 v217, 24, v205
	v_lshrrev_b16 v216, 8, v197
	v_lshrrev_b32_e32 v215, 16, v197
	v_sub_nc_u16 v197, v197, v205
	v_sub_nc_u16 v47, v47, v217
	;; [unrolled: 1-line block ×3, first 2 shown]
	v_lshrrev_b16 v217, 8, v214
	v_lshrrev_b32_e32 v216, 24, v214
	v_lshlrev_b16 v47, 8, v47
	v_lshlrev_b16 v205, 8, v205
	v_or_b32_sdwa v197, v197, v205 dst_sel:DWORD dst_unused:UNUSED_PAD src0_sel:BYTE_0 src1_sel:DWORD
	v_sub_nc_u16 v205, v215, v213
	v_lshrrev_b32_e32 v215, 16, v214
	v_or_b32_sdwa v47, v205, v47 dst_sel:WORD_1 dst_unused:UNUSED_PAD src0_sel:BYTE_0 src1_sel:DWORD
	v_or_b32_sdwa v197, v197, v47 dst_sel:DWORD dst_unused:UNUSED_PAD src0_sel:WORD_0 src1_sel:DWORD
	v_ashrrev_i32_e32 v47, s15, v198
	v_and_b32_e32 v198, 0x3030303, v47
	v_bfe_u32 v47, v47, 24, 2
	v_lshrrev_b16 v213, 8, v198
	v_lshrrev_b32_e32 v205, 16, v198
	v_sub_nc_u16 v198, v198, v214
	v_sub_nc_u16 v47, v47, v216
	v_mov_b32_e32 v216, 0
	v_sub_nc_u16 v213, v213, v217
	v_sub_nc_u16 v205, v205, v215
	v_mov_b32_e32 v215, 0
	v_lshlrev_b16 v47, 8, v47
	v_mov_b32_e32 v217, 0
	v_lshlrev_b16 v213, 8, v213
	v_add_nc_u32_e32 v214, s16, v131
	v_dot4c_i32_i8 v215, v48, v2
	v_or_b32_sdwa v47, v205, v47 dst_sel:WORD_1 dst_unused:UNUSED_PAD src0_sel:BYTE_0 src1_sel:DWORD
	s_mov_b32 s16, s14
	v_or_b32_sdwa v198, v198, v213 dst_sel:DWORD dst_unused:UNUSED_PAD src0_sel:BYTE_0 src1_sel:DWORD
	v_mov_b32_e32 v213, 0
	v_dot4c_i32_i8 v215, v196, v3
	v_or_b32_sdwa v198, v198, v47 dst_sel:DWORD dst_unused:UNUSED_PAD src0_sel:WORD_0 src1_sel:DWORD
	v_dot4c_i32_i8 v213, v199, v6
	v_add3_u32 v47, s17, v163, v124
	v_dot4c_i32_i8 v215, v197, v4
	v_dot4c_i32_i8 v213, v200, v7
	ds_read_b32 v47, v47
	v_dot4c_i32_i8 v215, v198, v5
	v_dot4c_i32_i8 v213, v201, v8
	;; [unrolled: 1-line block ×3, first 2 shown]
	ds_read_b128 v[6:9], v167 offset:1024
	ds_read_b128 v[2:5], v167 offset:1040
	ds_read_u16 v204, v204 offset:33522
	s_waitcnt lgkmcnt(2)
	v_dot4c_i32_i8 v216, v169, v6
	s_waitcnt lgkmcnt(1)
	v_dot4c_i32_i8 v217, v173, v2
	s_waitcnt lgkmcnt(0)
	v_lshrrev_b16 v205, 8, v204
	v_bfe_i32 v204, v204, 0, 8
	v_dot4c_i32_i8 v216, v170, v7
	v_dot4c_i32_i8 v217, v174, v3
	v_bfe_i32 v205, v205, 0, 8
	v_dot4c_i32_i8 v216, v171, v8
	v_dot4c_i32_i8 v217, v175, v4
	v_mul_lo_u32 v206, v206, v205
	v_dot4c_i32_i8 v216, v172, v9
	v_dot4c_i32_i8 v217, v177, v5
	v_mul_lo_u32 v216, v216, v204
	v_mad_u64_u32 v[216:217], null, v217, v205, v[216:217]
	v_mad_u64_u32 v[217:218], null, v203, v204, v[206:207]
	v_mul_f32_e32 v203, v176, v45
	v_mul_f32_e32 v206, v176, v46
	v_mov_b32_e32 v218, 0
	v_cvt_f32_i32_e32 v216, v216
	v_cvt_f32_i32_e32 v217, v217
	v_fma_f32 v11, v206, v216, v11
	v_mov_b32_e32 v216, 0
	v_fmac_f32_e32 v10, v203, v217
	ds_read_u16 v203, v208 offset:34546
	v_mov_b32_e32 v217, 0
	v_dot4c_i32_i8 v216, v180, v6
	v_dot4c_i32_i8 v217, v178, v2
	;; [unrolled: 1-line block ×7, first 2 shown]
	s_waitcnt lgkmcnt(0)
	v_lshrrev_b16 v206, 8, v203
	v_bfe_i32 v203, v203, 0, 8
	v_dot4c_i32_i8 v217, v186, v5
	v_bfe_i32 v206, v206, 0, 8
	v_mul_lo_u32 v208, v209, v206
	v_mul_lo_u32 v209, v216, v203
	v_mad_u64_u32 v[216:217], null, v217, v206, v[209:210]
                                        ; kill: def $vgpr209 killed $sgpr0 killed $exec
	v_mad_u64_u32 v[207:208], null, v207, v203, v[208:209]
	v_mul_f32_e32 v208, v185, v45
	v_mul_f32_e32 v209, v185, v46
	v_mov_b32_e32 v217, 0
	v_cvt_f32_i32_e32 v216, v216
	v_cvt_f32_i32_e32 v207, v207
	v_dot4c_i32_i8 v217, v191, v2
	v_fma_f32 v40, v209, v216, v40
	v_mov_b32_e32 v216, 0
	v_fmac_f32_e32 v39, v208, v207
	ds_read_u16 v207, v211 offset:35570
	v_dot4c_i32_i8 v217, v192, v3
	v_dot4c_i32_i8 v216, v187, v6
	;; [unrolled: 1-line block ×7, first 2 shown]
	s_waitcnt lgkmcnt(0)
	v_lshrrev_b16 v208, 8, v207
	v_bfe_i32 v207, v207, 0, 8
	v_bfe_i32 v208, v208, 0, 8
	v_mul_lo_u32 v211, v216, v207
	v_mov_b32_e32 v216, 0
	v_mul_lo_u32 v209, v212, v208
                                        ; kill: def $vgpr212 killed $sgpr0 killed $exec
	v_mad_u64_u32 v[211:212], null, v217, v208, v[211:212]
	v_mul_f32_e32 v212, v194, v46
	v_mov_b32_e32 v217, 0
	v_mad_u64_u32 v[209:210], null, v210, v207, v[209:210]
	v_mul_f32_e32 v210, v194, v45
	v_cvt_f32_i32_e32 v211, v211
	v_cvt_f32_i32_e32 v209, v209
	v_fma_f32 v42, v212, v211, v42
	v_fmac_f32_e32 v41, v210, v209
	v_mov_b32_e32 v209, 0
	v_dot4c_i32_i8 v209, v199, v6
	v_mov_b32_e32 v6, 0
	v_dot4c_i32_i8 v209, v200, v7
	v_dot4c_i32_i8 v6, v48, v2
	ds_read_u16 v2, v214 offset:36594
	v_mov_b32_e32 v214, 0
	v_dot4c_i32_i8 v209, v201, v8
	v_dot4c_i32_i8 v6, v196, v3
	;; [unrolled: 1-line block ×4, first 2 shown]
                                        ; kill: def $vgpr4 killed $sgpr0 killed $exec
	v_dot4c_i32_i8 v6, v198, v5
	s_waitcnt lgkmcnt(0)
	v_lshrrev_b16 v3, 8, v2
	v_bfe_i32 v8, v2, 0, 8
	v_bfe_i32 v9, v3, 0, 8
	v_mul_lo_u32 v3, v209, v8
	v_mul_lo_u32 v2, v215, v9
	v_mov_b32_e32 v215, 0
	v_mad_u64_u32 v[3:4], null, v6, v9, v[3:4]
	v_mad_u64_u32 v[4:5], null, v213, v8, v[2:3]
	v_mul_f32_e32 v2, v47, v45
	v_mul_f32_e32 v5, v47, v46
	v_cvt_f32_i32_e32 v3, v3
	v_mov_b32_e32 v45, 0
	v_mov_b32_e32 v46, 0
	;; [unrolled: 1-line block ×3, first 2 shown]
	v_cvt_f32_i32_e32 v4, v4
	v_fma_f32 v44, v5, v3, v44
	v_fmac_f32_e32 v43, v2, v4
	ds_read2_b32 v[6:7], v168 offset0:64 offset1:96
	ds_read_b128 v[209:212], v167 offset:2048
	ds_read_b128 v[2:5], v167 offset:2064
	s_waitcnt lgkmcnt(1)
	v_dot4c_i32_i8 v45, v169, v209
	s_waitcnt lgkmcnt(0)
	v_dot4c_i32_i8 v46, v173, v2
	v_dot4c_i32_i8 v215, v180, v209
	;; [unrolled: 1-line block ×31, first 2 shown]
	ds_read_b128 v[2:5], v167 offset:3072
	ds_read_b128 v[209:212], v167 offset:3088
	v_mul_lo_u32 v46, v46, v205
	v_mad_u64_u32 v[45:46], null, v45, v204, v[46:47]
	v_mul_f32_e32 v46, v176, v6
	v_cvt_f32_i32_e32 v45, v45
	s_waitcnt lgkmcnt(1)
	v_dot4c_i32_i8 v213, v169, v2
	s_waitcnt lgkmcnt(0)
	v_dot4c_i32_i8 v214, v173, v209
	v_fmac_f32_e32 v35, v46, v45
	v_mov_b32_e32 v46, 0
	v_dot4c_i32_i8 v213, v170, v3
	v_dot4c_i32_i8 v214, v174, v210
	v_mul_lo_u32 v45, v216, v206
	v_mov_b32_e32 v216, 0
	v_dot4c_i32_i8 v46, v180, v2
	v_dot4c_i32_i8 v213, v171, v4
	;; [unrolled: 1-line block ×7, first 2 shown]
	v_mul_lo_u32 v213, v213, v204
	v_dot4c_i32_i8 v46, v184, v5
	v_mad_u64_u32 v[213:214], null, v214, v205, v[213:214]
	v_mul_f32_e32 v214, v176, v7
	v_mul_lo_u32 v46, v46, v203
	v_cvt_f32_i32_e32 v213, v213
	v_fma_f32 v36, v214, v213, v36
	v_mov_b32_e32 v213, 0
	v_dot4c_i32_i8 v213, v178, v209
	v_dot4c_i32_i8 v213, v179, v210
	;; [unrolled: 1-line block ×4, first 2 shown]
	v_mad_u64_u32 v[213:214], null, v213, v206, v[46:47]
                                        ; kill: def $vgpr46 killed $sgpr0 killed $exec
	v_mul_f32_e32 v214, v185, v7
	v_mad_u64_u32 v[45:46], null, v215, v203, v[45:46]
	v_mul_f32_e32 v46, v185, v6
	v_mov_b32_e32 v215, 0
	v_cvt_f32_i32_e32 v213, v213
	v_cvt_f32_i32_e32 v45, v45
	v_fma_f32 v38, v214, v213, v38
	v_mov_b32_e32 v213, 0
	v_fmac_f32_e32 v37, v46, v45
	v_mov_b32_e32 v46, 0
	v_mul_lo_u32 v45, v218, v208
	v_dot4c_i32_i8 v213, v191, v209
	v_mov_b32_e32 v218, 0
	v_dot4c_i32_i8 v46, v187, v2
	v_dot4c_i32_i8 v213, v192, v210
	;; [unrolled: 1-line block ×7, first 2 shown]
	v_mul_lo_u32 v46, v46, v207
	v_mad_u64_u32 v[213:214], null, v213, v208, v[46:47]
                                        ; kill: def $vgpr46 killed $sgpr0 killed $exec
	v_mul_f32_e32 v214, v194, v7
	v_mad_u64_u32 v[45:46], null, v217, v207, v[45:46]
	v_mul_f32_e32 v46, v194, v6
	v_mov_b32_e32 v217, 0
	v_cvt_f32_i32_e32 v213, v213
	v_cvt_f32_i32_e32 v45, v45
	v_fma_f32 v32, v214, v213, v32
	v_mov_b32_e32 v213, 0
	v_fmac_f32_e32 v31, v46, v45
	v_mov_b32_e32 v45, 0
	v_mov_b32_e32 v46, 0
	v_dot4c_i32_i8 v45, v199, v2
	v_mul_lo_u32 v2, v220, v9
	v_mov_b32_e32 v220, 0
	v_dot4c_i32_i8 v45, v200, v3
	v_dot4c_i32_i8 v45, v201, v4
	v_mov_b32_e32 v4, 0
	v_dot4c_i32_i8 v45, v202, v5
	v_dot4c_i32_i8 v4, v48, v209
	v_mul_lo_u32 v3, v45, v8
	v_dot4c_i32_i8 v4, v196, v210
	v_mov_b32_e32 v45, 0
	v_dot4c_i32_i8 v4, v197, v211
	v_dot4c_i32_i8 v4, v198, v212
	v_mad_u64_u32 v[3:4], null, v4, v9, v[3:4]
	v_mad_u64_u32 v[4:5], null, v219, v8, v[2:3]
	v_mul_f32_e32 v2, v47, v6
	v_mul_f32_e32 v5, v47, v7
	v_cvt_f32_i32_e32 v3, v3
	v_mov_b32_e32 v219, 0
	v_cvt_f32_i32_e32 v4, v4
	v_fma_f32 v34, v5, v3, v34
	v_fmac_f32_e32 v33, v2, v4
	ds_read2_b32 v[2:3], v168 offset0:128 offset1:160
	ds_read_b128 v[4:7], v167 offset:4096
	ds_read_b128 v[209:212], v167 offset:4112
	s_waitcnt lgkmcnt(1)
	v_dot4c_i32_i8 v215, v169, v4
	s_waitcnt lgkmcnt(0)
	v_dot4c_i32_i8 v45, v173, v209
	v_dot4c_i32_i8 v216, v180, v4
	;; [unrolled: 1-line block ×31, first 2 shown]
	ds_read_b128 v[4:7], v167 offset:5120
	ds_read_b128 v[209:212], v167 offset:5136
	v_mul_lo_u32 v45, v45, v205
	s_waitcnt lgkmcnt(1)
	v_dot4c_i32_i8 v46, v169, v4
	s_waitcnt lgkmcnt(0)
	v_dot4c_i32_i8 v213, v173, v209
	v_dot4c_i32_i8 v46, v170, v5
	;; [unrolled: 1-line block ×7, first 2 shown]
	v_mul_lo_u32 v46, v46, v204
	v_mad_u64_u32 v[213:214], null, v213, v205, v[46:47]
                                        ; kill: def $vgpr46 killed $sgpr0 killed $exec
	v_mul_f32_e32 v214, v176, v3
	v_mad_u64_u32 v[45:46], null, v215, v204, v[45:46]
	v_mul_f32_e32 v46, v176, v2
	v_mov_b32_e32 v215, 0
	v_cvt_f32_i32_e32 v213, v213
	v_cvt_f32_i32_e32 v45, v45
	v_fma_f32 v26, v214, v213, v26
	v_mov_b32_e32 v213, 0
	v_fmac_f32_e32 v25, v46, v45
	v_mov_b32_e32 v46, 0
	v_mul_lo_u32 v45, v217, v206
	v_dot4c_i32_i8 v213, v178, v209
	v_mov_b32_e32 v217, 0
	v_dot4c_i32_i8 v46, v180, v4
	v_dot4c_i32_i8 v213, v179, v210
	v_dot4c_i32_i8 v46, v181, v5
	v_dot4c_i32_i8 v213, v183, v211
	v_dot4c_i32_i8 v46, v182, v6
	v_dot4c_i32_i8 v213, v186, v212
	v_dot4c_i32_i8 v46, v184, v7
	v_mul_lo_u32 v46, v46, v203
	v_mad_u64_u32 v[213:214], null, v213, v206, v[46:47]
                                        ; kill: def $vgpr46 killed $sgpr0 killed $exec
	v_mul_f32_e32 v214, v185, v3
	v_mad_u64_u32 v[45:46], null, v216, v203, v[45:46]
	v_mul_f32_e32 v46, v185, v2
	v_mov_b32_e32 v216, 0
	v_cvt_f32_i32_e32 v213, v213
	v_cvt_f32_i32_e32 v45, v45
	v_fma_f32 v28, v214, v213, v28
	v_mov_b32_e32 v213, 0
	v_fmac_f32_e32 v27, v46, v45
	v_mov_b32_e32 v46, 0
	v_mul_lo_u32 v45, v219, v208
	v_dot4c_i32_i8 v213, v191, v209
	v_mov_b32_e32 v219, 0
	v_dot4c_i32_i8 v46, v187, v4
	v_dot4c_i32_i8 v213, v192, v210
	;; [unrolled: 1-line block ×7, first 2 shown]
	v_mul_lo_u32 v46, v46, v207
	v_mad_u64_u32 v[213:214], null, v213, v208, v[46:47]
                                        ; kill: def $vgpr46 killed $sgpr0 killed $exec
	v_mul_f32_e32 v214, v194, v3
	v_mad_u64_u32 v[45:46], null, v218, v207, v[45:46]
	v_mul_f32_e32 v46, v194, v2
	v_mul_f32_e32 v2, v47, v2
	;; [unrolled: 1-line block ×3, first 2 shown]
	v_cvt_f32_i32_e32 v213, v213
	v_mov_b32_e32 v218, 0
	v_cvt_f32_i32_e32 v45, v45
	v_fma_f32 v30, v214, v213, v30
	v_mov_b32_e32 v213, 0
	v_mov_b32_e32 v214, 0
	v_fmac_f32_e32 v29, v46, v45
	v_mov_b32_e32 v45, 0
	v_mov_b32_e32 v46, 0
	v_dot4c_i32_i8 v45, v199, v4
	v_mul_lo_u32 v4, v221, v9
	v_dot4c_i32_i8 v45, v200, v5
	v_dot4c_i32_i8 v45, v201, v6
	v_mov_b32_e32 v6, 0
	v_dot4c_i32_i8 v45, v202, v7
	v_dot4c_i32_i8 v6, v48, v209
	v_mul_lo_u32 v5, v45, v8
	v_dot4c_i32_i8 v6, v196, v210
	v_mov_b32_e32 v45, 0
	v_dot4c_i32_i8 v6, v197, v211
	v_dot4c_i32_i8 v6, v198, v212
	v_mad_u64_u32 v[5:6], null, v6, v9, v[5:6]
	v_mad_u64_u32 v[6:7], null, v220, v8, v[4:5]
	v_cvt_f32_i32_e32 v5, v5
	v_fma_f32 v24, v3, v5, v24
	v_cvt_f32_i32_e32 v4, v6
	v_fmac_f32_e32 v23, v2, v4
	ds_read2_b32 v[6:7], v168 offset0:192 offset1:224
	ds_read_b128 v[2:5], v167 offset:6144
	ds_read_b128 v[209:212], v167 offset:6160
	v_add_nc_u32_e32 v168, 4, v168
	s_waitcnt lgkmcnt(1)
	v_dot4c_i32_i8 v213, v169, v2
	s_waitcnt lgkmcnt(0)
	v_dot4c_i32_i8 v214, v173, v209
	v_dot4c_i32_i8 v215, v180, v2
	;; [unrolled: 1-line block ×31, first 2 shown]
	ds_read_b128 v[209:212], v167 offset:7168
	ds_read_b128 v[2:5], v167 offset:7184
	v_add_nc_u32_e32 v167, 32, v167
	s_waitcnt lgkmcnt(1)
	v_dot4c_i32_i8 v219, v169, v209
	v_mul_lo_u32 v169, v214, v205
	v_dot4c_i32_i8 v219, v170, v210
	v_dot4c_i32_i8 v219, v171, v211
	v_mov_b32_e32 v171, 0
	v_dot4c_i32_i8 v219, v172, v212
	s_waitcnt lgkmcnt(0)
	v_dot4c_i32_i8 v171, v173, v2
	v_mul_lo_u32 v170, v219, v204
	v_dot4c_i32_i8 v171, v174, v3
	v_dot4c_i32_i8 v171, v175, v4
	v_dot4c_i32_i8 v171, v177, v5
	v_mad_u64_u32 v[170:171], null, v171, v205, v[170:171]
	v_mad_u64_u32 v[171:172], null, v213, v204, v[169:170]
	v_mul_f32_e32 v172, v176, v7
	v_cvt_f32_i32_e32 v170, v170
	v_mul_f32_e32 v169, v176, v6
	v_fma_f32 v14, v172, v170, v14
	v_mov_b32_e32 v170, 0
	v_cvt_f32_i32_e32 v171, v171
	v_dot4c_i32_i8 v170, v180, v209
	v_fmac_f32_e32 v13, v169, v171
	v_mov_b32_e32 v171, 0
	v_mul_lo_u32 v169, v216, v206
	v_dot4c_i32_i8 v170, v181, v210
	v_dot4c_i32_i8 v171, v178, v2
	;; [unrolled: 1-line block ×6, first 2 shown]
	v_mul_lo_u32 v170, v170, v203
	v_dot4c_i32_i8 v171, v186, v5
	v_mad_u64_u32 v[170:171], null, v171, v206, v[170:171]
	v_mad_u64_u32 v[171:172], null, v215, v203, v[169:170]
	v_mul_f32_e32 v172, v185, v7
	v_cvt_f32_i32_e32 v170, v170
	v_mul_f32_e32 v169, v185, v6
	v_fma_f32 v16, v172, v170, v16
	v_mov_b32_e32 v170, 0
	v_cvt_f32_i32_e32 v171, v171
	v_dot4c_i32_i8 v170, v187, v209
	v_fmac_f32_e32 v15, v169, v171
	v_mov_b32_e32 v171, 0
	v_mul_lo_u32 v169, v218, v208
	v_dot4c_i32_i8 v170, v188, v210
	v_dot4c_i32_i8 v171, v191, v2
	;; [unrolled: 1-line block ×6, first 2 shown]
	v_mul_lo_u32 v170, v170, v207
	v_dot4c_i32_i8 v171, v195, v5
	v_mad_u64_u32 v[170:171], null, v171, v208, v[170:171]
	v_mad_u64_u32 v[171:172], null, v217, v207, v[169:170]
	v_mul_f32_e32 v169, v194, v6
	v_mul_f32_e32 v172, v194, v7
	v_cvt_f32_i32_e32 v170, v170
	v_cvt_f32_i32_e32 v171, v171
	v_fma_f32 v18, v172, v170, v18
	v_mov_b32_e32 v170, 0
	v_fmac_f32_e32 v17, v169, v171
	v_mov_b32_e32 v169, 0
	v_dot4c_i32_i8 v170, v48, v2
	v_dot4c_i32_i8 v169, v199, v209
	;; [unrolled: 1-line block ×3, first 2 shown]
                                        ; kill: def $vgpr3 killed $sgpr0 killed $exec
	s_add_i32 s0, s0, 2
	s_cmp_lt_u32 s14, 30
	v_dot4c_i32_i8 v169, v200, v210
	v_dot4c_i32_i8 v170, v197, v4
	v_mul_lo_u32 v4, v46, v9
	v_dot4c_i32_i8 v169, v201, v211
	v_dot4c_i32_i8 v170, v198, v5
	;; [unrolled: 1-line block ×3, first 2 shown]
	v_mul_lo_u32 v2, v169, v8
	v_mad_u64_u32 v[2:3], null, v170, v9, v[2:3]
	v_mad_u64_u32 v[3:4], null, v45, v8, v[4:5]
	v_mul_f32_e32 v4, v47, v6
	v_mul_f32_e32 v5, v47, v7
	v_cvt_f32_i32_e32 v2, v2
	v_cvt_f32_i32_e32 v3, v3
	v_fma_f32 v20, v5, v2, v20
	v_fmac_f32_e32 v19, v4, v3
	s_cbranch_scc1 .LBB149_14
; %bb.15:                               ;   in Loop: Header=BB149_6 Depth=1
	s_barrier
	buffer_gl0_inv
	s_branch .LBB149_5
.LBB149_16:
	v_cvt_f16_f32_e32 v2, v11
	v_cvt_f16_f32_e32 v3, v10
	;; [unrolled: 1-line block ×6, first 2 shown]
	v_pack_b32_f16 v40, v3, v2
	v_cvt_f16_f32_e32 v2, v41
	v_cvt_f16_f32_e32 v3, v44
	;; [unrolled: 1-line block ×6, first 2 shown]
	v_pack_b32_f16 v39, v5, v4
	v_pack_b32_f16 v38, v2, v6
	;; [unrolled: 1-line block ×4, first 2 shown]
	v_cvt_f16_f32_e32 v2, v32
	v_cvt_f16_f32_e32 v3, v31
	;; [unrolled: 1-line block ×8, first 2 shown]
	v_pack_b32_f16 v35, v11, v10
	v_cvt_f16_f32_e32 v10, v30
	v_cvt_f16_f32_e32 v25, v29
	v_pack_b32_f16 v22, v3, v2
	v_pack_b32_f16 v21, v5, v4
	;; [unrolled: 1-line block ×4, first 2 shown]
	v_cvt_f16_f32_e32 v2, v24
	v_cvt_f16_f32_e32 v3, v23
	;; [unrolled: 1-line block ×10, first 2 shown]
	v_pack_b32_f16 v10, v25, v10
	v_pack_b32_f16 v9, v3, v2
	;; [unrolled: 1-line block ×6, first 2 shown]
	v_mov_b32_e32 v6, v49
.LBB149_17:
	s_mov_b32 s0, exec_lo
	v_cmpx_gt_u32_e64 s8, v6
	s_cbranch_execz .LBB149_68
; %bb.18:
	v_add_nc_u32_e32 v0, s6, v0
	v_mul_lo_u32 v13, v6, s10
	v_cmp_gt_u32_e32 vcc_lo, s10, v0
	s_and_saveexec_b32 s1, vcc_lo
	s_cbranch_execz .LBB149_20
; %bb.19:
	v_add_nc_u32_e32 v6, v0, v13
	v_mov_b32_e32 v7, 0
	v_lshlrev_b64 v[6:7], 1, v[6:7]
	s_waitcnt lgkmcnt(0)
	v_add_co_u32 v6, s0, s12, v6
	v_add_co_ci_u32_e64 v7, null, s13, v7, s0
	global_store_short v[6:7], v40, off
.LBB149_20:
	s_or_b32 exec_lo, exec_lo, s1
	v_add_nc_u32_e32 v6, 32, v0
	v_cmp_gt_u32_e64 s0, s10, v6
	s_and_saveexec_b32 s2, s0
	s_cbranch_execz .LBB149_22
; %bb.21:
	v_add_nc_u32_e32 v7, v6, v13
	v_mov_b32_e32 v8, 0
	v_lshlrev_b64 v[7:8], 1, v[7:8]
	s_waitcnt lgkmcnt(0)
	v_add_co_u32 v7, s1, s12, v7
	v_add_co_ci_u32_e64 v8, null, s13, v8, s1
	global_store_short v[7:8], v39, off
.LBB149_22:
	s_or_b32 exec_lo, exec_lo, s2
	v_add_nc_u32_e32 v7, 64, v0
	v_cmp_gt_u32_e64 s1, s10, v7
	s_and_saveexec_b32 s3, s1
	;; [unrolled: 14-line block ×3, first 2 shown]
	s_cbranch_execz .LBB149_26
; %bb.25:
	v_add_nc_u32_e32 v13, v8, v13
	v_mov_b32_e32 v14, 0
	v_lshlrev_b64 v[13:14], 1, v[13:14]
	s_waitcnt lgkmcnt(0)
	v_add_co_u32 v13, s3, s12, v13
	v_add_co_ci_u32_e64 v14, null, s13, v14, s3
	global_store_short v[13:14], v37, off
.LBB149_26:
	s_or_b32 exec_lo, exec_lo, s4
	v_add3_u32 v13, v1, s7, 8
	v_cmp_gt_u32_e64 s3, s8, v13
	s_and_b32 exec_lo, exec_lo, s3
	s_cbranch_execz .LBB149_68
; %bb.27:
	v_mul_lo_u32 v13, v13, s10
	s_and_saveexec_b32 s4, vcc_lo
	s_cbranch_execnz .LBB149_69
; %bb.28:
	s_or_b32 exec_lo, exec_lo, s4
	s_and_saveexec_b32 s4, s0
	s_cbranch_execnz .LBB149_70
.LBB149_29:
	s_or_b32 exec_lo, exec_lo, s4
	s_and_saveexec_b32 s4, s1
	s_cbranch_execnz .LBB149_71
.LBB149_30:
	s_or_b32 exec_lo, exec_lo, s4
	s_and_saveexec_b32 s4, s2
	s_cbranch_execz .LBB149_32
.LBB149_31:
	v_add_nc_u32_e32 v13, v13, v8
	v_mov_b32_e32 v14, 0
	v_lshlrev_b64 v[13:14], 1, v[13:14]
	s_waitcnt lgkmcnt(0)
	v_add_co_u32 v13, s3, s12, v13
	v_add_co_ci_u32_e64 v14, null, s13, v14, s3
	global_store_short_d16_hi v[13:14], v37, off
.LBB149_32:
	s_or_b32 exec_lo, exec_lo, s4
	v_add3_u32 v13, v1, s7, 16
	v_cmp_gt_u32_e64 s3, s8, v13
	s_and_b32 exec_lo, exec_lo, s3
	s_cbranch_execz .LBB149_68
; %bb.33:
	v_mul_lo_u32 v13, v13, s10
	s_and_saveexec_b32 s4, vcc_lo
	s_cbranch_execnz .LBB149_72
; %bb.34:
	s_or_b32 exec_lo, exec_lo, s4
	s_and_saveexec_b32 s4, s0
	s_cbranch_execnz .LBB149_73
.LBB149_35:
	s_or_b32 exec_lo, exec_lo, s4
	s_and_saveexec_b32 s4, s1
	s_cbranch_execnz .LBB149_74
.LBB149_36:
	s_or_b32 exec_lo, exec_lo, s4
	s_and_saveexec_b32 s4, s2
	s_cbranch_execz .LBB149_38
.LBB149_37:
	v_add_nc_u32_e32 v13, v13, v8
	v_mov_b32_e32 v14, 0
	v_lshlrev_b64 v[13:14], 1, v[13:14]
	s_waitcnt lgkmcnt(0)
	v_add_co_u32 v13, s3, s12, v13
	v_add_co_ci_u32_e64 v14, null, s13, v14, s3
	global_store_short v[13:14], v21, off
.LBB149_38:
	s_or_b32 exec_lo, exec_lo, s4
	v_add3_u32 v13, v1, s7, 24
	v_cmp_gt_u32_e64 s3, s8, v13
	s_and_b32 exec_lo, exec_lo, s3
	s_cbranch_execz .LBB149_68
; %bb.39:
	v_mul_lo_u32 v13, v13, s10
	s_and_saveexec_b32 s4, vcc_lo
	s_cbranch_execnz .LBB149_75
; %bb.40:
	s_or_b32 exec_lo, exec_lo, s4
	s_and_saveexec_b32 s4, s0
	s_cbranch_execnz .LBB149_76
.LBB149_41:
	s_or_b32 exec_lo, exec_lo, s4
	s_and_saveexec_b32 s4, s1
	s_cbranch_execnz .LBB149_77
.LBB149_42:
	s_or_b32 exec_lo, exec_lo, s4
	s_and_saveexec_b32 s4, s2
	s_cbranch_execz .LBB149_44
.LBB149_43:
	v_add_nc_u32_e32 v13, v13, v8
	v_mov_b32_e32 v14, 0
	v_lshlrev_b64 v[13:14], 1, v[13:14]
	s_waitcnt lgkmcnt(0)
	v_add_co_u32 v13, s3, s12, v13
	v_add_co_ci_u32_e64 v14, null, s13, v14, s3
	global_store_short_d16_hi v[13:14], v21, off
.LBB149_44:
	s_or_b32 exec_lo, exec_lo, s4
	v_add3_u32 v13, v1, s7, 32
	v_cmp_gt_u32_e64 s3, s8, v13
	s_and_b32 exec_lo, exec_lo, s3
	s_cbranch_execz .LBB149_68
; %bb.45:
	v_mul_lo_u32 v13, v13, s10
	s_and_saveexec_b32 s4, vcc_lo
	s_cbranch_execnz .LBB149_78
; %bb.46:
	s_or_b32 exec_lo, exec_lo, s4
	s_and_saveexec_b32 s4, s0
	s_cbranch_execnz .LBB149_79
.LBB149_47:
	s_or_b32 exec_lo, exec_lo, s4
	s_and_saveexec_b32 s4, s1
	s_cbranch_execnz .LBB149_80
.LBB149_48:
	s_or_b32 exec_lo, exec_lo, s4
	s_and_saveexec_b32 s4, s2
	s_cbranch_execz .LBB149_50
.LBB149_49:
	v_add_nc_u32_e32 v13, v13, v8
	v_mov_b32_e32 v14, 0
	v_lshlrev_b64 v[13:14], 1, v[13:14]
	s_waitcnt lgkmcnt(0)
	v_add_co_u32 v13, s3, s12, v13
	v_add_co_ci_u32_e64 v14, null, s13, v14, s3
	global_store_short v[13:14], v9, off
.LBB149_50:
	s_or_b32 exec_lo, exec_lo, s4
	v_add3_u32 v13, v1, s7, 40
	v_cmp_gt_u32_e64 s3, s8, v13
	s_and_b32 exec_lo, exec_lo, s3
	s_cbranch_execz .LBB149_68
; %bb.51:
	v_mul_lo_u32 v13, v13, s10
	s_and_saveexec_b32 s4, vcc_lo
	s_cbranch_execnz .LBB149_81
; %bb.52:
	s_or_b32 exec_lo, exec_lo, s4
	s_and_saveexec_b32 s4, s0
	s_cbranch_execnz .LBB149_82
.LBB149_53:
	s_or_b32 exec_lo, exec_lo, s4
	s_and_saveexec_b32 s4, s1
	s_cbranch_execnz .LBB149_83
.LBB149_54:
	s_or_b32 exec_lo, exec_lo, s4
	s_and_saveexec_b32 s4, s2
	s_cbranch_execz .LBB149_56
.LBB149_55:
	v_add_nc_u32_e32 v10, v13, v8
	v_mov_b32_e32 v11, 0
	v_lshlrev_b64 v[10:11], 1, v[10:11]
	s_waitcnt lgkmcnt(0)
	v_add_co_u32 v10, s3, s12, v10
	v_add_co_ci_u32_e64 v11, null, s13, v11, s3
	global_store_short_d16_hi v[10:11], v9, off
.LBB149_56:
	s_or_b32 exec_lo, exec_lo, s4
	v_add3_u32 v9, v1, s7, 48
	v_cmp_gt_u32_e64 s3, s8, v9
	s_and_b32 exec_lo, exec_lo, s3
	s_cbranch_execz .LBB149_68
; %bb.57:
	v_mul_lo_u32 v9, v9, s10
	s_and_saveexec_b32 s4, vcc_lo
	s_cbranch_execnz .LBB149_84
; %bb.58:
	s_or_b32 exec_lo, exec_lo, s4
	s_and_saveexec_b32 s4, s0
	s_cbranch_execnz .LBB149_85
.LBB149_59:
	s_or_b32 exec_lo, exec_lo, s4
	s_and_saveexec_b32 s4, s1
	s_cbranch_execnz .LBB149_86
.LBB149_60:
	s_or_b32 exec_lo, exec_lo, s4
	s_and_saveexec_b32 s4, s2
	s_cbranch_execz .LBB149_62
.LBB149_61:
	v_add_nc_u32_e32 v9, v9, v8
	v_mov_b32_e32 v10, 0
	v_lshlrev_b64 v[9:10], 1, v[9:10]
	s_waitcnt lgkmcnt(0)
	v_add_co_u32 v9, s3, s12, v9
	v_add_co_ci_u32_e64 v10, null, s13, v10, s3
	global_store_short v[9:10], v2, off
.LBB149_62:
	s_or_b32 exec_lo, exec_lo, s4
	v_add3_u32 v1, v1, s7, 56
	v_cmp_gt_u32_e64 s3, s8, v1
	s_and_b32 exec_lo, exec_lo, s3
	s_cbranch_execz .LBB149_68
; %bb.63:
	v_mul_lo_u32 v1, v1, s10
	s_and_saveexec_b32 s3, vcc_lo
	s_cbranch_execnz .LBB149_87
; %bb.64:
	s_or_b32 exec_lo, exec_lo, s3
	s_and_saveexec_b32 s3, s0
	s_cbranch_execnz .LBB149_88
.LBB149_65:
	s_or_b32 exec_lo, exec_lo, s3
	s_and_saveexec_b32 s0, s1
	s_cbranch_execnz .LBB149_89
.LBB149_66:
	s_or_b32 exec_lo, exec_lo, s0
	s_and_b32 exec_lo, exec_lo, s2
	s_cbranch_execz .LBB149_68
.LBB149_67:
	v_add_nc_u32_e32 v0, v1, v8
	v_mov_b32_e32 v1, 0
	v_lshlrev_b64 v[0:1], 1, v[0:1]
	s_waitcnt lgkmcnt(0)
	v_add_co_u32 v0, vcc_lo, s12, v0
	v_add_co_ci_u32_e64 v1, null, s13, v1, vcc_lo
	global_store_short_d16_hi v[0:1], v2, off
.LBB149_68:
	s_endpgm
.LBB149_69:
	v_add_nc_u32_e32 v14, v13, v0
	v_mov_b32_e32 v15, 0
	v_lshlrev_b64 v[14:15], 1, v[14:15]
	s_waitcnt lgkmcnt(0)
	v_add_co_u32 v14, s3, s12, v14
	v_add_co_ci_u32_e64 v15, null, s13, v15, s3
	global_store_short_d16_hi v[14:15], v40, off
	s_or_b32 exec_lo, exec_lo, s4
	s_and_saveexec_b32 s4, s0
	s_cbranch_execz .LBB149_29
.LBB149_70:
	v_add_nc_u32_e32 v14, v13, v6
	v_mov_b32_e32 v15, 0
	v_lshlrev_b64 v[14:15], 1, v[14:15]
	s_waitcnt lgkmcnt(0)
	v_add_co_u32 v14, s3, s12, v14
	v_add_co_ci_u32_e64 v15, null, s13, v15, s3
	global_store_short_d16_hi v[14:15], v39, off
	s_or_b32 exec_lo, exec_lo, s4
	s_and_saveexec_b32 s4, s1
	s_cbranch_execz .LBB149_30
.LBB149_71:
	v_add_nc_u32_e32 v14, v13, v7
	v_mov_b32_e32 v15, 0
	v_lshlrev_b64 v[14:15], 1, v[14:15]
	s_waitcnt lgkmcnt(0)
	v_add_co_u32 v14, s3, s12, v14
	v_add_co_ci_u32_e64 v15, null, s13, v15, s3
	global_store_short_d16_hi v[14:15], v38, off
	s_or_b32 exec_lo, exec_lo, s4
	s_and_saveexec_b32 s4, s2
	s_cbranch_execnz .LBB149_31
	s_branch .LBB149_32
.LBB149_72:
	v_add_nc_u32_e32 v14, v13, v0
	v_mov_b32_e32 v15, 0
	v_lshlrev_b64 v[14:15], 1, v[14:15]
	s_waitcnt lgkmcnt(0)
	v_add_co_u32 v14, s3, s12, v14
	v_add_co_ci_u32_e64 v15, null, s13, v15, s3
	global_store_short v[14:15], v36, off
	s_or_b32 exec_lo, exec_lo, s4
	s_and_saveexec_b32 s4, s0
	s_cbranch_execz .LBB149_35
.LBB149_73:
	v_add_nc_u32_e32 v14, v13, v6
	v_mov_b32_e32 v15, 0
	v_lshlrev_b64 v[14:15], 1, v[14:15]
	s_waitcnt lgkmcnt(0)
	v_add_co_u32 v14, s3, s12, v14
	v_add_co_ci_u32_e64 v15, null, s13, v15, s3
	global_store_short v[14:15], v35, off
	s_or_b32 exec_lo, exec_lo, s4
	s_and_saveexec_b32 s4, s1
	s_cbranch_execz .LBB149_36
.LBB149_74:
	v_add_nc_u32_e32 v14, v13, v7
	v_mov_b32_e32 v15, 0
	v_lshlrev_b64 v[14:15], 1, v[14:15]
	s_waitcnt lgkmcnt(0)
	v_add_co_u32 v14, s3, s12, v14
	v_add_co_ci_u32_e64 v15, null, s13, v15, s3
	global_store_short v[14:15], v22, off
	s_or_b32 exec_lo, exec_lo, s4
	s_and_saveexec_b32 s4, s2
	s_cbranch_execnz .LBB149_37
	s_branch .LBB149_38
.LBB149_75:
	v_add_nc_u32_e32 v14, v13, v0
	v_mov_b32_e32 v15, 0
	v_lshlrev_b64 v[14:15], 1, v[14:15]
	s_waitcnt lgkmcnt(0)
	v_add_co_u32 v14, s3, s12, v14
	v_add_co_ci_u32_e64 v15, null, s13, v15, s3
	global_store_short_d16_hi v[14:15], v36, off
	s_or_b32 exec_lo, exec_lo, s4
	s_and_saveexec_b32 s4, s0
	s_cbranch_execz .LBB149_41
.LBB149_76:
	v_add_nc_u32_e32 v14, v13, v6
	v_mov_b32_e32 v15, 0
	v_lshlrev_b64 v[14:15], 1, v[14:15]
	s_waitcnt lgkmcnt(0)
	v_add_co_u32 v14, s3, s12, v14
	v_add_co_ci_u32_e64 v15, null, s13, v15, s3
	global_store_short_d16_hi v[14:15], v35, off
	s_or_b32 exec_lo, exec_lo, s4
	s_and_saveexec_b32 s4, s1
	s_cbranch_execz .LBB149_42
.LBB149_77:
	v_add_nc_u32_e32 v14, v13, v7
	v_mov_b32_e32 v15, 0
	v_lshlrev_b64 v[14:15], 1, v[14:15]
	s_waitcnt lgkmcnt(0)
	v_add_co_u32 v14, s3, s12, v14
	v_add_co_ci_u32_e64 v15, null, s13, v15, s3
	global_store_short_d16_hi v[14:15], v22, off
	s_or_b32 exec_lo, exec_lo, s4
	s_and_saveexec_b32 s4, s2
	s_cbranch_execnz .LBB149_43
	s_branch .LBB149_44
.LBB149_78:
	v_add_nc_u32_e32 v14, v13, v0
	v_mov_b32_e32 v15, 0
	v_lshlrev_b64 v[14:15], 1, v[14:15]
	s_waitcnt lgkmcnt(0)
	v_add_co_u32 v14, s3, s12, v14
	v_add_co_ci_u32_e64 v15, null, s13, v15, s3
	global_store_short v[14:15], v12, off
	s_or_b32 exec_lo, exec_lo, s4
	s_and_saveexec_b32 s4, s0
	s_cbranch_execz .LBB149_47
.LBB149_79:
	v_add_nc_u32_e32 v14, v13, v6
	v_mov_b32_e32 v15, 0
	v_lshlrev_b64 v[14:15], 1, v[14:15]
	s_waitcnt lgkmcnt(0)
	v_add_co_u32 v14, s3, s12, v14
	v_add_co_ci_u32_e64 v15, null, s13, v15, s3
	global_store_short v[14:15], v11, off
	s_or_b32 exec_lo, exec_lo, s4
	s_and_saveexec_b32 s4, s1
	s_cbranch_execz .LBB149_48
.LBB149_80:
	v_add_nc_u32_e32 v14, v13, v7
	v_mov_b32_e32 v15, 0
	v_lshlrev_b64 v[14:15], 1, v[14:15]
	s_waitcnt lgkmcnt(0)
	v_add_co_u32 v14, s3, s12, v14
	v_add_co_ci_u32_e64 v15, null, s13, v15, s3
	global_store_short v[14:15], v10, off
	s_or_b32 exec_lo, exec_lo, s4
	s_and_saveexec_b32 s4, s2
	s_cbranch_execnz .LBB149_49
	s_branch .LBB149_50
.LBB149_81:
	v_add_nc_u32_e32 v14, v13, v0
	v_mov_b32_e32 v15, 0
	v_lshlrev_b64 v[14:15], 1, v[14:15]
	s_waitcnt lgkmcnt(0)
	v_add_co_u32 v14, s3, s12, v14
	v_add_co_ci_u32_e64 v15, null, s13, v15, s3
	global_store_short_d16_hi v[14:15], v12, off
	s_or_b32 exec_lo, exec_lo, s4
	s_and_saveexec_b32 s4, s0
	s_cbranch_execz .LBB149_53
.LBB149_82:
	v_add_nc_u32_e32 v14, v13, v6
	v_mov_b32_e32 v15, 0
	v_lshlrev_b64 v[14:15], 1, v[14:15]
	s_waitcnt lgkmcnt(0)
	v_add_co_u32 v14, s3, s12, v14
	v_add_co_ci_u32_e64 v15, null, s13, v15, s3
	global_store_short_d16_hi v[14:15], v11, off
	s_or_b32 exec_lo, exec_lo, s4
	s_and_saveexec_b32 s4, s1
	s_cbranch_execz .LBB149_54
.LBB149_83:
	v_add_nc_u32_e32 v11, v13, v7
	v_mov_b32_e32 v12, 0
	v_lshlrev_b64 v[11:12], 1, v[11:12]
	s_waitcnt lgkmcnt(0)
	v_add_co_u32 v11, s3, s12, v11
	v_add_co_ci_u32_e64 v12, null, s13, v12, s3
	global_store_short_d16_hi v[11:12], v10, off
	s_or_b32 exec_lo, exec_lo, s4
	s_and_saveexec_b32 s4, s2
	s_cbranch_execnz .LBB149_55
	s_branch .LBB149_56
.LBB149_84:
	v_add_nc_u32_e32 v10, v9, v0
	v_mov_b32_e32 v11, 0
	v_lshlrev_b64 v[10:11], 1, v[10:11]
	s_waitcnt lgkmcnt(0)
	v_add_co_u32 v10, s3, s12, v10
	v_add_co_ci_u32_e64 v11, null, s13, v11, s3
	global_store_short v[10:11], v5, off
	s_or_b32 exec_lo, exec_lo, s4
	s_and_saveexec_b32 s4, s0
	s_cbranch_execz .LBB149_59
.LBB149_85:
	v_add_nc_u32_e32 v10, v9, v6
	v_mov_b32_e32 v11, 0
	v_lshlrev_b64 v[10:11], 1, v[10:11]
	s_waitcnt lgkmcnt(0)
	v_add_co_u32 v10, s3, s12, v10
	v_add_co_ci_u32_e64 v11, null, s13, v11, s3
	global_store_short v[10:11], v4, off
	s_or_b32 exec_lo, exec_lo, s4
	s_and_saveexec_b32 s4, s1
	s_cbranch_execz .LBB149_60
.LBB149_86:
	v_add_nc_u32_e32 v10, v9, v7
	v_mov_b32_e32 v11, 0
	v_lshlrev_b64 v[10:11], 1, v[10:11]
	s_waitcnt lgkmcnt(0)
	v_add_co_u32 v10, s3, s12, v10
	v_add_co_ci_u32_e64 v11, null, s13, v11, s3
	global_store_short v[10:11], v3, off
	s_or_b32 exec_lo, exec_lo, s4
	s_and_saveexec_b32 s4, s2
	s_cbranch_execnz .LBB149_61
	s_branch .LBB149_62
.LBB149_87:
	v_add_nc_u32_e32 v9, v1, v0
	v_mov_b32_e32 v10, 0
	v_lshlrev_b64 v[9:10], 1, v[9:10]
	s_waitcnt lgkmcnt(0)
	v_add_co_u32 v9, vcc_lo, s12, v9
	v_add_co_ci_u32_e64 v10, null, s13, v10, vcc_lo
	global_store_short_d16_hi v[9:10], v5, off
	s_or_b32 exec_lo, exec_lo, s3
	s_and_saveexec_b32 s3, s0
	s_cbranch_execz .LBB149_65
.LBB149_88:
	v_add_nc_u32_e32 v5, v1, v6
	v_mov_b32_e32 v6, 0
	v_lshlrev_b64 v[5:6], 1, v[5:6]
	s_waitcnt lgkmcnt(0)
	v_add_co_u32 v5, vcc_lo, s12, v5
	v_add_co_ci_u32_e64 v6, null, s13, v6, vcc_lo
	global_store_short_d16_hi v[5:6], v4, off
	s_or_b32 exec_lo, exec_lo, s3
	s_and_saveexec_b32 s0, s1
	s_cbranch_execz .LBB149_66
.LBB149_89:
	v_add_nc_u32_e32 v4, v1, v7
	v_mov_b32_e32 v5, 0
	v_lshlrev_b64 v[4:5], 1, v[4:5]
	s_waitcnt lgkmcnt(0)
	v_add_co_u32 v4, vcc_lo, s12, v4
	v_add_co_ci_u32_e64 v5, null, s13, v5, vcc_lo
	global_store_short_d16_hi v[4:5], v3, off
	s_or_b32 exec_lo, exec_lo, s0
	s_and_b32 exec_lo, exec_lo, s2
	s_cbranch_execnz .LBB149_67
	s_branch .LBB149_68
	.section	.rodata,"a",@progbits
	.p2align	6, 0x0
	.amdhsa_kernel _ZL12mul_mat_q3_KIN3c104HalfELb0EEvPKvS3_PT_iiiii
		.amdhsa_group_segment_fixed_size 39840
		.amdhsa_private_segment_fixed_size 0
		.amdhsa_kernarg_size 44
		.amdhsa_user_sgpr_count 6
		.amdhsa_user_sgpr_private_segment_buffer 1
		.amdhsa_user_sgpr_dispatch_ptr 0
		.amdhsa_user_sgpr_queue_ptr 0
		.amdhsa_user_sgpr_kernarg_segment_ptr 1
		.amdhsa_user_sgpr_dispatch_id 0
		.amdhsa_user_sgpr_flat_scratch_init 0
		.amdhsa_user_sgpr_private_segment_size 0
		.amdhsa_wavefront_size32 1
		.amdhsa_uses_dynamic_stack 0
		.amdhsa_system_sgpr_private_segment_wavefront_offset 0
		.amdhsa_system_sgpr_workgroup_id_x 1
		.amdhsa_system_sgpr_workgroup_id_y 1
		.amdhsa_system_sgpr_workgroup_id_z 0
		.amdhsa_system_sgpr_workgroup_info 0
		.amdhsa_system_vgpr_workitem_id 1
		.amdhsa_next_free_vgpr 224
		.amdhsa_next_free_sgpr 21
		.amdhsa_reserve_vcc 1
		.amdhsa_reserve_flat_scratch 0
		.amdhsa_float_round_mode_32 0
		.amdhsa_float_round_mode_16_64 0
		.amdhsa_float_denorm_mode_32 3
		.amdhsa_float_denorm_mode_16_64 3
		.amdhsa_dx10_clamp 1
		.amdhsa_ieee_mode 1
		.amdhsa_fp16_overflow 0
		.amdhsa_workgroup_processor_mode 1
		.amdhsa_memory_ordered 1
		.amdhsa_forward_progress 1
		.amdhsa_shared_vgpr_count 0
		.amdhsa_exception_fp_ieee_invalid_op 0
		.amdhsa_exception_fp_denorm_src 0
		.amdhsa_exception_fp_ieee_div_zero 0
		.amdhsa_exception_fp_ieee_overflow 0
		.amdhsa_exception_fp_ieee_underflow 0
		.amdhsa_exception_fp_ieee_inexact 0
		.amdhsa_exception_int_div_zero 0
	.end_amdhsa_kernel
	.section	.text._ZL12mul_mat_q3_KIN3c104HalfELb0EEvPKvS3_PT_iiiii,"axG",@progbits,_ZL12mul_mat_q3_KIN3c104HalfELb0EEvPKvS3_PT_iiiii,comdat
.Lfunc_end149:
	.size	_ZL12mul_mat_q3_KIN3c104HalfELb0EEvPKvS3_PT_iiiii, .Lfunc_end149-_ZL12mul_mat_q3_KIN3c104HalfELb0EEvPKvS3_PT_iiiii
                                        ; -- End function
	.set _ZL12mul_mat_q3_KIN3c104HalfELb0EEvPKvS3_PT_iiiii.num_vgpr, 224
	.set _ZL12mul_mat_q3_KIN3c104HalfELb0EEvPKvS3_PT_iiiii.num_agpr, 0
	.set _ZL12mul_mat_q3_KIN3c104HalfELb0EEvPKvS3_PT_iiiii.numbered_sgpr, 21
	.set _ZL12mul_mat_q3_KIN3c104HalfELb0EEvPKvS3_PT_iiiii.num_named_barrier, 0
	.set _ZL12mul_mat_q3_KIN3c104HalfELb0EEvPKvS3_PT_iiiii.private_seg_size, 0
	.set _ZL12mul_mat_q3_KIN3c104HalfELb0EEvPKvS3_PT_iiiii.uses_vcc, 1
	.set _ZL12mul_mat_q3_KIN3c104HalfELb0EEvPKvS3_PT_iiiii.uses_flat_scratch, 0
	.set _ZL12mul_mat_q3_KIN3c104HalfELb0EEvPKvS3_PT_iiiii.has_dyn_sized_stack, 0
	.set _ZL12mul_mat_q3_KIN3c104HalfELb0EEvPKvS3_PT_iiiii.has_recursion, 0
	.set _ZL12mul_mat_q3_KIN3c104HalfELb0EEvPKvS3_PT_iiiii.has_indirect_call, 0
	.section	.AMDGPU.csdata,"",@progbits
; Kernel info:
; codeLenInByte = 38420
; TotalNumSgprs: 23
; NumVgprs: 224
; ScratchSize: 0
; MemoryBound: 0
; FloatMode: 240
; IeeeMode: 1
; LDSByteSize: 39840 bytes/workgroup (compile time only)
; SGPRBlocks: 0
; VGPRBlocks: 27
; NumSGPRsForWavesPerEU: 23
; NumVGPRsForWavesPerEU: 224
; Occupancy: 4
; WaveLimiterHint : 0
; COMPUTE_PGM_RSRC2:SCRATCH_EN: 0
; COMPUTE_PGM_RSRC2:USER_SGPR: 6
; COMPUTE_PGM_RSRC2:TRAP_HANDLER: 0
; COMPUTE_PGM_RSRC2:TGID_X_EN: 1
; COMPUTE_PGM_RSRC2:TGID_Y_EN: 1
; COMPUTE_PGM_RSRC2:TGID_Z_EN: 0
; COMPUTE_PGM_RSRC2:TIDIG_COMP_CNT: 1
	.section	.text._ZL12mul_mat_q3_KIN3c104HalfELb1EEvPKvS3_PT_iiiii,"axG",@progbits,_ZL12mul_mat_q3_KIN3c104HalfELb1EEvPKvS3_PT_iiiii,comdat
	.globl	_ZL12mul_mat_q3_KIN3c104HalfELb1EEvPKvS3_PT_iiiii ; -- Begin function _ZL12mul_mat_q3_KIN3c104HalfELb1EEvPKvS3_PT_iiiii
	.p2align	8
	.type	_ZL12mul_mat_q3_KIN3c104HalfELb1EEvPKvS3_PT_iiiii,@function
_ZL12mul_mat_q3_KIN3c104HalfELb1EEvPKvS3_PT_iiiii: ; @_ZL12mul_mat_q3_KIN3c104HalfELb1EEvPKvS3_PT_iiiii
; %bb.0:
	s_clause 0x1
	s_load_dwordx4 s[8:11], s[4:5], 0x18
	s_load_dword s14, s[4:5], 0x28
	s_lshl_b32 s7, s7, 6
	v_add_nc_u32_e32 v65, s7, v1
	s_waitcnt lgkmcnt(0)
	s_cmpk_gt_i32 s8, 0xff
	s_cbranch_scc1 .LBB150_2
; %bb.1:
	v_add_nc_u32_e32 v6, s7, v1
	s_mov_b32 s0, 0
	s_branch .LBB150_3
.LBB150_2:
	s_mov_b32 s0, -1
                                        ; implicit-def: $vgpr6
.LBB150_3:
	s_load_dwordx2 s[12:13], s[4:5], 0x10
	v_mov_b32_e32 v2, 0
	v_mov_b32_e32 v9, 0
	v_mov_b32_e32 v13, 0
	v_mov_b32_e32 v17, 0
	v_mov_b32_e32 v3, 0
	v_mov_b32_e32 v10, 0
	v_mov_b32_e32 v14, 0
	v_mov_b32_e32 v18, 0
	v_mov_b32_e32 v4, 0
	v_mov_b32_e32 v11, 0
	v_mov_b32_e32 v15, 0
	v_mov_b32_e32 v19, 0
	v_mov_b32_e32 v5, 0
	v_mov_b32_e32 v12, 0
	v_mov_b32_e32 v16, 0
	v_mov_b32_e32 v20, 0
	s_lshl_b32 s6, s6, 7
	s_andn2_b32 vcc_lo, exec_lo, s0
	s_mov_b32 s15, 0
	s_cbranch_vccnz .LBB150_17
; %bb.4:
	s_load_dwordx4 s[0:3], s[4:5], 0x0
	s_ashr_i32 s4, s8, 31
	s_ashr_i32 s5, s11, 31
	s_lshr_b32 s4, s4, 24
	s_lshr_b32 s5, s5, 27
	s_add_i32 s4, s8, s4
	s_add_i32 s5, s11, s5
	s_ashr_i32 s4, s4, 8
	s_ashr_i32 s11, s5, 5
	s_mul_i32 s8, s4, s6
	v_add_nc_u32_e32 v11, 8, v1
	s_mul_i32 s5, s8, 0x6e
	s_mul_hi_i32 s8, s8, 0x6e
	v_add_nc_u32_e32 v40, 16, v1
	v_and_b32_e32 v3, 15, v0
	v_lshlrev_b32_e32 v2, 2, v0
	v_add_nc_u32_e32 v41, 24, v1
	v_add_nc_u32_e32 v42, 32, v1
	;; [unrolled: 1-line block ×4, first 2 shown]
	s_waitcnt lgkmcnt(0)
	s_add_u32 s5, s0, s5
	s_addc_u32 s8, s1, s8
	s_not_b32 s0, s6
	v_add_nc_u32_e32 v45, 56, v1
	s_add_i32 s0, s9, s0
	v_lshlrev_b32_e32 v46, 4, v1
	v_min_i32_e32 v4, s0, v1
	v_min_i32_e32 v5, s0, v11
	;; [unrolled: 1-line block ×3, first 2 shown]
	v_lshrrev_b32_e32 v76, 1, v0
	v_lshrrev_b32_e32 v66, 4, v0
	v_mul_lo_u32 v68, v4, s4
	v_mad_u64_u32 v[12:13], null, 0x84, v4, v[2:3]
	v_min_i32_e32 v4, s0, v41
	v_mul_lo_u32 v69, v5, s4
	v_mad_u64_u32 v[13:14], null, 0x84, v5, v[2:3]
	v_min_i32_e32 v5, s0, v42
	v_mad_u64_u32 v[14:15], null, 0x84, v6, v[2:3]
	v_mul_lo_u32 v71, v4, s4
	v_mad_u64_u32 v[15:16], null, 0x84, v4, v[2:3]
	v_min_i32_e32 v4, s0, v43
	v_mul_lo_u32 v70, v6, s4
	v_mul_lo_u32 v72, v5, s4
	v_mad_u64_u32 v[16:17], null, 0x84, v5, v[2:3]
	v_min_i32_e32 v5, s0, v44
	v_add_nc_u32_e32 v6, 64, v1
	v_mad_u64_u32 v[17:18], null, 0x84, v4, v[2:3]
	v_mul_lo_u32 v73, v4, s4
	v_min_i32_e32 v4, s0, v45
	v_mul_lo_u32 v74, v5, s4
	v_mad_u64_u32 v[18:19], null, 0x84, v5, v[2:3]
	v_min_i32_e32 v5, s0, v6
	v_add_nc_u32_e32 v6, 0x48, v1
	v_mul_lo_u32 v75, v4, s4
	v_mad_u64_u32 v[19:20], null, 0x84, v4, v[2:3]
	v_add_nc_u32_e32 v7, v76, v46
	v_min_i32_e32 v4, s0, v6
	v_add_nc_u32_e32 v6, 0x50, v1
	v_mul_lo_u32 v77, v5, s4
	v_mad_u64_u32 v[20:21], null, 0x84, v5, v[2:3]
	v_and_b32_e32 v7, 0x7f, v7
	v_min_i32_e32 v5, s0, v6
	v_add_nc_u32_e32 v6, 0x58, v1
	v_mul_lo_u32 v78, v4, s4
	v_mad_u64_u32 v[21:22], null, 0x84, v4, v[2:3]
	v_min_i32_e32 v7, s0, v7
	v_min_i32_e32 v4, s0, v6
	v_add_nc_u32_e32 v6, 0x60, v1
	v_mul_lo_u32 v79, v5, s4
	v_mad_u64_u32 v[22:23], null, 0x84, v5, v[2:3]
	v_ashrrev_i32_e32 v8, 31, v7
	v_min_i32_e32 v5, s0, v6
	v_add_nc_u32_e32 v6, 0x68, v1
	v_mul_lo_u32 v80, v4, s4
	v_mad_u64_u32 v[23:24], null, 0x84, v4, v[2:3]
	v_lshrrev_b32_e32 v8, 28, v8
	v_min_i32_e32 v4, s0, v6
	v_add_nc_u32_e32 v6, 0x70, v1
	v_mul_lo_u32 v81, v5, s4
	v_mad_u64_u32 v[24:25], null, 0x84, v5, v[2:3]
	v_add_nc_u32_e32 v8, v7, v8
	v_min_i32_e32 v5, s0, v6
	v_add_nc_u32_e32 v6, 0x78, v1
	v_mul_lo_u32 v82, v4, s4
	v_mad_u64_u32 v[25:26], null, 0x84, v4, v[2:3]
	v_mad_u64_u32 v[26:27], null, 0x84, v5, v[2:3]
	v_min_i32_e32 v4, s0, v6
	v_ashrrev_i32_e32 v6, 4, v8
	v_lshl_add_u32 v8, v1, 1, v66
	v_and_b32_e32 v84, 1, v0
	v_mul_lo_u32 v83, v5, s4
	v_mul_lo_u32 v85, v4, s4
	v_mad_u64_u32 v[27:28], null, 0x84, v4, v[2:3]
	v_min_i32_e32 v9, s0, v8
	v_add_nc_u32_e32 v4, 16, v8
	v_lshlrev_b32_e32 v5, 2, v6
	v_lshlrev_b32_e32 v6, 2, v84
	v_mul_lo_u32 v86, v7, s4
	v_lshrrev_b32_e32 v28, 31, v9
	v_lshlrev_b32_e32 v48, 3, v7
	v_min_i32_e32 v4, s0, v4
	v_add_nc_u32_e32 v7, 32, v8
	v_lshlrev_b32_e32 v67, 2, v3
	v_add3_u32 v47, v5, v6, 0x9380
	v_add_lshl_u32 v6, v9, v28, 1
	v_cmp_lt_u32_e32 vcc_lo, 7, v3
	v_lshrrev_b32_e32 v3, 31, v4
	v_min_i32_e32 v7, s0, v7
	v_add_nc_u32_e32 v28, 48, v8
	v_and_b32_e32 v6, -4, v6
	v_mul_lo_u32 v89, v9, s4
	v_add_lshl_u32 v3, v4, v3, 1
	v_lshrrev_b32_e32 v29, 31, v7
	v_lshlrev_b32_e32 v50, 6, v9
	v_add3_u32 v49, v6, v67, 0x4200
	v_min_i32_e32 v6, s0, v28
	v_and_b32_e32 v3, -4, v3
	v_add_lshl_u32 v9, v7, v29, 1
	v_add_nc_u32_e32 v28, 64, v8
	v_mul_lo_u32 v90, v4, s4
	v_lshlrev_b32_e32 v52, 6, v4
	v_add3_u32 v51, v3, v67, 0x4200
	v_lshrrev_b32_e32 v3, 31, v6
	v_and_b32_e32 v9, -4, v9
	v_min_i32_e32 v4, s0, v28
	v_mul_lo_u32 v91, v7, s4
	v_lshlrev_b32_e32 v54, 6, v7
	v_add_lshl_u32 v3, v6, v3, 1
	v_add3_u32 v53, v9, v67, 0x4200
	v_add_nc_u32_e32 v9, 0x50, v8
	v_lshrrev_b32_e32 v28, 31, v4
	v_mul_lo_u32 v92, v6, s4
	v_and_b32_e32 v3, -4, v3
	v_lshlrev_b32_e32 v56, 6, v6
	v_min_i32_e32 v7, s0, v9
	v_add_lshl_u32 v9, v4, v28, 1
	v_add_nc_u32_e32 v28, 0x60, v8
	v_add3_u32 v55, v3, v67, 0x4200
	v_add_nc_u32_e32 v8, 0x70, v8
	v_lshrrev_b32_e32 v3, 31, v7
	v_and_b32_e32 v6, -4, v9
	v_min_i32_e32 v9, s0, v28
	v_lshrrev_b32_e32 v94, 3, v0
	v_min_i32_e32 v8, s0, v8
	v_add_lshl_u32 v3, v7, v3, 1
	v_add3_u32 v57, v6, v67, 0x4200
	v_lshrrev_b32_e32 v6, 31, v9
	v_mul_lo_u32 v93, v4, s4
	v_lshlrev_b32_e32 v58, 6, v4
	v_and_b32_e32 v3, -4, v3
	v_lshl_add_u32 v38, v1, 2, v94
	v_add_lshl_u32 v4, v9, v6, 1
	v_lshrrev_b32_e32 v6, 31, v8
	v_cndmask_b32_e64 v87, 0, 1, vcc_lo
	v_add3_u32 v59, v3, v67, 0x4200
	v_min_i32_e32 v61, s0, v38
	v_and_b32_e32 v3, -4, v4
	v_add_lshl_u32 v4, v8, v6, 1
	v_mul_lo_u32 v95, v7, s4
	v_lshlrev_b32_e32 v60, 6, v7
	v_ashrrev_i32_e32 v6, 31, v61
	v_add3_u32 v62, v3, v67, 0x4200
	v_and_b32_e32 v4, -4, v4
	v_and_b32_e32 v3, 3, v0
	v_add_nc_u32_e32 v7, 32, v38
	v_lshrrev_b32_e32 v6, 30, v6
	v_and_b32_e32 v5, 7, v0
	v_add3_u32 v64, v4, v67, 0x4200
	v_add_nc_u16 v4, v3, -2
	v_cmp_gt_u32_e32 vcc_lo, 2, v3
	v_mul_lo_u32 v97, v8, s4
	v_lshlrev_b32_e32 v147, 6, v8
	v_mov_b32_e32 v8, 2
	v_add_nc_u32_e32 v6, v61, v6
	v_cndmask_b32_e32 v4, v4, v3, vcc_lo
	v_min_i32_e32 v105, s0, v7
	v_lshlrev_b32_e32 v88, 2, v5
	v_cmp_lt_u32_e32 vcc_lo, 3, v5
	v_and_b32_e32 v5, -4, v6
	v_lshlrev_b32_sdwa v101, v8, v4 dst_sel:DWORD dst_unused:UNUSED_PAD src0_sel:DWORD src1_sel:BYTE_0
	v_ashrrev_i32_e32 v6, 31, v105
	v_add_nc_u32_e32 v36, 64, v38
	v_add_nc_u32_e32 v8, 8, v65
	;; [unrolled: 1-line block ×8, first 2 shown]
	s_add_i32 s1, s10, -1
	v_mul_lo_u32 v96, v9, s4
	v_lshlrev_b32_e32 v63, 6, v9
	v_add3_u32 v148, v5, v88, 0x8300
	v_lshrrev_b32_e32 v104, 30, v6
	v_cvt_f64_i32_e32 v[4:5], s1
	v_cvt_f64_u32_e32 v[6:7], v65
	v_cvt_f64_u32_e32 v[8:9], v8
	;; [unrolled: 1-line block ×6, first 2 shown]
	v_min_i32_e32 v106, s0, v36
	v_cvt_f64_u32_e32 v[36:37], v37
	v_add_nc_u32_e32 v107, 0x60, v38
	v_cvt_f64_u32_e32 v[38:39], v39
	v_add_nc_u32_e32 v108, v105, v104
	v_ashrrev_i32_e32 v109, 31, v106
	v_lshlrev_b32_e32 v102, 1, v3
	v_min_i32_e32 v107, s0, v107
	v_mul_lo_u32 v104, v105, s4
	v_and_b32_e32 v108, -4, v108
	v_lshrrev_b32_e32 v109, 30, v109
	v_lshlrev_b32_e32 v150, 5, v105
	v_ashrrev_i32_e32 v110, 31, v107
	v_mul_lo_u32 v105, v106, s4
	v_add3_u32 v149, v108, v88, 0x8300
	v_add_nc_u32_e32 v108, v106, v109
	v_min_f64 v[6:7], v[6:7], v[4:5]
	v_min_f64 v[8:9], v[8:9], v[4:5]
	;; [unrolled: 1-line block ×6, first 2 shown]
	v_lshrrev_b32_e32 v109, 30, v110
	v_min_f64 v[36:37], v[36:37], v[4:5]
	v_lshlrev_b32_e32 v151, 5, v106
	v_min_f64 v[4:5], v[38:39], v[4:5]
	v_lshrrev_b32_e32 v38, 2, v0
	v_add_nc_u32_e32 v109, v107, v109
	v_mul_lo_u32 v106, v107, s4
	v_lshlrev_b32_e32 v152, 5, v107
	v_and_b32_e32 v108, -4, v108
	v_lshl_add_u32 v38, v1, 3, v38
	v_mov_b32_e32 v10, 0
	v_and_b32_e32 v2, 28, v2
	v_lshlrev_b32_e32 v98, 1, v0
	v_add3_u32 v39, v108, v88, 0x8300
	v_and_b32_e32 v108, -4, v109
	v_mul_lo_u32 v103, v61, s4
	v_cvt_i32_f64_e32 v6, v[6:7]
	v_cvt_i32_f64_e32 v8, v[8:9]
	v_and_b32_e32 v9, 63, v38
	v_cvt_i32_f64_e32 v30, v[30:31]
	v_cvt_i32_f64_e32 v31, v[32:33]
	v_cvt_i32_f64_e32 v32, v[34:35]
	v_cvt_i32_f64_e32 v38, v[28:29]
	v_cvt_i32_f64_e32 v34, v[36:37]
	v_or_b32_e32 v29, s7, v9
	v_cvt_i32_f64_e32 v4, v[4:5]
	v_and_b32_e32 v28, 31, v0
	v_lshlrev_b32_e32 v33, 2, v3
	v_and_b32_e32 v37, 0xfc, v0
	v_min_i32_e32 v5, s1, v29
	v_lshlrev_b32_e32 v61, 5, v61
	v_lshl_or_b32 v107, v28, 2, 0x6300
	v_lshl_or_b32 v9, v9, 4, v33
	v_add3_u32 v7, v108, v88, 0x8300
	v_lshlrev_b32_e32 v110, 7, v1
	v_add_nc_u32_e32 v137, 0x97a0, v46
	v_add_nc_u32_e32 v139, v47, v48
	;; [unrolled: 1-line block ×3, first 2 shown]
	v_mul_lo_u32 v109, s11, v6
	v_lshlrev_b32_e32 v6, 7, v41
	v_mul_lo_u32 v111, s11, v8
	v_mul_lo_u32 v113, s11, v30
	;; [unrolled: 1-line block ×4, first 2 shown]
	v_add_nc_u32_e32 v32, 0x60, v0
	v_lshlrev_b32_e32 v31, 5, v0
	v_mul_lo_u32 v112, s11, v38
	v_mad_u64_u32 v[28:29], null, v5, s11, v[3:4]
	v_lshlrev_b32_e32 v3, 7, v11
	v_add_nc_u32_e32 v11, 64, v0
	v_mul_lo_u32 v117, s11, v4
	v_add_nc_u32_e32 v4, 32, v0
	v_mul_lo_u32 v116, s11, v34
	v_and_b32_e32 v38, 0x1fc, v32
	v_lshrrev_b32_e32 v35, 1, v11
	v_lshrrev_b32_e32 v36, 4, v11
	v_lshlrev_b32_e32 v122, 6, v11
	v_lshlrev_b32_e32 v123, 3, v11
	v_lshrrev_b32_e32 v127, 3, v11
	v_and_b32_e32 v11, 0x1fc, v11
	v_lshrrev_b32_e32 v33, 1, v4
	v_lshrrev_b32_e32 v34, 4, v4
	v_lshlrev_b32_e32 v120, 6, v4
	v_lshlrev_b32_e32 v121, 3, v4
	v_lshrrev_b32_e32 v126, 3, v4
	v_and_b32_e32 v4, 0x1fc, v4
	v_lshlrev_b32_e32 v5, 7, v40
	v_lshlrev_b32_e32 v29, 7, v44
	;; [unrolled: 1-line block ×3, first 2 shown]
	v_lshrrev_b32_e32 v40, 1, v32
	v_lshrrev_b32_e32 v41, 4, v32
	v_add_nc_u32_e32 v131, v31, v11
	v_mov_b32_e32 v11, v10
	v_lshlrev_b32_e32 v8, 7, v42
	v_lshlrev_b32_e32 v9, 7, v43
	v_add_nc_u32_e32 v129, v31, v37
	v_add_nc_u32_e32 v130, v31, v4
	;; [unrolled: 1-line block ×3, first 2 shown]
	v_add_co_u32 v37, s0, s2, v2
	v_lshlrev_b32_e32 v124, 6, v32
	v_lshlrev_b32_e32 v125, 3, v32
	v_lshrrev_b32_e32 v128, 3, v32
	v_add_nc_u32_e32 v140, v49, v50
	v_add_nc_u32_e32 v141, v51, v52
	;; [unrolled: 1-line block ×10, first 2 shown]
	v_lshlrev_b32_e32 v159, 2, v33
	v_lshlrev_b32_e32 v160, 2, v34
	;; [unrolled: 1-line block ×6, first 2 shown]
	v_mov_b32_e32 v52, v11
	v_mov_b32_e32 v42, v11
	;; [unrolled: 1-line block ×15, first 2 shown]
	v_cndmask_b32_e64 v99, 0, 1, vcc_lo
	v_and_b32_e32 v100, 4, v98
	v_mul_u32_u24_e32 v118, 0x84, v0
	v_lshlrev_b32_e32 v119, 6, v0
	v_add_co_ci_u32_e64 v38, null, s3, 0, s0
	v_add_nc_u32_e32 v133, 0x8300, v129
	v_add_nc_u32_e32 v134, 0x8700, v130
	;; [unrolled: 1-line block ×14, first 2 shown]
	v_mov_b32_e32 v51, v10
	v_mov_b32_e32 v41, v10
	;; [unrolled: 1-line block ×15, first 2 shown]
	s_branch .LBB150_6
.LBB150_5:                              ;   in Loop: Header=BB150_6 Depth=1
	s_add_i32 s15, s15, 2
	s_cmp_ge_i32 s15, s4
	s_cbranch_scc1 .LBB150_16
.LBB150_6:                              ; =>This Loop Header: Depth=1
                                        ;     Child Loop BB150_7 Depth 2
                                        ;     Child Loop BB150_9 Depth 2
	;; [unrolled: 1-line block ×4, first 2 shown]
	s_mul_i32 s0, s15, 0x6e
	s_mul_hi_u32 s1, s15, 0x6e
	s_add_u32 s0, s5, s0
	s_addc_u32 s1, s8, s1
	s_lshl_b32 s9, s15, 3
	v_mad_u64_u32 v[61:62], null, 0x6e, v66, s[0:1]
	v_mad_u64_u32 v[177:178], null, 0x6e, v87, s[0:1]
	v_mad_i64_i32 v[179:180], null, 0x6e, v86, s[0:1]
	v_add_nc_u32_e32 v183, s9, v94
	s_mov_b32 s16, -2
	v_mad_i64_i32 v[2:3], null, 0x6e, v68, v[61:62]
	v_mad_i64_i32 v[4:5], null, 0x6e, v69, v[61:62]
	;; [unrolled: 1-line block ×4, first 2 shown]
	v_add_co_u32 v2, vcc_lo, v2, v67
	v_mad_i64_i32 v[63:64], null, 0x6e, v72, v[61:62]
	v_add_co_ci_u32_e64 v3, null, 0, v3, vcc_lo
	v_add_co_u32 v4, vcc_lo, v4, v67
	v_mad_i64_i32 v[165:166], null, 0x6e, v73, v[61:62]
	v_add_co_ci_u32_e64 v5, null, 0, v5, vcc_lo
	;; [unrolled: 3-line block ×4, first 2 shown]
	v_add_co_u32 v63, vcc_lo, v63, v67
	v_add_co_ci_u32_e64 v64, null, 0, v64, vcc_lo
	v_add_co_u32 v165, vcc_lo, v165, v67
	v_add_co_ci_u32_e64 v166, null, 0, v166, vcc_lo
	v_add_co_u32 v167, vcc_lo, v167, v67
	v_mad_i64_i32 v[171:172], null, 0x6e, v77, v[61:62]
	v_add_co_ci_u32_e64 v168, null, 0, v168, vcc_lo
	v_add_co_u32 v169, vcc_lo, v169, v67
	v_add_co_ci_u32_e64 v170, null, 0, v170, vcc_lo
	s_clause 0x7
	global_load_dword v2, v[2:3], off offset:32
	global_load_dword v3, v[4:5], off offset:32
	;; [unrolled: 1-line block ×8, first 2 shown]
	v_mad_i64_i32 v[63:64], null, 0x6e, v78, v[61:62]
	v_mad_i64_i32 v[167:168], null, 0x6e, v79, v[61:62]
	v_add_co_u32 v165, vcc_lo, v171, v67
	v_mad_i64_i32 v[169:170], null, 0x6e, v80, v[61:62]
	v_add_co_ci_u32_e64 v166, null, 0, v172, vcc_lo
	v_mad_i64_i32 v[171:172], null, 0x6e, v81, v[61:62]
	v_add_co_u32 v63, vcc_lo, v63, v67
	v_mad_i64_i32 v[173:174], null, 0x6e, v82, v[61:62]
	v_add_co_ci_u32_e64 v64, null, 0, v64, vcc_lo
	v_add_co_u32 v167, vcc_lo, v167, v67
	v_mad_i64_i32 v[175:176], null, 0x6e, v83, v[61:62]
	v_add_co_ci_u32_e64 v168, null, 0, v168, vcc_lo
	;; [unrolled: 3-line block ×3, first 2 shown]
	v_add_co_u32 v171, vcc_lo, v171, v67
	v_add_co_ci_u32_e64 v172, null, 0, v172, vcc_lo
	v_add_co_u32 v173, vcc_lo, v173, v67
	v_add_co_ci_u32_e64 v174, null, 0, v174, vcc_lo
	;; [unrolled: 2-line block ×5, first 2 shown]
	s_clause 0x7
	global_load_dword v185, v[165:166], off offset:32
	global_load_dword v186, v[63:64], off offset:32
	;; [unrolled: 1-line block ×8, first 2 shown]
	v_mad_u64_u32 v[61:62], null, 0x6e, v84, v[179:180]
	v_mad_i64_i32 v[63:64], null, 0x6e, v89, v[177:178]
	v_mad_i64_i32 v[165:166], null, 0x6e, v90, v[177:178]
	;; [unrolled: 1-line block ×7, first 2 shown]
	s_clause 0x7
	global_load_ushort v193, v[61:62], off offset:108
	global_load_dword v194, v[63:64], off
	global_load_dword v195, v[165:166], off
	;; [unrolled: 1-line block ×7, first 2 shown]
	v_add_nc_u32_e32 v168, s9, v28
	v_add_nc_u32_e32 v165, v183, v109
	;; [unrolled: 1-line block ×4, first 2 shown]
	v_mad_u64_u32 v[179:180], null, 0x6e, v99, s[0:1]
	v_add_nc_u32_e32 v173, v183, v113
	v_mad_i64_i32 v[61:62], null, 0x6e, v97, v[177:178]
	v_add_nc_u32_e32 v177, v183, v114
	v_mad_u64_u32 v[175:176], null, v168, 36, s[2:3]
	v_mad_i64_i32 v[165:166], null, v165, 36, v[37:38]
	v_add_nc_u32_e32 v181, v183, v115
	v_mad_i64_i32 v[169:170], null, v169, 36, v[37:38]
	v_add_nc_u32_e32 v184, v183, v116
	;; [unrolled: 2-line block ×3, first 2 shown]
	v_mad_i64_i32 v[173:174], null, v173, 36, v[37:38]
	v_mad_i64_i32 v[177:178], null, v177, 36, v[37:38]
	;; [unrolled: 1-line block ×5, first 2 shown]
	global_load_dword v201, v[175:176], off
	v_mad_i64_i32 v[175:176], null, v200, 36, v[37:38]
	s_clause 0x7
	global_load_dword v200, v[165:166], off offset:4
	global_load_dword v202, v[169:170], off offset:4
	;; [unrolled: 1-line block ×8, first 2 shown]
	v_mad_i64_i32 v[165:166], null, 0x6e, v104, v[179:180]
	v_mad_i64_i32 v[171:172], null, 0x6e, v105, v[179:180]
	;; [unrolled: 1-line block ×3, first 2 shown]
	v_add_co_u32 v169, vcc_lo, v63, v101
	v_add_co_ci_u32_e64 v170, null, 0, v64, vcc_lo
	v_add_co_u32 v175, vcc_lo, v165, v101
	v_add_co_ci_u32_e64 v176, null, 0, v166, vcc_lo
	;; [unrolled: 2-line block ×4, first 2 shown]
	s_clause 0x8
	global_load_dword v61, v[61:62], off
	global_load_dword v62, v[169:170], off offset:96
	global_load_dword v173, v[173:174], off offset:104
	;; [unrolled: 1-line block ×8, first 2 shown]
	v_add_nc_u32_e32 v169, v107, v110
	v_mov_b32_e32 v170, v138
	v_mov_b32_e32 v171, v137
	s_mov_b32 s0, 0
	s_mov_b32 s1, 0
	s_waitcnt vmcnt(25)
	v_cvt_f32_f16_e32 v176, v193
	s_waitcnt vmcnt(17)
	v_cvt_f32_f16_e32 v175, v201
	s_waitcnt vmcnt(16)
	ds_write_b32 v169, v200
	s_waitcnt vmcnt(15)
	ds_write_b32 v152, v202
	;; [unrolled: 2-line block ×8, first 2 shown]
	ds_write_b32 v108, v175
	ds_write_b32 v12, v2
	;; [unrolled: 1-line block ×18, first 2 shown]
	v_not_b32_e32 v2, v194
	v_not_b32_e32 v3, v195
	;; [unrolled: 1-line block ×5, first 2 shown]
	ds_write_b32 v140, v2
	ds_write_b32 v141, v3
	;; [unrolled: 1-line block ×5, first 2 shown]
	v_not_b32_e32 v7, v198
	v_not_b32_e32 v8, v199
	ds_write_b32 v145, v7
	ds_write_b32 v146, v8
	s_waitcnt vmcnt(8)
	v_not_b32_e32 v9, v61
	s_waitcnt vmcnt(7)
	v_ashrrev_i32_e32 v61, v100, v62
	s_waitcnt vmcnt(3)
	v_ashrrev_i32_e32 v62, v102, v63
	;; [unrolled: 2-line block ×3, first 2 shown]
	v_ashrrev_i32_e32 v64, v102, v165
	s_waitcnt vmcnt(1)
	v_ashrrev_i32_e32 v165, v100, v166
	v_ashrrev_i32_e32 v166, v102, v172
	s_waitcnt vmcnt(0)
	v_ashrrev_i32_e32 v167, v100, v174
	v_ashrrev_i32_e32 v172, v102, v173
	v_and_b32_e32 v2, 0xf0f0f0f, v61
	v_lshlrev_b32_e32 v3, 4, v62
	v_and_b32_e32 v4, 0xf0f0f0f, v63
	v_lshlrev_b32_e32 v5, 4, v64
	;; [unrolled: 2-line block ×4, first 2 shown]
	v_and_or_b32 v2, 0x30303030, v3, v2
	v_and_or_b32 v3, 0x30303030, v5, v4
	;; [unrolled: 1-line block ×4, first 2 shown]
	v_lshrrev_b32_e32 v6, 16, v2
	v_and_b32_e32 v7, 0x3f00, v2
	v_lshlrev_b16 v2, 8, v2
	v_lshrrev_b32_e32 v61, 16, v3
	v_lshrrev_b32_e32 v63, 16, v4
	v_and_b32_e32 v62, 0x3f00, v3
	v_lshlrev_b16 v3, 8, v3
	v_lshrrev_b32_e32 v165, 16, v5
	v_and_b32_e32 v167, 0x3f00, v6
	v_lshlrev_b16 v6, 8, v6
	v_add_nc_u16 v2, 0xe000, v2
	v_and_b32_e32 v172, 0x3f00, v61
	v_lshlrev_b16 v61, 8, v61
	v_and_b32_e32 v173, 0x3f00, v63
	v_lshlrev_b16 v63, 8, v63
	v_add_nc_u16 v3, 0xe000, v3
	v_and_b32_e32 v174, 0x3f00, v165
	v_lshlrev_b16 v165, 8, v165
	v_add_nc_u16 v6, 0xe000, v6
	v_or_b32_sdwa v2, v7, v2 dst_sel:DWORD dst_unused:UNUSED_PAD src0_sel:DWORD src1_sel:BYTE_1
	v_add_nc_u16 v7, 0xe000, v61
	v_and_b32_e32 v64, 0x3f00, v4
	v_lshlrev_b16 v4, 8, v4
	v_add_nc_u16 v61, 0xe000, v63
	v_and_b32_e32 v166, 0x3f00, v5
	v_lshlrev_b16 v5, 8, v5
	v_or_b32_sdwa v3, v62, v3 dst_sel:DWORD dst_unused:UNUSED_PAD src0_sel:DWORD src1_sel:BYTE_1
	v_add_nc_u16 v62, 0xe000, v165
	v_or_b32_sdwa v6, v167, v6 dst_sel:DWORD dst_unused:UNUSED_PAD src0_sel:DWORD src1_sel:BYTE_1
	v_or_b32_sdwa v7, v172, v7 dst_sel:DWORD dst_unused:UNUSED_PAD src0_sel:DWORD src1_sel:BYTE_1
	v_add_nc_u16 v4, 0xe000, v4
	v_or_b32_sdwa v61, v173, v61 dst_sel:DWORD dst_unused:UNUSED_PAD src0_sel:DWORD src1_sel:BYTE_1
	v_add_nc_u16 v5, 0xe000, v5
	v_or_b32_sdwa v62, v174, v62 dst_sel:DWORD dst_unused:UNUSED_PAD src0_sel:DWORD src1_sel:BYTE_1
	v_add_nc_u16 v6, 0xe000, v6
	v_add_nc_u16 v7, 0xe000, v7
	v_or_b32_sdwa v4, v64, v4 dst_sel:DWORD dst_unused:UNUSED_PAD src0_sel:DWORD src1_sel:BYTE_1
	v_add_nc_u16 v61, 0xe000, v61
	v_or_b32_sdwa v5, v166, v5 dst_sel:DWORD dst_unused:UNUSED_PAD src0_sel:DWORD src1_sel:BYTE_1
	v_add_nc_u16 v62, 0xe000, v62
	v_add_nc_u16 v2, 0xe000, v2
	v_lshlrev_b32_e32 v6, 16, v6
	v_add_nc_u16 v3, 0xe000, v3
	v_lshlrev_b32_e32 v7, 16, v7
	;; [unrolled: 2-line block ×4, first 2 shown]
	v_or_b32_sdwa v2, v2, v6 dst_sel:DWORD dst_unused:UNUSED_PAD src0_sel:WORD_0 src1_sel:DWORD
	v_or_b32_sdwa v3, v3, v7 dst_sel:DWORD dst_unused:UNUSED_PAD src0_sel:WORD_0 src1_sel:DWORD
	;; [unrolled: 1-line block ×4, first 2 shown]
	ds_write_b32 v147, v9
	ds_write_b32 v148, v2
	;; [unrolled: 1-line block ×5, first 2 shown]
	s_waitcnt lgkmcnt(0)
	s_barrier
	buffer_gl0_inv
.LBB150_7:                              ;   Parent Loop BB150_6 Depth=1
                                        ; =>  This Inner Loop Header: Depth=2
	s_add_i32 s11, s16, 2
	v_lshlrev_b32_e32 v165, 2, v76
	s_lshr_b32 s17, s11, 4
	s_and_b32 s18, s11, 0x3ffffff8
	ds_read2_b32 v[61:62], v171 offset1:32
	ds_read_b128 v[6:9], v170
	ds_read_b128 v[2:5], v170 offset:16
	v_lshl_add_u32 v200, s18, 2, v118
	s_lshl_b32 s18, s17, 5
	s_lshl_b32 s17, s17, 2
	s_addk_i32 s18, 0x4200
	s_add_i32 s17, s17, 0x9380
	v_add3_u32 v178, s18, v165, v119
	ds_read2_b32 v[63:64], v200 offset1:1
	v_add3_u32 v187, s18, v159, v120
	v_add3_u32 v196, s18, v161, v122
	;; [unrolled: 1-line block ×3, first 2 shown]
	ds_read2_b32 v[166:167], v178 offset1:1
	v_mov_b32_e32 v206, 0
	v_mov_b32_e32 v210, 0
	;; [unrolled: 1-line block ×6, first 2 shown]
	s_and_b32 s19, s1, -16
	v_mov_b32_e32 v223, 0
	s_add_i32 s16, s16, s19
	v_mov_b32_e32 v225, 0
	v_add_nc_u32_e32 v207, s16, v133
	v_add_nc_u32_e32 v211, s16, v134
	;; [unrolled: 1-line block ×3, first 2 shown]
	s_add_i32 s1, s1, 2
	s_waitcnt lgkmcnt(1)
	v_ashrrev_i32_e32 v63, s11, v63
	s_waitcnt lgkmcnt(0)
	v_ashrrev_i32_e32 v166, s0, v166
	v_and_b32_e32 v172, 0x3030303, v63
	v_bfe_u32 v63, v63, 24, 2
	v_ashrrev_i32_e32 v167, s0, v167
	v_lshlrev_b32_e32 v166, 2, v166
	v_lshrrev_b16 v174, 8, v172
	v_lshrrev_b32_e32 v173, 16, v172
	v_lshlrev_b32_e32 v167, 2, v167
	v_and_b32_e32 v166, 0x4040404, v166
	v_and_b32_e32 v167, 0x4040404, v167
	v_lshrrev_b16 v177, 8, v166
	v_lshrrev_b32_e32 v175, 16, v166
	v_lshrrev_b32_e32 v176, 24, v166
	v_sub_nc_u16 v166, v172, v166
	v_sub_nc_u16 v172, v174, v177
	v_lshrrev_b32_e32 v174, 16, v167
	v_sub_nc_u16 v63, v63, v176
	v_lshrrev_b16 v176, 8, v167
	v_lshlrev_b16 v172, 8, v172
	v_lshlrev_b16 v63, 8, v63
	v_or_b32_sdwa v166, v166, v172 dst_sel:DWORD dst_unused:UNUSED_PAD src0_sel:BYTE_0 src1_sel:DWORD
	v_sub_nc_u16 v172, v173, v175
	v_lshrrev_b32_e32 v175, 24, v167
	v_or_b32_sdwa v63, v172, v63 dst_sel:WORD_1 dst_unused:UNUSED_PAD src0_sel:BYTE_0 src1_sel:DWORD
	v_or_b32_sdwa v172, v166, v63 dst_sel:DWORD dst_unused:UNUSED_PAD src0_sel:WORD_0 src1_sel:DWORD
	v_ashrrev_i32_e32 v63, s11, v64
	v_dot4c_i32_i8 v206, v172, v6
	v_and_b32_e32 v64, 0x3030303, v63
	v_bfe_u32 v63, v63, 24, 2
	v_lshrrev_b16 v173, 8, v64
	v_lshrrev_b32_e32 v166, 16, v64
	v_sub_nc_u16 v64, v64, v167
	v_sub_nc_u16 v63, v63, v175
	;; [unrolled: 1-line block ×4, first 2 shown]
	v_lshlrev_b16 v63, 8, v63
	v_lshlrev_b16 v167, 8, v167
	v_or_b32_sdwa v63, v166, v63 dst_sel:WORD_1 dst_unused:UNUSED_PAD src0_sel:BYTE_0 src1_sel:DWORD
	v_or_b32_sdwa v64, v64, v167 dst_sel:DWORD dst_unused:UNUSED_PAD src0_sel:BYTE_0 src1_sel:DWORD
	ds_read2_b32 v[166:167], v178 offset0:2 offset1:3
	v_or_b32_sdwa v173, v64, v63 dst_sel:DWORD dst_unused:UNUSED_PAD src0_sel:WORD_0 src1_sel:DWORD
	ds_read2_b32 v[63:64], v200 offset0:2 offset1:3
	v_dot4c_i32_i8 v206, v173, v7
	s_waitcnt lgkmcnt(1)
	v_ashrrev_i32_e32 v166, s0, v166
	v_ashrrev_i32_e32 v167, s0, v167
	s_waitcnt lgkmcnt(0)
	v_ashrrev_i32_e32 v63, s11, v63
	v_lshlrev_b32_e32 v166, 2, v166
	v_lshlrev_b32_e32 v167, 2, v167
	v_and_b32_e32 v174, 0x3030303, v63
	v_and_b32_e32 v166, 0x4040404, v166
	v_bfe_u32 v63, v63, 24, 2
	v_and_b32_e32 v167, 0x4040404, v167
	v_lshrrev_b16 v176, 8, v174
	v_lshrrev_b16 v180, 8, v166
	v_lshrrev_b32_e32 v175, 16, v174
	v_lshrrev_b32_e32 v177, 16, v166
	;; [unrolled: 1-line block ×3, first 2 shown]
	v_sub_nc_u16 v166, v174, v166
	v_sub_nc_u16 v174, v176, v180
	v_lshrrev_b32_e32 v176, 16, v167
	v_sub_nc_u16 v63, v63, v179
	v_lshrrev_b16 v179, 8, v167
	v_lshlrev_b16 v174, 8, v174
	v_lshlrev_b16 v63, 8, v63
	v_or_b32_sdwa v166, v166, v174 dst_sel:DWORD dst_unused:UNUSED_PAD src0_sel:BYTE_0 src1_sel:DWORD
	v_sub_nc_u16 v174, v175, v177
	v_lshrrev_b32_e32 v177, 24, v167
	v_or_b32_sdwa v63, v174, v63 dst_sel:WORD_1 dst_unused:UNUSED_PAD src0_sel:BYTE_0 src1_sel:DWORD
	v_or_b32_sdwa v174, v166, v63 dst_sel:DWORD dst_unused:UNUSED_PAD src0_sel:WORD_0 src1_sel:DWORD
	v_ashrrev_i32_e32 v63, s11, v64
	v_dot4c_i32_i8 v206, v174, v8
	v_and_b32_e32 v64, 0x3030303, v63
	v_bfe_u32 v63, v63, 24, 2
	v_lshrrev_b16 v175, 8, v64
	v_lshrrev_b32_e32 v166, 16, v64
	v_sub_nc_u16 v64, v64, v167
	v_sub_nc_u16 v63, v63, v177
	;; [unrolled: 1-line block ×4, first 2 shown]
	v_lshlrev_b16 v63, 8, v63
	v_lshlrev_b16 v167, 8, v167
	v_or_b32_sdwa v63, v166, v63 dst_sel:WORD_1 dst_unused:UNUSED_PAD src0_sel:BYTE_0 src1_sel:DWORD
	v_or_b32_sdwa v64, v64, v167 dst_sel:DWORD dst_unused:UNUSED_PAD src0_sel:BYTE_0 src1_sel:DWORD
	ds_read2_b32 v[166:167], v178 offset0:4 offset1:5
	v_or_b32_sdwa v175, v64, v63 dst_sel:DWORD dst_unused:UNUSED_PAD src0_sel:WORD_0 src1_sel:DWORD
	ds_read2_b32 v[63:64], v200 offset0:4 offset1:5
	v_dot4c_i32_i8 v206, v175, v9
	s_waitcnt lgkmcnt(1)
	v_ashrrev_i32_e32 v166, s0, v166
	v_ashrrev_i32_e32 v167, s0, v167
	s_waitcnt lgkmcnt(0)
	v_ashrrev_i32_e32 v63, s11, v63
	v_lshlrev_b32_e32 v166, 2, v166
	v_lshlrev_b32_e32 v167, 2, v167
	v_and_b32_e32 v176, 0x3030303, v63
	v_and_b32_e32 v166, 0x4040404, v166
	v_bfe_u32 v63, v63, 24, 2
	v_and_b32_e32 v167, 0x4040404, v167
	v_lshrrev_b16 v179, 8, v176
	v_lshrrev_b16 v182, 8, v166
	v_lshrrev_b32_e32 v177, 16, v176
	v_lshrrev_b32_e32 v180, 16, v166
	;; [unrolled: 1-line block ×3, first 2 shown]
	v_sub_nc_u16 v166, v176, v166
	v_sub_nc_u16 v176, v179, v182
	v_lshrrev_b32_e32 v179, 16, v167
	v_sub_nc_u16 v63, v63, v181
	v_lshrrev_b16 v181, 8, v167
	v_lshlrev_b16 v176, 8, v176
	v_lshlrev_b16 v63, 8, v63
	v_or_b32_sdwa v166, v166, v176 dst_sel:DWORD dst_unused:UNUSED_PAD src0_sel:BYTE_0 src1_sel:DWORD
	v_sub_nc_u16 v176, v177, v180
	v_lshrrev_b32_e32 v180, 24, v167
	v_or_b32_sdwa v63, v176, v63 dst_sel:WORD_1 dst_unused:UNUSED_PAD src0_sel:BYTE_0 src1_sel:DWORD
	v_or_b32_sdwa v176, v166, v63 dst_sel:DWORD dst_unused:UNUSED_PAD src0_sel:WORD_0 src1_sel:DWORD
	v_ashrrev_i32_e32 v63, s11, v64
	v_dot4c_i32_i8 v210, v176, v2
	v_and_b32_e32 v64, 0x3030303, v63
	v_bfe_u32 v63, v63, 24, 2
	v_lshrrev_b16 v177, 8, v64
	v_lshrrev_b32_e32 v166, 16, v64
	v_sub_nc_u16 v64, v64, v167
	v_sub_nc_u16 v63, v63, v180
	;; [unrolled: 1-line block ×4, first 2 shown]
	v_lshlrev_b16 v63, 8, v63
	v_lshlrev_b16 v167, 8, v167
	v_or_b32_sdwa v63, v166, v63 dst_sel:WORD_1 dst_unused:UNUSED_PAD src0_sel:BYTE_0 src1_sel:DWORD
	v_or_b32_sdwa v64, v64, v167 dst_sel:DWORD dst_unused:UNUSED_PAD src0_sel:BYTE_0 src1_sel:DWORD
	ds_read2_b32 v[166:167], v178 offset0:6 offset1:7
	v_or_b32_sdwa v177, v64, v63 dst_sel:DWORD dst_unused:UNUSED_PAD src0_sel:WORD_0 src1_sel:DWORD
	ds_read2_b32 v[63:64], v200 offset0:6 offset1:7
	v_dot4c_i32_i8 v210, v177, v3
	s_waitcnt lgkmcnt(1)
	v_ashrrev_i32_e32 v166, s0, v166
	v_ashrrev_i32_e32 v167, s0, v167
	s_waitcnt lgkmcnt(0)
	v_ashrrev_i32_e32 v63, s11, v63
	v_lshlrev_b32_e32 v166, 2, v166
	v_lshlrev_b32_e32 v167, 2, v167
	v_and_b32_e32 v179, 0x3030303, v63
	v_bfe_u32 v63, v63, 24, 2
	v_and_b32_e32 v166, 0x4040404, v166
	v_and_b32_e32 v167, 0x4040404, v167
	v_lshrrev_b16 v181, 8, v179
	v_lshrrev_b32_e32 v180, 16, v179
	v_lshrrev_b32_e32 v182, 24, v166
	v_lshrrev_b16 v183, 8, v166
	v_lshrrev_b32_e32 v178, 16, v166
	v_sub_nc_u16 v166, v179, v166
	v_sub_nc_u16 v63, v63, v182
	v_sub_nc_u16 v179, v181, v183
	v_sub_nc_u16 v178, v180, v178
	v_lshrrev_b32_e32 v181, 24, v167
	v_lshrrev_b16 v182, 8, v167
	v_lshlrev_b16 v63, 8, v63
	v_lshlrev_b16 v179, 8, v179
	v_lshrrev_b32_e32 v180, 16, v167
	v_or_b32_sdwa v63, v178, v63 dst_sel:WORD_1 dst_unused:UNUSED_PAD src0_sel:BYTE_0 src1_sel:DWORD
	v_or_b32_sdwa v166, v166, v179 dst_sel:DWORD dst_unused:UNUSED_PAD src0_sel:BYTE_0 src1_sel:DWORD
	v_or_b32_sdwa v178, v166, v63 dst_sel:DWORD dst_unused:UNUSED_PAD src0_sel:WORD_0 src1_sel:DWORD
	v_ashrrev_i32_e32 v63, s11, v64
	v_dot4c_i32_i8 v210, v178, v4
	v_and_b32_e32 v64, 0x3030303, v63
	v_bfe_u32 v63, v63, 24, 2
	v_lshrrev_b16 v179, 8, v64
	v_lshrrev_b32_e32 v166, 16, v64
	v_sub_nc_u16 v64, v64, v167
	v_sub_nc_u16 v63, v63, v181
	;; [unrolled: 1-line block ×4, first 2 shown]
	ds_read2_b32 v[181:182], v187 offset1:1
	v_lshlrev_b16 v63, 8, v63
	v_lshlrev_b16 v167, 8, v167
	v_or_b32_sdwa v63, v166, v63 dst_sel:WORD_1 dst_unused:UNUSED_PAD src0_sel:BYTE_0 src1_sel:DWORD
	v_lshlrev_b32_e32 v166, 2, v66
	v_or_b32_sdwa v64, v64, v167 dst_sel:DWORD dst_unused:UNUSED_PAD src0_sel:BYTE_0 src1_sel:DWORD
	v_lshlrev_b32_e32 v167, 2, v98
	v_or_b32_sdwa v179, v64, v63 dst_sel:DWORD dst_unused:UNUSED_PAD src0_sel:WORD_0 src1_sel:DWORD
	v_add3_u32 v63, s17, v166, v167
	v_dot4c_i32_i8 v210, v179, v5
	ds_read_b32 v180, v63
	v_add_nc_u32_e32 v63, 0x1080, v200
	s_waitcnt lgkmcnt(1)
	v_ashrrev_i32_e32 v181, s0, v181
	v_ashrrev_i32_e32 v182, s0, v182
	ds_read2_b32 v[63:64], v63 offset1:1
	v_lshlrev_b32_e32 v181, 2, v181
	v_lshlrev_b32_e32 v182, 2, v182
	v_and_b32_e32 v181, 0x4040404, v181
	v_and_b32_e32 v182, 0x4040404, v182
	v_lshrrev_b16 v189, 8, v181
	v_lshrrev_b32_e32 v186, 16, v181
	v_lshrrev_b32_e32 v188, 24, v181
	s_waitcnt lgkmcnt(0)
	v_ashrrev_i32_e32 v63, s11, v63
	v_and_b32_e32 v183, 0x3030303, v63
	v_bfe_u32 v63, v63, 24, 2
	v_lshrrev_b16 v185, 8, v183
	v_lshrrev_b32_e32 v184, 16, v183
	v_sub_nc_u16 v181, v183, v181
	v_sub_nc_u16 v63, v63, v188
	v_lshrrev_b16 v188, 8, v182
	v_sub_nc_u16 v183, v185, v189
	v_lshrrev_b32_e32 v185, 16, v182
	v_lshlrev_b16 v63, 8, v63
	v_lshlrev_b16 v183, 8, v183
	v_or_b32_sdwa v181, v181, v183 dst_sel:DWORD dst_unused:UNUSED_PAD src0_sel:BYTE_0 src1_sel:DWORD
	v_sub_nc_u16 v183, v184, v186
	v_lshrrev_b32_e32 v186, 24, v182
	v_or_b32_sdwa v63, v183, v63 dst_sel:WORD_1 dst_unused:UNUSED_PAD src0_sel:BYTE_0 src1_sel:DWORD
	v_or_b32_sdwa v181, v181, v63 dst_sel:DWORD dst_unused:UNUSED_PAD src0_sel:WORD_0 src1_sel:DWORD
	v_ashrrev_i32_e32 v63, s11, v64
	v_dot4c_i32_i8 v212, v181, v6
	v_and_b32_e32 v64, 0x3030303, v63
	v_bfe_u32 v63, v63, 24, 2
	v_lshrrev_b16 v184, 8, v64
	v_lshrrev_b32_e32 v183, 16, v64
	v_sub_nc_u16 v64, v64, v182
	v_sub_nc_u16 v63, v63, v186
	v_sub_nc_u16 v182, v184, v188
	v_lshlrev_b16 v63, 8, v63
	v_lshlrev_b16 v182, 8, v182
	v_or_b32_sdwa v64, v64, v182 dst_sel:DWORD dst_unused:UNUSED_PAD src0_sel:BYTE_0 src1_sel:DWORD
	v_sub_nc_u16 v182, v183, v185
	ds_read2_b32 v[183:184], v187 offset0:2 offset1:3
	v_or_b32_sdwa v63, v182, v63 dst_sel:WORD_1 dst_unused:UNUSED_PAD src0_sel:BYTE_0 src1_sel:DWORD
	v_or_b32_sdwa v182, v64, v63 dst_sel:DWORD dst_unused:UNUSED_PAD src0_sel:WORD_0 src1_sel:DWORD
	v_add_nc_u32_e32 v63, 0x1088, v200
	v_dot4c_i32_i8 v212, v182, v7
	ds_read2_b32 v[63:64], v63 offset1:1
	s_waitcnt lgkmcnt(1)
	v_ashrrev_i32_e32 v183, s0, v183
	v_ashrrev_i32_e32 v184, s0, v184
	v_lshlrev_b32_e32 v183, 2, v183
	v_lshlrev_b32_e32 v184, 2, v184
	v_and_b32_e32 v183, 0x4040404, v183
	v_and_b32_e32 v184, 0x4040404, v184
	s_waitcnt lgkmcnt(0)
	v_ashrrev_i32_e32 v63, s11, v63
	v_lshrrev_b16 v191, 8, v183
	v_lshrrev_b32_e32 v189, 16, v183
	v_lshrrev_b32_e32 v190, 24, v183
	v_and_b32_e32 v185, 0x3030303, v63
	v_bfe_u32 v63, v63, 24, 2
	v_lshrrev_b16 v188, 8, v185
	v_lshrrev_b32_e32 v186, 16, v185
	v_sub_nc_u16 v183, v185, v183
	v_sub_nc_u16 v63, v63, v190
	v_lshrrev_b16 v190, 8, v184
	v_sub_nc_u16 v185, v188, v191
	v_lshrrev_b32_e32 v188, 16, v184
	v_lshlrev_b16 v63, 8, v63
	v_lshlrev_b16 v185, 8, v185
	v_or_b32_sdwa v183, v183, v185 dst_sel:DWORD dst_unused:UNUSED_PAD src0_sel:BYTE_0 src1_sel:DWORD
	v_sub_nc_u16 v185, v186, v189
	v_lshrrev_b32_e32 v189, 24, v184
	v_or_b32_sdwa v63, v185, v63 dst_sel:WORD_1 dst_unused:UNUSED_PAD src0_sel:BYTE_0 src1_sel:DWORD
	v_or_b32_sdwa v183, v183, v63 dst_sel:DWORD dst_unused:UNUSED_PAD src0_sel:WORD_0 src1_sel:DWORD
	v_ashrrev_i32_e32 v63, s11, v64
	v_dot4c_i32_i8 v212, v183, v8
	v_and_b32_e32 v64, 0x3030303, v63
	v_bfe_u32 v63, v63, 24, 2
	v_lshrrev_b16 v186, 8, v64
	v_lshrrev_b32_e32 v185, 16, v64
	v_sub_nc_u16 v64, v64, v184
	v_sub_nc_u16 v63, v63, v189
	v_sub_nc_u16 v184, v186, v190
	v_lshlrev_b16 v63, 8, v63
	v_lshlrev_b16 v184, 8, v184
	v_or_b32_sdwa v64, v64, v184 dst_sel:DWORD dst_unused:UNUSED_PAD src0_sel:BYTE_0 src1_sel:DWORD
	v_sub_nc_u16 v184, v185, v188
	ds_read2_b32 v[185:186], v187 offset0:4 offset1:5
	v_or_b32_sdwa v63, v184, v63 dst_sel:WORD_1 dst_unused:UNUSED_PAD src0_sel:BYTE_0 src1_sel:DWORD
	v_or_b32_sdwa v184, v64, v63 dst_sel:DWORD dst_unused:UNUSED_PAD src0_sel:WORD_0 src1_sel:DWORD
	v_add_nc_u32_e32 v63, 0x1090, v200
	v_dot4c_i32_i8 v212, v184, v9
	ds_read2_b32 v[63:64], v63 offset1:1
	s_waitcnt lgkmcnt(1)
	v_ashrrev_i32_e32 v185, s0, v185
	v_ashrrev_i32_e32 v186, s0, v186
	v_lshlrev_b32_e32 v185, 2, v185
	v_lshlrev_b32_e32 v186, 2, v186
	v_and_b32_e32 v185, 0x4040404, v185
	v_and_b32_e32 v186, 0x4040404, v186
	s_waitcnt lgkmcnt(0)
	v_ashrrev_i32_e32 v63, s11, v63
	v_lshrrev_b16 v193, 8, v185
	v_lshrrev_b32_e32 v191, 16, v185
	v_lshrrev_b32_e32 v192, 24, v185
	;; [unrolled: 47-line block ×3, first 2 shown]
	v_and_b32_e32 v189, 0x3030303, v63
	v_bfe_u32 v63, v63, 24, 2
	v_lshrrev_b16 v191, 8, v189
	v_lshrrev_b32_e32 v190, 16, v189
	v_sub_nc_u16 v187, v189, v187
	v_sub_nc_u16 v63, v63, v193
	v_lshrrev_b16 v193, 8, v188
	v_sub_nc_u16 v189, v191, v194
	v_lshrrev_b32_e32 v191, 16, v188
	v_lshlrev_b16 v63, 8, v63
	v_lshlrev_b16 v189, 8, v189
	v_or_b32_sdwa v187, v187, v189 dst_sel:DWORD dst_unused:UNUSED_PAD src0_sel:BYTE_0 src1_sel:DWORD
	v_sub_nc_u16 v189, v190, v192
	v_lshrrev_b32_e32 v192, 24, v188
	v_or_b32_sdwa v63, v189, v63 dst_sel:WORD_1 dst_unused:UNUSED_PAD src0_sel:BYTE_0 src1_sel:DWORD
	v_or_b32_sdwa v187, v187, v63 dst_sel:DWORD dst_unused:UNUSED_PAD src0_sel:WORD_0 src1_sel:DWORD
	v_ashrrev_i32_e32 v63, s11, v64
	v_dot4c_i32_i8 v213, v187, v4
	v_and_b32_e32 v64, 0x3030303, v63
	v_bfe_u32 v63, v63, 24, 2
	v_lshrrev_b16 v190, 8, v64
	v_lshrrev_b32_e32 v189, 16, v64
	v_sub_nc_u16 v64, v64, v188
	v_sub_nc_u16 v63, v63, v192
	;; [unrolled: 1-line block ×3, first 2 shown]
	v_lshlrev_b16 v63, 8, v63
	v_lshlrev_b16 v188, 8, v188
	v_or_b32_sdwa v64, v64, v188 dst_sel:DWORD dst_unused:UNUSED_PAD src0_sel:BYTE_0 src1_sel:DWORD
	v_sub_nc_u16 v188, v189, v191
	ds_read2_b32 v[190:191], v196 offset1:1
	v_or_b32_sdwa v63, v188, v63 dst_sel:WORD_1 dst_unused:UNUSED_PAD src0_sel:BYTE_0 src1_sel:DWORD
	v_or_b32_sdwa v189, v64, v63 dst_sel:DWORD dst_unused:UNUSED_PAD src0_sel:WORD_0 src1_sel:DWORD
	v_add3_u32 v63, s17, v160, v121
	v_dot4c_i32_i8 v213, v189, v5
	ds_read_b32 v188, v63
	v_add_nc_u32_e32 v63, 0x2100, v200
	s_waitcnt lgkmcnt(1)
	v_ashrrev_i32_e32 v190, s0, v190
	ds_read2_b32 v[63:64], v63 offset1:1
	v_ashrrev_i32_e32 v191, s0, v191
	v_lshlrev_b32_e32 v190, 2, v190
	v_lshlrev_b32_e32 v191, 2, v191
	v_and_b32_e32 v190, 0x4040404, v190
	v_and_b32_e32 v191, 0x4040404, v191
	v_lshrrev_b16 v198, 8, v190
	v_lshrrev_b32_e32 v195, 16, v190
	v_lshrrev_b32_e32 v197, 24, v190
	s_waitcnt lgkmcnt(0)
	v_ashrrev_i32_e32 v63, s11, v63
	v_and_b32_e32 v192, 0x3030303, v63
	v_bfe_u32 v63, v63, 24, 2
	v_lshrrev_b16 v194, 8, v192
	v_lshrrev_b32_e32 v193, 16, v192
	v_sub_nc_u16 v190, v192, v190
	v_sub_nc_u16 v63, v63, v197
	v_lshrrev_b16 v197, 8, v191
	v_sub_nc_u16 v192, v194, v198
	v_lshrrev_b32_e32 v194, 16, v191
	v_lshlrev_b16 v63, 8, v63
	v_lshlrev_b16 v192, 8, v192
	v_or_b32_sdwa v190, v190, v192 dst_sel:DWORD dst_unused:UNUSED_PAD src0_sel:BYTE_0 src1_sel:DWORD
	v_sub_nc_u16 v192, v193, v195
	v_lshrrev_b32_e32 v195, 24, v191
	v_or_b32_sdwa v63, v192, v63 dst_sel:WORD_1 dst_unused:UNUSED_PAD src0_sel:BYTE_0 src1_sel:DWORD
	v_or_b32_sdwa v190, v190, v63 dst_sel:DWORD dst_unused:UNUSED_PAD src0_sel:WORD_0 src1_sel:DWORD
	v_ashrrev_i32_e32 v63, s11, v64
	v_dot4c_i32_i8 v214, v190, v6
	v_and_b32_e32 v64, 0x3030303, v63
	v_bfe_u32 v63, v63, 24, 2
	v_lshrrev_b16 v193, 8, v64
	v_lshrrev_b32_e32 v192, 16, v64
	v_sub_nc_u16 v64, v64, v191
	v_sub_nc_u16 v63, v63, v195
	v_sub_nc_u16 v191, v193, v197
	v_lshlrev_b16 v63, 8, v63
	v_lshlrev_b16 v191, 8, v191
	v_or_b32_sdwa v64, v64, v191 dst_sel:DWORD dst_unused:UNUSED_PAD src0_sel:BYTE_0 src1_sel:DWORD
	v_sub_nc_u16 v191, v192, v194
	ds_read2_b32 v[192:193], v196 offset0:2 offset1:3
	v_or_b32_sdwa v63, v191, v63 dst_sel:WORD_1 dst_unused:UNUSED_PAD src0_sel:BYTE_0 src1_sel:DWORD
	v_or_b32_sdwa v191, v64, v63 dst_sel:DWORD dst_unused:UNUSED_PAD src0_sel:WORD_0 src1_sel:DWORD
	v_add_nc_u32_e32 v63, 0x2108, v200
	v_dot4c_i32_i8 v214, v191, v7
	ds_read2_b32 v[63:64], v63 offset1:1
	s_waitcnt lgkmcnt(1)
	v_ashrrev_i32_e32 v192, s0, v192
	v_ashrrev_i32_e32 v193, s0, v193
	v_lshlrev_b32_e32 v192, 2, v192
	v_lshlrev_b32_e32 v193, 2, v193
	v_and_b32_e32 v192, 0x4040404, v192
	v_and_b32_e32 v193, 0x4040404, v193
	s_waitcnt lgkmcnt(0)
	v_ashrrev_i32_e32 v63, s11, v63
	v_lshrrev_b16 v201, 8, v192
	v_lshrrev_b32_e32 v198, 16, v192
	v_lshrrev_b32_e32 v199, 24, v192
	v_and_b32_e32 v194, 0x3030303, v63
	v_bfe_u32 v63, v63, 24, 2
	v_lshrrev_b16 v197, 8, v194
	v_lshrrev_b32_e32 v195, 16, v194
	v_sub_nc_u16 v192, v194, v192
	v_sub_nc_u16 v63, v63, v199
	v_lshrrev_b16 v199, 8, v193
	v_sub_nc_u16 v194, v197, v201
	v_lshrrev_b32_e32 v197, 16, v193
	v_lshlrev_b16 v63, 8, v63
	v_lshlrev_b16 v194, 8, v194
	v_or_b32_sdwa v192, v192, v194 dst_sel:DWORD dst_unused:UNUSED_PAD src0_sel:BYTE_0 src1_sel:DWORD
	v_sub_nc_u16 v194, v195, v198
	v_lshrrev_b32_e32 v198, 24, v193
	v_or_b32_sdwa v63, v194, v63 dst_sel:WORD_1 dst_unused:UNUSED_PAD src0_sel:BYTE_0 src1_sel:DWORD
	v_or_b32_sdwa v192, v192, v63 dst_sel:DWORD dst_unused:UNUSED_PAD src0_sel:WORD_0 src1_sel:DWORD
	v_ashrrev_i32_e32 v63, s11, v64
	v_dot4c_i32_i8 v214, v192, v8
	v_and_b32_e32 v64, 0x3030303, v63
	v_bfe_u32 v63, v63, 24, 2
	v_lshrrev_b16 v195, 8, v64
	v_lshrrev_b32_e32 v194, 16, v64
	v_sub_nc_u16 v64, v64, v193
	v_sub_nc_u16 v63, v63, v198
	v_sub_nc_u16 v193, v195, v199
	v_lshlrev_b16 v63, 8, v63
	v_lshlrev_b16 v193, 8, v193
	v_or_b32_sdwa v64, v64, v193 dst_sel:DWORD dst_unused:UNUSED_PAD src0_sel:BYTE_0 src1_sel:DWORD
	v_sub_nc_u16 v193, v194, v197
	ds_read2_b32 v[194:195], v196 offset0:4 offset1:5
	v_or_b32_sdwa v63, v193, v63 dst_sel:WORD_1 dst_unused:UNUSED_PAD src0_sel:BYTE_0 src1_sel:DWORD
	v_or_b32_sdwa v193, v64, v63 dst_sel:DWORD dst_unused:UNUSED_PAD src0_sel:WORD_0 src1_sel:DWORD
	v_add_nc_u32_e32 v63, 0x2110, v200
	v_dot4c_i32_i8 v214, v193, v9
	ds_read2_b32 v[63:64], v63 offset1:1
	s_waitcnt lgkmcnt(1)
	v_ashrrev_i32_e32 v194, s0, v194
	v_ashrrev_i32_e32 v195, s0, v195
	v_lshlrev_b32_e32 v194, 2, v194
	v_lshlrev_b32_e32 v195, 2, v195
	v_and_b32_e32 v194, 0x4040404, v194
	v_and_b32_e32 v195, 0x4040404, v195
	s_waitcnt lgkmcnt(0)
	v_ashrrev_i32_e32 v63, s11, v63
	v_lshrrev_b16 v203, 8, v194
	v_lshrrev_b32_e32 v201, 16, v194
	v_lshrrev_b32_e32 v202, 24, v194
	v_and_b32_e32 v197, 0x3030303, v63
	v_bfe_u32 v63, v63, 24, 2
	v_lshrrev_b16 v199, 8, v197
	v_lshrrev_b32_e32 v198, 16, v197
	v_sub_nc_u16 v194, v197, v194
	v_sub_nc_u16 v63, v63, v202
	v_lshrrev_b16 v202, 8, v195
	v_sub_nc_u16 v197, v199, v203
	v_lshrrev_b32_e32 v199, 16, v195
	v_lshlrev_b16 v63, 8, v63
	v_lshlrev_b16 v197, 8, v197
	v_or_b32_sdwa v194, v194, v197 dst_sel:DWORD dst_unused:UNUSED_PAD src0_sel:BYTE_0 src1_sel:DWORD
	v_sub_nc_u16 v197, v198, v201
	v_lshrrev_b32_e32 v201, 24, v195
	v_or_b32_sdwa v63, v197, v63 dst_sel:WORD_1 dst_unused:UNUSED_PAD src0_sel:BYTE_0 src1_sel:DWORD
	v_or_b32_sdwa v194, v194, v63 dst_sel:DWORD dst_unused:UNUSED_PAD src0_sel:WORD_0 src1_sel:DWORD
	v_ashrrev_i32_e32 v63, s11, v64
	v_dot4c_i32_i8 v216, v194, v2
	v_and_b32_e32 v64, 0x3030303, v63
	v_bfe_u32 v63, v63, 24, 2
	v_lshrrev_b16 v198, 8, v64
	v_lshrrev_b32_e32 v197, 16, v64
	v_sub_nc_u16 v64, v64, v195
	v_sub_nc_u16 v63, v63, v201
	v_sub_nc_u16 v195, v198, v202
	v_lshlrev_b16 v63, 8, v63
	v_lshlrev_b16 v195, 8, v195
	v_or_b32_sdwa v64, v64, v195 dst_sel:DWORD dst_unused:UNUSED_PAD src0_sel:BYTE_0 src1_sel:DWORD
	v_sub_nc_u16 v195, v197, v199
	ds_read2_b32 v[196:197], v196 offset0:6 offset1:7
	v_or_b32_sdwa v63, v195, v63 dst_sel:WORD_1 dst_unused:UNUSED_PAD src0_sel:BYTE_0 src1_sel:DWORD
	v_or_b32_sdwa v195, v64, v63 dst_sel:DWORD dst_unused:UNUSED_PAD src0_sel:WORD_0 src1_sel:DWORD
	v_add_nc_u32_e32 v63, 0x2118, v200
	v_dot4c_i32_i8 v216, v195, v3
	ds_read2_b32 v[63:64], v63 offset1:1
	s_waitcnt lgkmcnt(1)
	v_ashrrev_i32_e32 v196, s0, v196
	v_ashrrev_i32_e32 v197, s0, v197
	v_lshlrev_b32_e32 v196, 2, v196
	v_lshlrev_b32_e32 v197, 2, v197
	v_and_b32_e32 v196, 0x4040404, v196
	v_and_b32_e32 v197, 0x4040404, v197
	s_waitcnt lgkmcnt(0)
	v_ashrrev_i32_e32 v63, s11, v63
	v_lshrrev_b16 v204, 8, v196
	v_lshrrev_b32_e32 v202, 16, v196
	v_lshrrev_b32_e32 v203, 24, v196
	v_and_b32_e32 v198, 0x3030303, v63
	v_bfe_u32 v63, v63, 24, 2
	v_lshrrev_b16 v201, 8, v198
	v_lshrrev_b32_e32 v199, 16, v198
	v_sub_nc_u16 v196, v198, v196
	v_sub_nc_u16 v63, v63, v203
	v_lshrrev_b16 v203, 8, v197
	v_sub_nc_u16 v198, v201, v204
	v_lshrrev_b32_e32 v201, 16, v197
	v_lshlrev_b16 v63, 8, v63
	v_lshlrev_b16 v198, 8, v198
	v_or_b32_sdwa v196, v196, v198 dst_sel:DWORD dst_unused:UNUSED_PAD src0_sel:BYTE_0 src1_sel:DWORD
	v_sub_nc_u16 v198, v199, v202
	v_lshrrev_b32_e32 v202, 24, v197
	v_or_b32_sdwa v63, v198, v63 dst_sel:WORD_1 dst_unused:UNUSED_PAD src0_sel:BYTE_0 src1_sel:DWORD
	v_or_b32_sdwa v196, v196, v63 dst_sel:DWORD dst_unused:UNUSED_PAD src0_sel:WORD_0 src1_sel:DWORD
	v_ashrrev_i32_e32 v63, s11, v64
	v_dot4c_i32_i8 v216, v196, v4
	v_and_b32_e32 v64, 0x3030303, v63
	v_bfe_u32 v63, v63, 24, 2
	v_lshrrev_b16 v199, 8, v64
	v_lshrrev_b32_e32 v198, 16, v64
	v_sub_nc_u16 v64, v64, v197
	v_sub_nc_u16 v63, v63, v202
	;; [unrolled: 1-line block ×3, first 2 shown]
	ds_read2_b32 v[203:204], v208 offset1:1
	v_lshlrev_b16 v63, 8, v63
	v_lshlrev_b16 v197, 8, v197
	v_or_b32_sdwa v64, v64, v197 dst_sel:DWORD dst_unused:UNUSED_PAD src0_sel:BYTE_0 src1_sel:DWORD
	v_sub_nc_u16 v197, v198, v201
	v_or_b32_sdwa v63, v197, v63 dst_sel:WORD_1 dst_unused:UNUSED_PAD src0_sel:BYTE_0 src1_sel:DWORD
	v_or_b32_sdwa v198, v64, v63 dst_sel:DWORD dst_unused:UNUSED_PAD src0_sel:WORD_0 src1_sel:DWORD
	v_add3_u32 v63, s17, v162, v123
	s_waitcnt lgkmcnt(0)
	v_ashrrev_i32_e32 v203, s0, v203
	v_dot4c_i32_i8 v216, v198, v5
	ds_read_b32 v197, v63
	v_add_nc_u32_e32 v63, 0x3180, v200
	v_lshlrev_b32_e32 v203, 2, v203
	ds_read2_b32 v[63:64], v63 offset1:1
	v_and_b32_e32 v203, 0x4040404, v203
	v_lshrrev_b32_e32 v209, 24, v203
	v_lshrrev_b16 v217, 8, v203
	v_lshrrev_b32_e32 v205, 16, v203
	s_waitcnt lgkmcnt(0)
	v_ashrrev_i32_e32 v199, s11, v63
	v_and_b32_e32 v201, 0x3030303, v199
	v_bfe_u32 v199, v199, 24, 2
	v_lshrrev_b16 v202, 8, v201
	v_lshrrev_b32_e32 v63, 16, v201
	v_sub_nc_u16 v199, v199, v209
	v_sub_nc_u16 v201, v201, v203
	v_ashrrev_i32_e32 v203, s0, v204
	v_sub_nc_u16 v202, v202, v217
	v_sub_nc_u16 v63, v63, v205
	v_lshlrev_b16 v199, 8, v199
	v_lshlrev_b32_e32 v203, 2, v203
	v_lshlrev_b16 v202, 8, v202
	v_or_b32_sdwa v63, v63, v199 dst_sel:WORD_1 dst_unused:UNUSED_PAD src0_sel:BYTE_0 src1_sel:DWORD
	v_and_b32_e32 v203, 0x4040404, v203
	v_or_b32_sdwa v201, v201, v202 dst_sel:DWORD dst_unused:UNUSED_PAD src0_sel:BYTE_0 src1_sel:DWORD
	v_lshrrev_b32_e32 v205, 24, v203
	v_or_b32_sdwa v202, v201, v63 dst_sel:DWORD dst_unused:UNUSED_PAD src0_sel:WORD_0 src1_sel:DWORD
	v_ashrrev_i32_e32 v63, s11, v64
	v_lshrrev_b16 v209, 8, v203
	v_lshrrev_b32_e32 v204, 16, v203
	v_and_b32_e32 v64, 0x3030303, v63
	v_bfe_u32 v63, v63, 24, 2
	v_lshrrev_b16 v201, 8, v64
	v_lshrrev_b32_e32 v199, 16, v64
	v_sub_nc_u16 v63, v63, v205
	v_sub_nc_u16 v64, v64, v203
	;; [unrolled: 1-line block ×4, first 2 shown]
	v_lshlrev_b16 v63, 8, v63
	ds_read2_b32 v[204:205], v208 offset0:2 offset1:3
	v_lshlrev_b16 v201, 8, v201
	v_or_b32_sdwa v63, v199, v63 dst_sel:WORD_1 dst_unused:UNUSED_PAD src0_sel:BYTE_0 src1_sel:DWORD
	v_or_b32_sdwa v64, v64, v201 dst_sel:DWORD dst_unused:UNUSED_PAD src0_sel:BYTE_0 src1_sel:DWORD
	v_or_b32_sdwa v203, v64, v63 dst_sel:DWORD dst_unused:UNUSED_PAD src0_sel:WORD_0 src1_sel:DWORD
	v_add_nc_u32_e32 v63, 0x3188, v200
	ds_read2_b32 v[63:64], v63 offset1:1
	s_waitcnt lgkmcnt(1)
	v_ashrrev_i32_e32 v204, s0, v204
	v_ashrrev_i32_e32 v205, s0, v205
	v_lshlrev_b32_e32 v204, 2, v204
	v_lshlrev_b32_e32 v205, 2, v205
	v_and_b32_e32 v204, 0x4040404, v204
	v_and_b32_e32 v205, 0x4040404, v205
	v_lshrrev_b32_e32 v218, 24, v204
	v_lshrrev_b16 v219, 8, v204
	v_lshrrev_b32_e32 v217, 16, v204
	s_waitcnt lgkmcnt(0)
	v_ashrrev_i32_e32 v63, s11, v63
	v_and_b32_e32 v199, 0x3030303, v63
	v_bfe_u32 v63, v63, 24, 2
	v_lshrrev_b16 v209, 8, v199
	v_lshrrev_b32_e32 v201, 16, v199
	v_sub_nc_u16 v199, v199, v204
	v_sub_nc_u16 v63, v63, v218
	v_lshrrev_b16 v218, 8, v205
	v_sub_nc_u16 v204, v209, v219
	v_sub_nc_u16 v201, v201, v217
	v_lshrrev_b32_e32 v217, 24, v205
	v_lshlrev_b16 v63, 8, v63
	v_lshrrev_b32_e32 v209, 16, v205
	v_lshlrev_b16 v204, 8, v204
	v_or_b32_sdwa v63, v201, v63 dst_sel:WORD_1 dst_unused:UNUSED_PAD src0_sel:BYTE_0 src1_sel:DWORD
	v_or_b32_sdwa v199, v199, v204 dst_sel:DWORD dst_unused:UNUSED_PAD src0_sel:BYTE_0 src1_sel:DWORD
	v_or_b32_sdwa v204, v199, v63 dst_sel:DWORD dst_unused:UNUSED_PAD src0_sel:WORD_0 src1_sel:DWORD
	v_ashrrev_i32_e32 v63, s11, v64
	v_and_b32_e32 v64, 0x3030303, v63
	v_bfe_u32 v63, v63, 24, 2
	v_lshrrev_b16 v201, 8, v64
	v_lshrrev_b32_e32 v199, 16, v64
	v_sub_nc_u16 v63, v63, v217
	v_sub_nc_u16 v64, v64, v205
	v_sub_nc_u16 v201, v201, v218
	v_sub_nc_u16 v199, v199, v209
	v_lshlrev_b16 v63, 8, v63
	ds_read2_b32 v[217:218], v208 offset0:4 offset1:5
	v_lshlrev_b16 v201, 8, v201
	v_or_b32_sdwa v63, v199, v63 dst_sel:WORD_1 dst_unused:UNUSED_PAD src0_sel:BYTE_0 src1_sel:DWORD
	v_or_b32_sdwa v64, v64, v201 dst_sel:DWORD dst_unused:UNUSED_PAD src0_sel:BYTE_0 src1_sel:DWORD
	v_or_b32_sdwa v205, v64, v63 dst_sel:DWORD dst_unused:UNUSED_PAD src0_sel:WORD_0 src1_sel:DWORD
	v_add_nc_u32_e32 v63, 0x3190, v200
	ds_read2_b32 v[63:64], v63 offset1:1
	s_waitcnt lgkmcnt(1)
	v_ashrrev_i32_e32 v217, s0, v217
	v_lshlrev_b32_e32 v217, 2, v217
	v_and_b32_e32 v217, 0x4040404, v217
	v_lshrrev_b32_e32 v220, 24, v217
	v_lshrrev_b16 v221, 8, v217
	v_lshrrev_b32_e32 v219, 16, v217
	s_waitcnt lgkmcnt(0)
	v_ashrrev_i32_e32 v63, s11, v63
	v_and_b32_e32 v199, 0x3030303, v63
	v_bfe_u32 v63, v63, 24, 2
	v_lshrrev_b16 v209, 8, v199
	v_lshrrev_b32_e32 v201, 16, v199
	v_sub_nc_u16 v199, v199, v217
	v_sub_nc_u16 v63, v63, v220
	v_ashrrev_i32_e32 v217, s0, v218
	v_sub_nc_u16 v209, v209, v221
	v_sub_nc_u16 v201, v201, v219
	v_lshlrev_b16 v63, 8, v63
	v_lshlrev_b32_e32 v217, 2, v217
	v_lshlrev_b16 v209, 8, v209
	v_or_b32_sdwa v63, v201, v63 dst_sel:WORD_1 dst_unused:UNUSED_PAD src0_sel:BYTE_0 src1_sel:DWORD
	v_and_b32_e32 v217, 0x4040404, v217
	v_or_b32_sdwa v199, v199, v209 dst_sel:DWORD dst_unused:UNUSED_PAD src0_sel:BYTE_0 src1_sel:DWORD
	v_lshrrev_b32_e32 v219, 24, v217
	v_or_b32_sdwa v199, v199, v63 dst_sel:DWORD dst_unused:UNUSED_PAD src0_sel:WORD_0 src1_sel:DWORD
	v_ashrrev_i32_e32 v63, s11, v64
	v_lshrrev_b16 v220, 8, v217
	v_lshrrev_b32_e32 v218, 16, v217
	v_and_b32_e32 v64, 0x3030303, v63
	v_bfe_u32 v63, v63, 24, 2
	v_lshrrev_b16 v209, 8, v64
	v_lshrrev_b32_e32 v201, 16, v64
	v_sub_nc_u16 v63, v63, v219
	v_sub_nc_u16 v64, v64, v217
	v_sub_nc_u16 v209, v209, v220
	v_sub_nc_u16 v201, v201, v218
	v_lshlrev_b16 v63, 8, v63
	v_lshlrev_b16 v209, 8, v209
	v_or_b32_sdwa v63, v201, v63 dst_sel:WORD_1 dst_unused:UNUSED_PAD src0_sel:BYTE_0 src1_sel:DWORD
	v_or_b32_sdwa v64, v64, v209 dst_sel:DWORD dst_unused:UNUSED_PAD src0_sel:BYTE_0 src1_sel:DWORD
	ds_read2_b32 v[208:209], v208 offset0:6 offset1:7
	v_or_b32_sdwa v64, v64, v63 dst_sel:DWORD dst_unused:UNUSED_PAD src0_sel:WORD_0 src1_sel:DWORD
	v_add_nc_u32_e32 v63, 0x3198, v200
	ds_read2_b32 v[200:201], v63 offset1:1
	s_waitcnt lgkmcnt(1)
	v_ashrrev_i32_e32 v208, s0, v208
	v_ashrrev_i32_e32 v209, s0, v209
	v_lshlrev_b32_e32 v208, 2, v208
	v_lshlrev_b32_e32 v209, 2, v209
	s_waitcnt lgkmcnt(0)
	v_ashrrev_i32_e32 v63, s11, v200
	v_and_b32_e32 v208, 0x4040404, v208
	v_and_b32_e32 v209, 0x4040404, v209
	;; [unrolled: 1-line block ×3, first 2 shown]
	v_bfe_u32 v63, v63, 24, 2
	v_lshrrev_b16 v221, 8, v208
	v_lshrrev_b32_e32 v219, 16, v208
	v_lshrrev_b32_e32 v220, 24, v208
	v_lshrrev_b16 v218, 8, v200
	v_lshrrev_b32_e32 v217, 16, v200
	v_sub_nc_u16 v200, v200, v208
	v_sub_nc_u16 v63, v63, v220
	;; [unrolled: 1-line block ×3, first 2 shown]
	v_lshrrev_b16 v220, 8, v209
	v_lshrrev_b32_e32 v218, 16, v209
	v_mov_b32_e32 v221, 0
	v_lshlrev_b16 v63, 8, v63
	v_lshlrev_b16 v208, 8, v208
	v_or_b32_sdwa v200, v200, v208 dst_sel:DWORD dst_unused:UNUSED_PAD src0_sel:BYTE_0 src1_sel:DWORD
	v_sub_nc_u16 v208, v217, v219
	v_lshrrev_b32_e32 v219, 24, v209
	v_or_b32_sdwa v63, v208, v63 dst_sel:WORD_1 dst_unused:UNUSED_PAD src0_sel:BYTE_0 src1_sel:DWORD
	v_or_b32_sdwa v200, v200, v63 dst_sel:DWORD dst_unused:UNUSED_PAD src0_sel:WORD_0 src1_sel:DWORD
	v_ashrrev_i32_e32 v63, s11, v201
	v_and_b32_e32 v201, 0x3030303, v63
	v_bfe_u32 v63, v63, 24, 2
	v_lshrrev_b16 v217, 8, v201
	v_lshrrev_b32_e32 v208, 16, v201
	v_sub_nc_u16 v201, v201, v209
	v_sub_nc_u16 v63, v63, v219
	v_mov_b32_e32 v219, 0
	v_sub_nc_u16 v209, v217, v220
	v_mov_b32_e32 v217, 0
	v_sub_nc_u16 v208, v208, v218
	v_lshlrev_b16 v63, 8, v63
	v_dot4c_i32_i8 v219, v199, v2
	v_lshlrev_b16 v209, 8, v209
	v_dot4c_i32_i8 v217, v202, v6
	v_mov_b32_e32 v220, 0
	v_or_b32_sdwa v63, v208, v63 dst_sel:WORD_1 dst_unused:UNUSED_PAD src0_sel:BYTE_0 src1_sel:DWORD
	v_dot4c_i32_i8 v219, v64, v3
	v_or_b32_sdwa v201, v201, v209 dst_sel:DWORD dst_unused:UNUSED_PAD src0_sel:BYTE_0 src1_sel:DWORD
	v_dot4c_i32_i8 v217, v203, v7
	v_add_nc_u32_e32 v218, s16, v136
	s_mov_b32 s16, s11
	v_dot4c_i32_i8 v219, v200, v4
	v_or_b32_sdwa v201, v201, v63 dst_sel:DWORD dst_unused:UNUSED_PAD src0_sel:WORD_0 src1_sel:DWORD
	v_add3_u32 v63, s17, v164, v125
	v_dot4c_i32_i8 v217, v204, v8
	v_dot4c_i32_i8 v219, v201, v5
	ds_read_b32 v63, v63
	v_dot4c_i32_i8 v217, v205, v9
	ds_read_b128 v[6:9], v170 offset:1024
	ds_read_b128 v[2:5], v170 offset:1040
	ds_read_u16 v207, v207 offset:2
	s_waitcnt lgkmcnt(2)
	v_dot4c_i32_i8 v220, v172, v6
	s_waitcnt lgkmcnt(1)
	v_dot4c_i32_i8 v221, v176, v2
	s_waitcnt lgkmcnt(0)
	v_lshrrev_b16 v209, 8, v207
	v_bfe_i32 v208, v207, 0, 8
	v_dot4c_i32_i8 v220, v173, v7
	v_dot4c_i32_i8 v221, v177, v3
	v_bfe_i32 v209, v209, 0, 8
	v_dot4c_i32_i8 v220, v174, v8
	v_dot4c_i32_i8 v221, v178, v4
	v_mul_lo_u32 v207, v210, v209
	v_dot4c_i32_i8 v220, v175, v9
	v_dot4c_i32_i8 v221, v179, v5
	v_mad_u64_u32 v[206:207], null, v206, v208, v[207:208]
	v_mul_lo_u32 v210, v220, v208
	v_mul_f32_e32 v207, v180, v61
	v_cvt_f32_i32_e32 v206, v206
	v_mad_u64_u32 v[220:221], null, v221, v209, v[210:211]
	v_mul_f32_e32 v210, v180, v62
	v_fmac_f32_e32 v10, v207, v206
	ds_read_u16 v206, v211 offset:2
	v_mov_b32_e32 v207, 0
	v_cvt_f32_i32_e32 v220, v220
	v_dot4c_i32_i8 v207, v181, v6
	v_fma_f32 v11, v210, v220, v11
	v_mov_b32_e32 v220, 0
	v_dot4c_i32_i8 v207, v182, v7
	v_dot4c_i32_i8 v220, v185, v2
	;; [unrolled: 1-line block ×3, first 2 shown]
	s_waitcnt lgkmcnt(0)
	v_lshrrev_b16 v211, 8, v206
	v_dot4c_i32_i8 v220, v186, v3
	v_dot4c_i32_i8 v207, v184, v9
	v_bfe_i32 v210, v206, 0, 8
	v_bfe_i32 v211, v211, 0, 8
	v_dot4c_i32_i8 v220, v187, v4
	v_mul_lo_u32 v207, v207, v210
	v_mul_lo_u32 v206, v213, v211
	v_dot4c_i32_i8 v220, v189, v5
	v_mad_u64_u32 v[220:221], null, v220, v211, v[207:208]
                                        ; kill: def $vgpr207 killed $sgpr0 killed $exec
	v_mad_u64_u32 v[206:207], null, v212, v210, v[206:207]
	v_mul_f32_e32 v207, v188, v61
	v_mul_f32_e32 v212, v188, v62
	v_cvt_f32_i32_e32 v213, v220
	v_mov_b32_e32 v220, 0
	v_cvt_f32_i32_e32 v206, v206
	v_fma_f32 v56, v212, v213, v56
	v_dot4c_i32_i8 v220, v194, v2
	v_fmac_f32_e32 v55, v207, v206
	v_mov_b32_e32 v207, 0
	ds_read_u16 v206, v215 offset:2
	v_dot4c_i32_i8 v220, v195, v3
	v_dot4c_i32_i8 v207, v190, v6
	;; [unrolled: 1-line block ×7, first 2 shown]
	s_waitcnt lgkmcnt(0)
	v_bfe_i32 v212, v206, 0, 8
	v_lshrrev_b16 v213, 8, v206
	v_mul_lo_u32 v207, v207, v212
	v_bfe_i32 v213, v213, 0, 8
	v_mul_lo_u32 v206, v216, v213
	v_mad_u64_u32 v[215:216], null, v220, v213, v[207:208]
                                        ; kill: def $vgpr207 killed $sgpr0 killed $exec
	v_mov_b32_e32 v216, 0
	v_mad_u64_u32 v[206:207], null, v214, v212, v[206:207]
	v_mul_f32_e32 v214, v197, v62
	v_cvt_f32_i32_e32 v215, v215
	v_mul_f32_e32 v207, v197, v61
	v_fma_f32 v58, v214, v215, v58
	v_mov_b32_e32 v214, 0
	v_cvt_f32_i32_e32 v206, v206
	v_mov_b32_e32 v215, 0
	v_dot4c_i32_i8 v214, v202, v6
	v_mov_b32_e32 v6, 0
	v_fmac_f32_e32 v57, v207, v206
	v_dot4c_i32_i8 v214, v203, v7
	v_dot4c_i32_i8 v6, v199, v2
	ds_read_u16 v2, v218 offset:2
	v_mov_b32_e32 v218, 0
	v_dot4c_i32_i8 v214, v204, v8
	v_dot4c_i32_i8 v6, v64, v3
	;; [unrolled: 1-line block ×4, first 2 shown]
                                        ; kill: def $vgpr4 killed $sgpr0 killed $exec
	v_dot4c_i32_i8 v6, v201, v5
	s_waitcnt lgkmcnt(0)
	v_lshrrev_b16 v3, 8, v2
	v_bfe_i32 v206, v2, 0, 8
	v_bfe_i32 v207, v3, 0, 8
	v_mul_lo_u32 v3, v214, v206
	v_mov_b32_e32 v214, 0
	v_mul_lo_u32 v2, v219, v207
	v_mad_u64_u32 v[3:4], null, v6, v207, v[3:4]
	v_mad_u64_u32 v[4:5], null, v217, v206, v[2:3]
	v_mul_f32_e32 v2, v63, v61
	v_mul_f32_e32 v5, v63, v62
	v_cvt_f32_i32_e32 v3, v3
	v_mov_b32_e32 v217, 0
	v_cvt_f32_i32_e32 v4, v4
	v_fma_f32 v60, v5, v3, v60
	v_fmac_f32_e32 v59, v2, v4
	ds_read2_b32 v[61:62], v171 offset0:64 offset1:96
	ds_read_b128 v[6:9], v170 offset:2048
	ds_read_b128 v[2:5], v170 offset:2064
	s_waitcnt lgkmcnt(1)
	v_dot4c_i32_i8 v215, v172, v6
	v_dot4c_i32_i8 v216, v181, v6
	;; [unrolled: 1-line block ×4, first 2 shown]
	v_mov_b32_e32 v6, 0
	s_waitcnt lgkmcnt(0)
	v_dot4c_i32_i8 v223, v176, v2
	v_dot4c_i32_i8 v225, v185, v2
	;; [unrolled: 1-line block ×20, first 2 shown]
	ds_read_b128 v[219:222], v170 offset:3072
	ds_read_b128 v[2:5], v170 offset:3088
	v_dot4c_i32_i8 v215, v174, v8
	v_dot4c_i32_i8 v216, v183, v8
	;; [unrolled: 1-line block ×4, first 2 shown]
	v_mov_b32_e32 v8, 0
	v_dot4c_i32_i8 v215, v175, v9
	v_dot4c_i32_i8 v216, v184, v9
	;; [unrolled: 1-line block ×4, first 2 shown]
	v_mov_b32_e32 v9, 0
	v_mul_lo_u32 v7, v223, v209
	s_waitcnt lgkmcnt(1)
	v_dot4c_i32_i8 v8, v172, v219
	s_waitcnt lgkmcnt(0)
	v_dot4c_i32_i8 v9, v176, v2
	v_dot4c_i32_i8 v8, v173, v220
	;; [unrolled: 1-line block ×7, first 2 shown]
	v_mul_lo_u32 v8, v8, v208
	v_mad_u64_u32 v[8:9], null, v9, v209, v[8:9]
	v_mul_f32_e32 v9, v180, v62
	v_mad_u64_u32 v[223:224], null, v215, v208, v[7:8]
	v_cvt_f32_i32_e32 v8, v8
	v_mul_f32_e32 v7, v180, v61
	v_mov_b32_e32 v224, 0
	v_fma_f32 v52, v9, v8, v52
	v_mov_b32_e32 v8, 0
	v_mov_b32_e32 v9, 0
	v_cvt_f32_i32_e32 v215, v223
	v_mov_b32_e32 v223, 0
	v_dot4c_i32_i8 v8, v181, v219
	v_dot4c_i32_i8 v9, v185, v2
	v_fmac_f32_e32 v51, v7, v215
	v_mul_lo_u32 v7, v225, v211
	v_dot4c_i32_i8 v8, v182, v220
	v_dot4c_i32_i8 v9, v186, v3
	;; [unrolled: 1-line block ×6, first 2 shown]
	v_mul_lo_u32 v8, v8, v210
	v_mad_u64_u32 v[8:9], null, v9, v211, v[8:9]
	v_mul_f32_e32 v9, v188, v62
	v_mad_u64_u32 v[215:216], null, v216, v210, v[7:8]
	v_cvt_f32_i32_e32 v8, v8
	v_mul_f32_e32 v7, v188, v61
	v_fma_f32 v54, v9, v8, v54
	v_mov_b32_e32 v8, 0
	v_mov_b32_e32 v9, 0
	v_cvt_f32_i32_e32 v215, v215
	v_dot4c_i32_i8 v8, v190, v219
	v_dot4c_i32_i8 v9, v194, v2
	v_fmac_f32_e32 v53, v7, v215
	v_mul_lo_u32 v7, v218, v213
	v_mov_b32_e32 v218, 0
	v_dot4c_i32_i8 v8, v191, v220
	v_dot4c_i32_i8 v9, v195, v3
	v_dot4c_i32_i8 v8, v192, v221
	v_dot4c_i32_i8 v9, v196, v4
	v_dot4c_i32_i8 v8, v193, v222
	v_dot4c_i32_i8 v9, v198, v5
	v_mul_lo_u32 v8, v8, v212
	v_mad_u64_u32 v[8:9], null, v9, v213, v[8:9]
	v_mul_f32_e32 v9, v197, v62
	v_mad_u64_u32 v[215:216], null, v217, v212, v[7:8]
	v_mul_f32_e32 v7, v197, v61
	v_cvt_f32_i32_e32 v8, v8
	v_cvt_f32_i32_e32 v215, v215
	v_fma_f32 v48, v9, v8, v48
	v_mov_b32_e32 v8, 0
	v_mov_b32_e32 v9, 0
	v_fmac_f32_e32 v47, v7, v215
	v_mov_b32_e32 v7, 0
	v_dot4c_i32_i8 v8, v199, v2
	v_mul_lo_u32 v2, v6, v207
	v_dot4c_i32_i8 v7, v202, v219
	v_dot4c_i32_i8 v8, v64, v3
	v_mov_b32_e32 v219, 0
	v_dot4c_i32_i8 v7, v203, v220
	v_dot4c_i32_i8 v8, v200, v4
                                        ; kill: def $vgpr4 killed $sgpr0 killed $exec
	v_mov_b32_e32 v220, 0
	v_dot4c_i32_i8 v7, v204, v221
	v_dot4c_i32_i8 v8, v201, v5
	v_mov_b32_e32 v221, 0
	v_dot4c_i32_i8 v7, v205, v222
	v_mov_b32_e32 v222, 0
	v_mul_lo_u32 v3, v7, v206
	v_mad_u64_u32 v[3:4], null, v8, v207, v[3:4]
	v_mov_b32_e32 v8, 0
	v_mad_u64_u32 v[4:5], null, v214, v206, v[2:3]
	v_mul_f32_e32 v2, v63, v61
	v_mul_f32_e32 v5, v63, v62
	v_cvt_f32_i32_e32 v3, v3
	v_mov_b32_e32 v61, 0
	v_cvt_f32_i32_e32 v4, v4
	v_fma_f32 v50, v5, v3, v50
	v_fmac_f32_e32 v49, v2, v4
	ds_read2_b32 v[2:3], v171 offset0:128 offset1:160
	ds_read_b128 v[4:7], v170 offset:4096
	ds_read_b128 v[214:217], v170 offset:4112
	s_waitcnt lgkmcnt(1)
	v_dot4c_i32_i8 v218, v172, v4
	s_waitcnt lgkmcnt(0)
	v_dot4c_i32_i8 v8, v176, v214
	v_dot4c_i32_i8 v219, v181, v4
	;; [unrolled: 1-line block ×31, first 2 shown]
	ds_read_b128 v[4:7], v170 offset:5120
	ds_read_b128 v[214:217], v170 offset:5136
	v_mul_lo_u32 v8, v8, v209
	s_waitcnt lgkmcnt(1)
	v_dot4c_i32_i8 v9, v172, v4
	s_waitcnt lgkmcnt(0)
	v_dot4c_i32_i8 v61, v176, v214
	v_dot4c_i32_i8 v9, v173, v5
	;; [unrolled: 1-line block ×7, first 2 shown]
	v_mul_lo_u32 v9, v9, v208
	v_mad_u64_u32 v[61:62], null, v61, v209, v[9:10]
                                        ; kill: def $vgpr9 killed $sgpr0 killed $exec
	v_mul_f32_e32 v62, v180, v3
	v_mad_u64_u32 v[8:9], null, v218, v208, v[8:9]
	v_mul_f32_e32 v9, v180, v2
	v_mov_b32_e32 v218, 0
	v_cvt_f32_i32_e32 v61, v61
	v_cvt_f32_i32_e32 v8, v8
	v_fma_f32 v42, v62, v61, v42
	v_mov_b32_e32 v61, 0
	v_fmac_f32_e32 v41, v9, v8
	v_mov_b32_e32 v9, 0
	v_mul_lo_u32 v8, v220, v211
	v_dot4c_i32_i8 v61, v185, v214
	v_mov_b32_e32 v220, 0
	v_dot4c_i32_i8 v9, v181, v4
	v_dot4c_i32_i8 v61, v186, v215
	;; [unrolled: 1-line block ×7, first 2 shown]
	v_mul_lo_u32 v9, v9, v210
	v_mad_u64_u32 v[61:62], null, v61, v211, v[9:10]
                                        ; kill: def $vgpr9 killed $sgpr0 killed $exec
	v_mul_f32_e32 v62, v188, v3
	v_mad_u64_u32 v[8:9], null, v219, v210, v[8:9]
	v_mul_f32_e32 v9, v188, v2
	v_mov_b32_e32 v219, 0
	v_cvt_f32_i32_e32 v61, v61
	v_cvt_f32_i32_e32 v8, v8
	v_fma_f32 v44, v62, v61, v44
	v_mov_b32_e32 v61, 0
	v_fmac_f32_e32 v43, v9, v8
	v_mov_b32_e32 v9, 0
	v_mul_lo_u32 v8, v222, v213
	v_dot4c_i32_i8 v61, v194, v214
	v_mov_b32_e32 v222, 0
	v_dot4c_i32_i8 v9, v190, v4
	v_dot4c_i32_i8 v61, v195, v215
	;; [unrolled: 1-line block ×7, first 2 shown]
	v_mul_lo_u32 v9, v9, v212
	v_mad_u64_u32 v[61:62], null, v61, v213, v[9:10]
                                        ; kill: def $vgpr9 killed $sgpr0 killed $exec
	v_mul_f32_e32 v62, v197, v3
	v_mad_u64_u32 v[8:9], null, v221, v212, v[8:9]
	v_mul_f32_e32 v9, v197, v2
	v_mul_f32_e32 v2, v63, v2
	;; [unrolled: 1-line block ×3, first 2 shown]
	v_cvt_f32_i32_e32 v61, v61
	v_mov_b32_e32 v221, 0
	v_cvt_f32_i32_e32 v8, v8
	v_fma_f32 v46, v62, v61, v46
	v_mov_b32_e32 v61, 0
	v_mov_b32_e32 v62, 0
	v_fmac_f32_e32 v45, v9, v8
	v_mov_b32_e32 v8, 0
	v_mov_b32_e32 v9, 0
	v_dot4c_i32_i8 v8, v202, v4
	v_mul_lo_u32 v4, v224, v207
	v_dot4c_i32_i8 v8, v203, v5
	v_dot4c_i32_i8 v8, v204, v6
	v_mov_b32_e32 v6, 0
	v_dot4c_i32_i8 v8, v205, v7
	v_dot4c_i32_i8 v6, v199, v214
	v_mul_lo_u32 v5, v8, v206
	v_dot4c_i32_i8 v6, v64, v215
	v_mov_b32_e32 v8, 0
	v_dot4c_i32_i8 v6, v200, v216
	v_dot4c_i32_i8 v6, v201, v217
	v_mad_u64_u32 v[5:6], null, v6, v207, v[5:6]
	v_mad_u64_u32 v[6:7], null, v223, v206, v[4:5]
	v_cvt_f32_i32_e32 v5, v5
	v_fma_f32 v40, v3, v5, v40
	v_cvt_f32_i32_e32 v4, v6
	v_fmac_f32_e32 v39, v2, v4
	ds_read2_b32 v[6:7], v171 offset0:192 offset1:224
	ds_read_b128 v[2:5], v170 offset:6144
	ds_read_b128 v[214:217], v170 offset:6160
	v_add_nc_u32_e32 v171, 4, v171
	s_waitcnt lgkmcnt(1)
	v_dot4c_i32_i8 v218, v172, v2
	s_waitcnt lgkmcnt(0)
	v_dot4c_i32_i8 v61, v176, v214
	v_dot4c_i32_i8 v219, v181, v2
	;; [unrolled: 1-line block ×31, first 2 shown]
	ds_read_b128 v[214:217], v170 offset:7168
	ds_read_b128 v[2:5], v170 offset:7184
	v_mul_lo_u32 v61, v61, v209
	v_add_nc_u32_e32 v170, 32, v170
	s_waitcnt lgkmcnt(1)
	v_dot4c_i32_i8 v62, v172, v214
	v_mov_b32_e32 v172, 0
	v_dot4c_i32_i8 v62, v173, v215
	s_waitcnt lgkmcnt(0)
	v_dot4c_i32_i8 v172, v176, v2
	v_dot4c_i32_i8 v62, v174, v216
	;; [unrolled: 1-line block ×5, first 2 shown]
	v_mul_lo_u32 v62, v62, v208
	v_dot4c_i32_i8 v172, v179, v5
	v_mad_u64_u32 v[172:173], null, v172, v209, v[62:63]
                                        ; kill: def $vgpr62 killed $sgpr0 killed $exec
	v_mul_f32_e32 v173, v180, v7
	v_mad_u64_u32 v[61:62], null, v218, v208, v[61:62]
	v_mul_f32_e32 v62, v180, v6
	v_cvt_f32_i32_e32 v172, v172
	v_cvt_f32_i32_e32 v61, v61
	v_fma_f32 v30, v173, v172, v30
	v_mov_b32_e32 v172, 0
	v_fmac_f32_e32 v29, v62, v61
	v_mov_b32_e32 v62, 0
	v_mul_lo_u32 v61, v220, v211
	v_dot4c_i32_i8 v172, v185, v2
	v_dot4c_i32_i8 v62, v181, v214
	;; [unrolled: 1-line block ×8, first 2 shown]
	v_mul_lo_u32 v62, v62, v210
	v_mad_u64_u32 v[172:173], null, v172, v211, v[62:63]
                                        ; kill: def $vgpr62 killed $sgpr0 killed $exec
	v_mul_f32_e32 v173, v188, v7
	v_mad_u64_u32 v[61:62], null, v219, v210, v[61:62]
	v_mul_f32_e32 v62, v188, v6
	v_cvt_f32_i32_e32 v172, v172
	v_cvt_f32_i32_e32 v61, v61
	v_fma_f32 v32, v173, v172, v32
	v_mov_b32_e32 v172, 0
	v_fmac_f32_e32 v31, v62, v61
	v_mov_b32_e32 v62, 0
	v_mul_lo_u32 v61, v222, v213
	v_dot4c_i32_i8 v172, v194, v2
	v_dot4c_i32_i8 v62, v190, v214
	;; [unrolled: 1-line block ×8, first 2 shown]
	v_mul_lo_u32 v62, v62, v212
	v_mad_u64_u32 v[172:173], null, v172, v213, v[62:63]
                                        ; kill: def $vgpr62 killed $sgpr0 killed $exec
	v_mul_f32_e32 v173, v197, v7
	v_mad_u64_u32 v[61:62], null, v221, v212, v[61:62]
	v_mul_f32_e32 v62, v197, v6
	v_cvt_f32_i32_e32 v172, v172
	v_cvt_f32_i32_e32 v61, v61
	v_fma_f32 v34, v173, v172, v34
	v_fmac_f32_e32 v33, v62, v61
	v_mov_b32_e32 v61, 0
	v_mov_b32_e32 v62, 0
	v_dot4c_i32_i8 v61, v202, v214
	v_dot4c_i32_i8 v62, v199, v2
	;; [unrolled: 1-line block ×4, first 2 shown]
                                        ; kill: def $vgpr3 killed $sgpr0 killed $exec
	s_add_i32 s0, s0, 1
	s_cmp_lt_u32 s11, 6
	v_dot4c_i32_i8 v61, v204, v216
	v_dot4c_i32_i8 v62, v200, v4
	v_mul_lo_u32 v4, v9, v207
	v_dot4c_i32_i8 v61, v205, v217
	v_dot4c_i32_i8 v62, v201, v5
	v_mul_lo_u32 v2, v61, v206
	v_mad_u64_u32 v[2:3], null, v62, v207, v[2:3]
	v_mad_u64_u32 v[3:4], null, v8, v206, v[4:5]
	v_mul_f32_e32 v4, v63, v6
	v_mul_f32_e32 v5, v63, v7
	v_cvt_f32_i32_e32 v2, v2
	v_cvt_f32_i32_e32 v3, v3
	v_fma_f32 v36, v5, v2, v36
	v_fmac_f32_e32 v35, v4, v3
	s_cbranch_scc1 .LBB150_7
; %bb.8:                                ;   in Loop: Header=BB150_6 Depth=1
	v_add_nc_u32_e32 v170, s9, v126
	v_add_nc_u32_e32 v63, 4, v168
	s_barrier
	buffer_gl0_inv
	v_add_nc_u32_e32 v2, v170, v109
	v_add_nc_u32_e32 v4, v170, v111
	;; [unrolled: 1-line block ×5, first 2 shown]
	v_mad_u64_u32 v[63:64], null, v63, 36, s[2:3]
	v_mad_i64_i32 v[2:3], null, v2, 36, v[37:38]
	v_add_nc_u32_e32 v171, v170, v115
	v_mad_i64_i32 v[4:5], null, v4, 36, v[37:38]
	v_add_nc_u32_e32 v172, v170, v116
	v_mad_i64_i32 v[6:7], null, v6, 36, v[37:38]
	v_add_nc_u32_e32 v174, v170, v117
	v_mad_i64_i32 v[8:9], null, v8, 36, v[37:38]
	v_mad_i64_i32 v[61:62], null, v61, 36, v[37:38]
	;; [unrolled: 1-line block ×5, first 2 shown]
	s_clause 0x8
	global_load_dword v63, v[63:64], off
	global_load_dword v2, v[2:3], off offset:4
	global_load_dword v3, v[4:5], off offset:4
	;; [unrolled: 1-line block ×8, first 2 shown]
	v_mov_b32_e32 v170, v138
	v_mov_b32_e32 v171, v137
	s_mov_b32 s0, 4
	s_mov_b32 s1, 8
	;; [unrolled: 1-line block ×3, first 2 shown]
	s_waitcnt vmcnt(8)
	v_cvt_f32_f16_e32 v61, v63
	s_waitcnt vmcnt(7)
	ds_write_b32 v169, v2
	s_waitcnt vmcnt(6)
	ds_write_b32 v152, v3
	;; [unrolled: 2-line block ×8, first 2 shown]
	ds_write_b32 v108, v61
	s_waitcnt lgkmcnt(0)
	s_barrier
	buffer_gl0_inv
.LBB150_9:                              ;   Parent Loop BB150_6 Depth=1
                                        ; =>  This Inner Loop Header: Depth=2
	s_add_i32 s11, s17, 2
	ds_read2_b32 v[61:62], v171 offset1:32
	ds_read_b128 v[6:9], v170
	ds_read_b128 v[2:5], v170 offset:16
	s_lshr_b32 s20, s11, 4
	s_and_b32 s19, s11, 0x3ffffff8
	s_add_i32 s16, s17, -6
	v_lshl_add_u32 v200, s19, 2, v118
	s_lshl_b32 s19, s20, 5
	s_and_b32 s18, s1, -16
	s_addk_i32 s19, 0x4200
	s_add_i32 s17, s17, s18
	v_add3_u32 v178, s19, v165, v119
	ds_read2_b32 v[63:64], v200 offset1:1
	s_lshl_b32 s18, s20, 2
	v_add3_u32 v186, s19, v159, v120
	s_add_i32 s18, s18, 0x9380
	ds_read2_b32 v[172:173], v178 offset1:1
	v_add3_u32 v196, s19, v161, v122
	v_add3_u32 v208, s19, v163, v124
	v_mov_b32_e32 v206, 0
	v_mov_b32_e32 v209, 0
	;; [unrolled: 1-line block ×6, first 2 shown]
	v_add_nc_u32_e32 v207, s17, v129
	v_add_nc_u32_e32 v211, s17, v130
	;; [unrolled: 1-line block ×3, first 2 shown]
	v_mov_b32_e32 v222, 0
	v_mov_b32_e32 v223, 0
	;; [unrolled: 1-line block ×3, first 2 shown]
	s_add_i32 s1, s1, 2
	s_waitcnt lgkmcnt(1)
	v_ashrrev_i32_e32 v63, s16, v63
	s_waitcnt lgkmcnt(0)
	v_ashrrev_i32_e32 v172, s0, v172
	v_and_b32_e32 v174, 0x3030303, v63
	v_bfe_u32 v63, v63, 24, 2
	v_ashrrev_i32_e32 v173, s0, v173
	v_lshlrev_b32_e32 v172, 2, v172
	v_lshrrev_b16 v176, 8, v174
	v_lshrrev_b32_e32 v175, 16, v174
	v_lshlrev_b32_e32 v173, 2, v173
	v_and_b32_e32 v172, 0x4040404, v172
	v_and_b32_e32 v173, 0x4040404, v173
	v_lshrrev_b16 v180, 8, v172
	v_lshrrev_b32_e32 v177, 16, v172
	v_lshrrev_b32_e32 v179, 24, v172
	v_sub_nc_u16 v172, v174, v172
	v_sub_nc_u16 v174, v176, v180
	v_lshrrev_b32_e32 v176, 16, v173
	v_sub_nc_u16 v63, v63, v179
	v_lshrrev_b16 v179, 8, v173
	v_lshlrev_b16 v174, 8, v174
	v_lshlrev_b16 v63, 8, v63
	v_or_b32_sdwa v172, v172, v174 dst_sel:DWORD dst_unused:UNUSED_PAD src0_sel:BYTE_0 src1_sel:DWORD
	v_sub_nc_u16 v174, v175, v177
	v_lshrrev_b32_e32 v177, 24, v173
	v_or_b32_sdwa v63, v174, v63 dst_sel:WORD_1 dst_unused:UNUSED_PAD src0_sel:BYTE_0 src1_sel:DWORD
	v_or_b32_sdwa v172, v172, v63 dst_sel:DWORD dst_unused:UNUSED_PAD src0_sel:WORD_0 src1_sel:DWORD
	v_ashrrev_i32_e32 v63, s16, v64
	v_dot4c_i32_i8 v206, v172, v6
	v_and_b32_e32 v64, 0x3030303, v63
	v_bfe_u32 v63, v63, 24, 2
	v_lshrrev_b16 v175, 8, v64
	v_lshrrev_b32_e32 v174, 16, v64
	v_sub_nc_u16 v64, v64, v173
	v_sub_nc_u16 v63, v63, v177
	v_sub_nc_u16 v173, v175, v179
	v_lshlrev_b16 v63, 8, v63
	v_lshlrev_b16 v173, 8, v173
	v_or_b32_sdwa v64, v64, v173 dst_sel:DWORD dst_unused:UNUSED_PAD src0_sel:BYTE_0 src1_sel:DWORD
	v_sub_nc_u16 v173, v174, v176
	ds_read2_b32 v[174:175], v178 offset0:2 offset1:3
	v_or_b32_sdwa v63, v173, v63 dst_sel:WORD_1 dst_unused:UNUSED_PAD src0_sel:BYTE_0 src1_sel:DWORD
	v_or_b32_sdwa v173, v64, v63 dst_sel:DWORD dst_unused:UNUSED_PAD src0_sel:WORD_0 src1_sel:DWORD
	ds_read2_b32 v[63:64], v200 offset0:2 offset1:3
	v_dot4c_i32_i8 v206, v173, v7
	s_waitcnt lgkmcnt(1)
	v_ashrrev_i32_e32 v174, s0, v174
	v_ashrrev_i32_e32 v175, s0, v175
	v_lshlrev_b32_e32 v174, 2, v174
	v_lshlrev_b32_e32 v175, 2, v175
	s_waitcnt lgkmcnt(0)
	v_ashrrev_i32_e32 v63, s16, v63
	v_and_b32_e32 v174, 0x4040404, v174
	v_and_b32_e32 v175, 0x4040404, v175
	v_and_b32_e32 v176, 0x3030303, v63
	v_bfe_u32 v63, v63, 24, 2
	v_lshrrev_b16 v182, 8, v174
	v_lshrrev_b32_e32 v180, 16, v174
	v_lshrrev_b32_e32 v181, 24, v174
	v_lshrrev_b16 v179, 8, v176
	v_lshrrev_b32_e32 v177, 16, v176
	v_sub_nc_u16 v174, v176, v174
	v_sub_nc_u16 v63, v63, v181
	v_sub_nc_u16 v176, v179, v182
	v_lshrrev_b16 v181, 8, v175
	v_lshrrev_b32_e32 v179, 16, v175
	v_lshlrev_b16 v63, 8, v63
	v_lshlrev_b16 v176, 8, v176
	v_or_b32_sdwa v174, v174, v176 dst_sel:DWORD dst_unused:UNUSED_PAD src0_sel:BYTE_0 src1_sel:DWORD
	v_sub_nc_u16 v176, v177, v180
	v_lshrrev_b32_e32 v180, 24, v175
	v_or_b32_sdwa v63, v176, v63 dst_sel:WORD_1 dst_unused:UNUSED_PAD src0_sel:BYTE_0 src1_sel:DWORD
	v_or_b32_sdwa v174, v174, v63 dst_sel:DWORD dst_unused:UNUSED_PAD src0_sel:WORD_0 src1_sel:DWORD
	v_ashrrev_i32_e32 v63, s16, v64
	v_dot4c_i32_i8 v206, v174, v8
	v_and_b32_e32 v64, 0x3030303, v63
	v_bfe_u32 v63, v63, 24, 2
	v_lshrrev_b16 v177, 8, v64
	v_lshrrev_b32_e32 v176, 16, v64
	v_sub_nc_u16 v64, v64, v175
	v_sub_nc_u16 v63, v63, v180
	v_sub_nc_u16 v175, v177, v181
	v_lshlrev_b16 v63, 8, v63
	v_lshlrev_b16 v175, 8, v175
	v_or_b32_sdwa v64, v64, v175 dst_sel:DWORD dst_unused:UNUSED_PAD src0_sel:BYTE_0 src1_sel:DWORD
	v_sub_nc_u16 v175, v176, v179
	ds_read2_b32 v[176:177], v178 offset0:4 offset1:5
	v_or_b32_sdwa v63, v175, v63 dst_sel:WORD_1 dst_unused:UNUSED_PAD src0_sel:BYTE_0 src1_sel:DWORD
	v_or_b32_sdwa v175, v64, v63 dst_sel:DWORD dst_unused:UNUSED_PAD src0_sel:WORD_0 src1_sel:DWORD
	ds_read2_b32 v[63:64], v200 offset0:4 offset1:5
	v_dot4c_i32_i8 v206, v175, v9
	s_waitcnt lgkmcnt(1)
	v_ashrrev_i32_e32 v176, s0, v176
	v_ashrrev_i32_e32 v177, s0, v177
	v_lshlrev_b32_e32 v176, 2, v176
	v_lshlrev_b32_e32 v177, 2, v177
	s_waitcnt lgkmcnt(0)
	v_ashrrev_i32_e32 v63, s16, v63
	v_and_b32_e32 v176, 0x4040404, v176
	v_and_b32_e32 v177, 0x4040404, v177
	v_and_b32_e32 v179, 0x3030303, v63
	v_bfe_u32 v63, v63, 24, 2
	v_lshrrev_b16 v184, 8, v176
	v_lshrrev_b32_e32 v182, 16, v176
	v_lshrrev_b32_e32 v183, 24, v176
	v_lshrrev_b16 v181, 8, v179
	v_lshrrev_b32_e32 v180, 16, v179
	v_sub_nc_u16 v176, v179, v176
	v_sub_nc_u16 v63, v63, v183
	v_sub_nc_u16 v179, v181, v184
	v_lshrrev_b16 v183, 8, v177
	v_lshrrev_b32_e32 v181, 16, v177
	;; [unrolled: 46-line block ×3, first 2 shown]
	v_lshlrev_b16 v63, 8, v63
	v_lshlrev_b16 v180, 8, v180
	v_or_b32_sdwa v178, v178, v180 dst_sel:DWORD dst_unused:UNUSED_PAD src0_sel:BYTE_0 src1_sel:DWORD
	v_sub_nc_u16 v180, v181, v183
	v_lshrrev_b32_e32 v183, 24, v179
	v_or_b32_sdwa v63, v180, v63 dst_sel:WORD_1 dst_unused:UNUSED_PAD src0_sel:BYTE_0 src1_sel:DWORD
	v_or_b32_sdwa v178, v178, v63 dst_sel:DWORD dst_unused:UNUSED_PAD src0_sel:WORD_0 src1_sel:DWORD
	v_ashrrev_i32_e32 v63, s16, v64
	v_dot4c_i32_i8 v209, v178, v4
	v_and_b32_e32 v64, 0x3030303, v63
	v_bfe_u32 v63, v63, 24, 2
	v_lshrrev_b16 v181, 8, v64
	v_lshrrev_b32_e32 v180, 16, v64
	v_sub_nc_u16 v64, v64, v179
	v_sub_nc_u16 v63, v63, v183
	;; [unrolled: 1-line block ×3, first 2 shown]
	v_lshlrev_b16 v63, 8, v63
	v_lshlrev_b16 v179, 8, v179
	v_or_b32_sdwa v64, v64, v179 dst_sel:DWORD dst_unused:UNUSED_PAD src0_sel:BYTE_0 src1_sel:DWORD
	v_sub_nc_u16 v179, v180, v182
	ds_read2_b32 v[181:182], v186 offset1:1
	v_or_b32_sdwa v63, v179, v63 dst_sel:WORD_1 dst_unused:UNUSED_PAD src0_sel:BYTE_0 src1_sel:DWORD
	v_or_b32_sdwa v180, v64, v63 dst_sel:DWORD dst_unused:UNUSED_PAD src0_sel:WORD_0 src1_sel:DWORD
	v_add3_u32 v63, s18, v166, v167
	v_dot4c_i32_i8 v209, v180, v5
	ds_read_b32 v179, v63
	v_add_nc_u32_e32 v63, 0x1080, v200
	s_waitcnt lgkmcnt(1)
	v_ashrrev_i32_e32 v181, s0, v181
	ds_read2_b32 v[63:64], v63 offset1:1
	v_ashrrev_i32_e32 v182, s0, v182
	v_lshlrev_b32_e32 v181, 2, v181
	v_lshlrev_b32_e32 v182, 2, v182
	v_and_b32_e32 v181, 0x4040404, v181
	v_and_b32_e32 v182, 0x4040404, v182
	v_lshrrev_b16 v189, 8, v181
	v_lshrrev_b32_e32 v187, 16, v181
	v_lshrrev_b32_e32 v188, 24, v181
	s_waitcnt lgkmcnt(0)
	v_ashrrev_i32_e32 v63, s16, v63
	v_and_b32_e32 v183, 0x3030303, v63
	v_bfe_u32 v63, v63, 24, 2
	v_lshrrev_b16 v185, 8, v183
	v_lshrrev_b32_e32 v184, 16, v183
	v_sub_nc_u16 v181, v183, v181
	v_sub_nc_u16 v63, v63, v188
	v_lshrrev_b16 v188, 8, v182
	v_sub_nc_u16 v183, v185, v189
	v_lshrrev_b32_e32 v185, 16, v182
	v_lshlrev_b16 v63, 8, v63
	v_lshlrev_b16 v183, 8, v183
	v_or_b32_sdwa v181, v181, v183 dst_sel:DWORD dst_unused:UNUSED_PAD src0_sel:BYTE_0 src1_sel:DWORD
	v_sub_nc_u16 v183, v184, v187
	v_lshrrev_b32_e32 v187, 24, v182
	v_or_b32_sdwa v63, v183, v63 dst_sel:WORD_1 dst_unused:UNUSED_PAD src0_sel:BYTE_0 src1_sel:DWORD
	v_or_b32_sdwa v183, v181, v63 dst_sel:DWORD dst_unused:UNUSED_PAD src0_sel:WORD_0 src1_sel:DWORD
	v_ashrrev_i32_e32 v63, s16, v64
	v_dot4c_i32_i8 v210, v183, v6
	v_and_b32_e32 v64, 0x3030303, v63
	v_bfe_u32 v63, v63, 24, 2
	v_lshrrev_b16 v184, 8, v64
	v_lshrrev_b32_e32 v181, 16, v64
	v_sub_nc_u16 v64, v64, v182
	v_sub_nc_u16 v63, v63, v187
	;; [unrolled: 1-line block ×4, first 2 shown]
	v_lshlrev_b16 v63, 8, v63
	v_lshlrev_b16 v182, 8, v182
	v_or_b32_sdwa v63, v181, v63 dst_sel:WORD_1 dst_unused:UNUSED_PAD src0_sel:BYTE_0 src1_sel:DWORD
	v_or_b32_sdwa v64, v64, v182 dst_sel:DWORD dst_unused:UNUSED_PAD src0_sel:BYTE_0 src1_sel:DWORD
	ds_read2_b32 v[181:182], v186 offset0:2 offset1:3
	v_or_b32_sdwa v184, v64, v63 dst_sel:DWORD dst_unused:UNUSED_PAD src0_sel:WORD_0 src1_sel:DWORD
	v_add_nc_u32_e32 v63, 0x1088, v200
	v_dot4c_i32_i8 v210, v184, v7
	ds_read2_b32 v[63:64], v63 offset1:1
	s_waitcnt lgkmcnt(1)
	v_ashrrev_i32_e32 v181, s0, v181
	v_ashrrev_i32_e32 v182, s0, v182
	v_lshlrev_b32_e32 v181, 2, v181
	v_lshlrev_b32_e32 v182, 2, v182
	s_waitcnt lgkmcnt(0)
	v_ashrrev_i32_e32 v63, s16, v63
	v_and_b32_e32 v181, 0x4040404, v181
	v_and_b32_e32 v182, 0x4040404, v182
	;; [unrolled: 1-line block ×3, first 2 shown]
	v_bfe_u32 v63, v63, 24, 2
	v_lshrrev_b16 v191, 8, v181
	v_lshrrev_b32_e32 v189, 16, v181
	v_lshrrev_b32_e32 v190, 24, v181
	v_lshrrev_b16 v188, 8, v185
	v_lshrrev_b32_e32 v187, 16, v185
	v_sub_nc_u16 v181, v185, v181
	v_sub_nc_u16 v63, v63, v190
	;; [unrolled: 1-line block ×3, first 2 shown]
	v_lshrrev_b16 v190, 8, v182
	v_lshrrev_b32_e32 v188, 16, v182
	v_lshlrev_b16 v63, 8, v63
	v_lshlrev_b16 v185, 8, v185
	v_or_b32_sdwa v181, v181, v185 dst_sel:DWORD dst_unused:UNUSED_PAD src0_sel:BYTE_0 src1_sel:DWORD
	v_sub_nc_u16 v185, v187, v189
	v_lshrrev_b32_e32 v189, 24, v182
	v_or_b32_sdwa v63, v185, v63 dst_sel:WORD_1 dst_unused:UNUSED_PAD src0_sel:BYTE_0 src1_sel:DWORD
	v_or_b32_sdwa v185, v181, v63 dst_sel:DWORD dst_unused:UNUSED_PAD src0_sel:WORD_0 src1_sel:DWORD
	v_ashrrev_i32_e32 v63, s16, v64
	v_dot4c_i32_i8 v210, v185, v8
	v_and_b32_e32 v64, 0x3030303, v63
	v_bfe_u32 v63, v63, 24, 2
	v_lshrrev_b16 v187, 8, v64
	v_lshrrev_b32_e32 v181, 16, v64
	v_sub_nc_u16 v64, v64, v182
	v_sub_nc_u16 v63, v63, v189
	;; [unrolled: 1-line block ×4, first 2 shown]
	v_lshlrev_b16 v63, 8, v63
	v_lshlrev_b16 v182, 8, v182
	v_or_b32_sdwa v63, v181, v63 dst_sel:WORD_1 dst_unused:UNUSED_PAD src0_sel:BYTE_0 src1_sel:DWORD
	v_or_b32_sdwa v64, v64, v182 dst_sel:DWORD dst_unused:UNUSED_PAD src0_sel:BYTE_0 src1_sel:DWORD
	ds_read2_b32 v[181:182], v186 offset0:4 offset1:5
	v_or_b32_sdwa v187, v64, v63 dst_sel:DWORD dst_unused:UNUSED_PAD src0_sel:WORD_0 src1_sel:DWORD
	v_add_nc_u32_e32 v63, 0x1090, v200
	v_dot4c_i32_i8 v210, v187, v9
	ds_read2_b32 v[63:64], v63 offset1:1
	s_waitcnt lgkmcnt(1)
	v_ashrrev_i32_e32 v181, s0, v181
	v_ashrrev_i32_e32 v182, s0, v182
	v_lshlrev_b32_e32 v181, 2, v181
	v_lshlrev_b32_e32 v182, 2, v182
	s_waitcnt lgkmcnt(0)
	v_ashrrev_i32_e32 v63, s16, v63
	v_and_b32_e32 v181, 0x4040404, v181
	v_and_b32_e32 v182, 0x4040404, v182
	;; [unrolled: 1-line block ×3, first 2 shown]
	v_bfe_u32 v63, v63, 24, 2
	v_lshrrev_b16 v193, 8, v181
	v_lshrrev_b32_e32 v191, 16, v181
	v_lshrrev_b32_e32 v192, 24, v181
	v_lshrrev_b16 v190, 8, v188
	v_lshrrev_b32_e32 v189, 16, v188
	v_sub_nc_u16 v181, v188, v181
	v_sub_nc_u16 v63, v63, v192
	;; [unrolled: 1-line block ×3, first 2 shown]
	v_lshrrev_b16 v192, 8, v182
	v_lshrrev_b32_e32 v190, 16, v182
	v_lshlrev_b16 v63, 8, v63
	v_lshlrev_b16 v188, 8, v188
	v_or_b32_sdwa v181, v181, v188 dst_sel:DWORD dst_unused:UNUSED_PAD src0_sel:BYTE_0 src1_sel:DWORD
	v_sub_nc_u16 v188, v189, v191
	v_lshrrev_b32_e32 v191, 24, v182
	v_or_b32_sdwa v63, v188, v63 dst_sel:WORD_1 dst_unused:UNUSED_PAD src0_sel:BYTE_0 src1_sel:DWORD
	v_or_b32_sdwa v181, v181, v63 dst_sel:DWORD dst_unused:UNUSED_PAD src0_sel:WORD_0 src1_sel:DWORD
	v_ashrrev_i32_e32 v63, s16, v64
	v_dot4c_i32_i8 v212, v181, v2
	v_and_b32_e32 v64, 0x3030303, v63
	v_bfe_u32 v63, v63, 24, 2
	v_lshrrev_b16 v189, 8, v64
	v_lshrrev_b32_e32 v188, 16, v64
	v_sub_nc_u16 v64, v64, v182
	v_sub_nc_u16 v63, v63, v191
	;; [unrolled: 1-line block ×3, first 2 shown]
	v_lshlrev_b16 v63, 8, v63
	v_lshlrev_b16 v182, 8, v182
	v_or_b32_sdwa v64, v64, v182 dst_sel:DWORD dst_unused:UNUSED_PAD src0_sel:BYTE_0 src1_sel:DWORD
	v_sub_nc_u16 v182, v188, v190
	ds_read2_b32 v[188:189], v186 offset0:6 offset1:7
	v_or_b32_sdwa v63, v182, v63 dst_sel:WORD_1 dst_unused:UNUSED_PAD src0_sel:BYTE_0 src1_sel:DWORD
	v_or_b32_sdwa v182, v64, v63 dst_sel:DWORD dst_unused:UNUSED_PAD src0_sel:WORD_0 src1_sel:DWORD
	v_add_nc_u32_e32 v63, 0x1098, v200
	v_dot4c_i32_i8 v212, v182, v3
	ds_read2_b32 v[63:64], v63 offset1:1
	s_waitcnt lgkmcnt(1)
	v_ashrrev_i32_e32 v186, s0, v188
	v_ashrrev_i32_e32 v189, s0, v189
	v_lshlrev_b32_e32 v186, 2, v186
	v_lshlrev_b32_e32 v189, 2, v189
	v_and_b32_e32 v186, 0x4040404, v186
	v_and_b32_e32 v189, 0x4040404, v189
	s_waitcnt lgkmcnt(0)
	v_ashrrev_i32_e32 v63, s16, v63
	v_lshrrev_b32_e32 v193, 24, v186
	v_lshrrev_b16 v194, 8, v186
	v_lshrrev_b32_e32 v188, 16, v186
	v_and_b32_e32 v190, 0x3030303, v63
	v_bfe_u32 v63, v63, 24, 2
	v_lshrrev_b16 v192, 8, v190
	v_lshrrev_b32_e32 v191, 16, v190
	v_sub_nc_u16 v186, v190, v186
	v_sub_nc_u16 v63, v63, v193
	v_lshrrev_b16 v193, 8, v189
	v_sub_nc_u16 v190, v192, v194
	v_sub_nc_u16 v188, v191, v188
	v_lshrrev_b32_e32 v192, 24, v189
	v_lshrrev_b32_e32 v191, 16, v189
	v_lshlrev_b16 v63, 8, v63
	v_lshlrev_b16 v190, 8, v190
	v_or_b32_sdwa v63, v188, v63 dst_sel:WORD_1 dst_unused:UNUSED_PAD src0_sel:BYTE_0 src1_sel:DWORD
	v_or_b32_sdwa v186, v186, v190 dst_sel:DWORD dst_unused:UNUSED_PAD src0_sel:BYTE_0 src1_sel:DWORD
	v_or_b32_sdwa v186, v186, v63 dst_sel:DWORD dst_unused:UNUSED_PAD src0_sel:WORD_0 src1_sel:DWORD
	v_ashrrev_i32_e32 v63, s16, v64
	v_dot4c_i32_i8 v212, v186, v4
	v_and_b32_e32 v64, 0x3030303, v63
	v_bfe_u32 v63, v63, 24, 2
	v_lshrrev_b16 v190, 8, v64
	v_lshrrev_b32_e32 v188, 16, v64
	v_sub_nc_u16 v64, v64, v189
	v_sub_nc_u16 v63, v63, v192
	;; [unrolled: 1-line block ×4, first 2 shown]
	ds_read2_b32 v[190:191], v196 offset1:1
	v_lshlrev_b16 v63, 8, v63
	v_lshlrev_b16 v189, 8, v189
	v_or_b32_sdwa v63, v188, v63 dst_sel:WORD_1 dst_unused:UNUSED_PAD src0_sel:BYTE_0 src1_sel:DWORD
	v_or_b32_sdwa v64, v64, v189 dst_sel:DWORD dst_unused:UNUSED_PAD src0_sel:BYTE_0 src1_sel:DWORD
	v_or_b32_sdwa v189, v64, v63 dst_sel:DWORD dst_unused:UNUSED_PAD src0_sel:WORD_0 src1_sel:DWORD
	v_add3_u32 v63, s18, v160, v121
	v_dot4c_i32_i8 v212, v189, v5
	ds_read_b32 v188, v63
	v_add_nc_u32_e32 v63, 0x2100, v200
	s_waitcnt lgkmcnt(1)
	v_ashrrev_i32_e32 v190, s0, v190
	v_ashrrev_i32_e32 v191, s0, v191
	ds_read2_b32 v[63:64], v63 offset1:1
	v_lshlrev_b32_e32 v190, 2, v190
	v_lshlrev_b32_e32 v191, 2, v191
	v_and_b32_e32 v190, 0x4040404, v190
	v_and_b32_e32 v191, 0x4040404, v191
	v_lshrrev_b16 v198, 8, v190
	v_lshrrev_b32_e32 v195, 16, v190
	v_lshrrev_b32_e32 v197, 24, v190
	s_waitcnt lgkmcnt(0)
	v_ashrrev_i32_e32 v63, s16, v63
	v_and_b32_e32 v192, 0x3030303, v63
	v_bfe_u32 v63, v63, 24, 2
	v_lshrrev_b16 v194, 8, v192
	v_lshrrev_b32_e32 v193, 16, v192
	v_sub_nc_u16 v190, v192, v190
	v_sub_nc_u16 v63, v63, v197
	v_lshrrev_b16 v197, 8, v191
	v_sub_nc_u16 v192, v194, v198
	v_lshrrev_b32_e32 v194, 16, v191
	v_lshlrev_b16 v63, 8, v63
	v_lshlrev_b16 v192, 8, v192
	v_or_b32_sdwa v190, v190, v192 dst_sel:DWORD dst_unused:UNUSED_PAD src0_sel:BYTE_0 src1_sel:DWORD
	v_sub_nc_u16 v192, v193, v195
	v_lshrrev_b32_e32 v195, 24, v191
	v_or_b32_sdwa v63, v192, v63 dst_sel:WORD_1 dst_unused:UNUSED_PAD src0_sel:BYTE_0 src1_sel:DWORD
	v_or_b32_sdwa v190, v190, v63 dst_sel:DWORD dst_unused:UNUSED_PAD src0_sel:WORD_0 src1_sel:DWORD
	v_ashrrev_i32_e32 v63, s16, v64
	v_dot4c_i32_i8 v213, v190, v6
	v_and_b32_e32 v64, 0x3030303, v63
	v_bfe_u32 v63, v63, 24, 2
	v_lshrrev_b16 v193, 8, v64
	v_lshrrev_b32_e32 v192, 16, v64
	v_sub_nc_u16 v64, v64, v191
	v_sub_nc_u16 v63, v63, v195
	v_sub_nc_u16 v191, v193, v197
	v_lshlrev_b16 v63, 8, v63
	v_lshlrev_b16 v191, 8, v191
	v_or_b32_sdwa v64, v64, v191 dst_sel:DWORD dst_unused:UNUSED_PAD src0_sel:BYTE_0 src1_sel:DWORD
	v_sub_nc_u16 v191, v192, v194
	ds_read2_b32 v[192:193], v196 offset0:2 offset1:3
	v_or_b32_sdwa v63, v191, v63 dst_sel:WORD_1 dst_unused:UNUSED_PAD src0_sel:BYTE_0 src1_sel:DWORD
	v_or_b32_sdwa v191, v64, v63 dst_sel:DWORD dst_unused:UNUSED_PAD src0_sel:WORD_0 src1_sel:DWORD
	v_add_nc_u32_e32 v63, 0x2108, v200
	v_dot4c_i32_i8 v213, v191, v7
	ds_read2_b32 v[63:64], v63 offset1:1
	s_waitcnt lgkmcnt(1)
	v_ashrrev_i32_e32 v192, s0, v192
	v_ashrrev_i32_e32 v193, s0, v193
	v_lshlrev_b32_e32 v192, 2, v192
	v_lshlrev_b32_e32 v193, 2, v193
	v_and_b32_e32 v192, 0x4040404, v192
	v_and_b32_e32 v193, 0x4040404, v193
	s_waitcnt lgkmcnt(0)
	v_ashrrev_i32_e32 v63, s16, v63
	v_lshrrev_b16 v201, 8, v192
	v_lshrrev_b32_e32 v198, 16, v192
	v_lshrrev_b32_e32 v199, 24, v192
	v_and_b32_e32 v194, 0x3030303, v63
	v_bfe_u32 v63, v63, 24, 2
	v_lshrrev_b16 v197, 8, v194
	v_lshrrev_b32_e32 v195, 16, v194
	v_sub_nc_u16 v192, v194, v192
	v_sub_nc_u16 v63, v63, v199
	v_lshrrev_b16 v199, 8, v193
	v_sub_nc_u16 v194, v197, v201
	v_lshrrev_b32_e32 v197, 16, v193
	v_lshlrev_b16 v63, 8, v63
	v_lshlrev_b16 v194, 8, v194
	v_or_b32_sdwa v192, v192, v194 dst_sel:DWORD dst_unused:UNUSED_PAD src0_sel:BYTE_0 src1_sel:DWORD
	v_sub_nc_u16 v194, v195, v198
	v_lshrrev_b32_e32 v198, 24, v193
	v_or_b32_sdwa v63, v194, v63 dst_sel:WORD_1 dst_unused:UNUSED_PAD src0_sel:BYTE_0 src1_sel:DWORD
	v_or_b32_sdwa v192, v192, v63 dst_sel:DWORD dst_unused:UNUSED_PAD src0_sel:WORD_0 src1_sel:DWORD
	v_ashrrev_i32_e32 v63, s16, v64
	v_dot4c_i32_i8 v213, v192, v8
	v_and_b32_e32 v64, 0x3030303, v63
	v_bfe_u32 v63, v63, 24, 2
	v_lshrrev_b16 v195, 8, v64
	v_lshrrev_b32_e32 v194, 16, v64
	v_sub_nc_u16 v64, v64, v193
	v_sub_nc_u16 v63, v63, v198
	v_sub_nc_u16 v193, v195, v199
	v_lshlrev_b16 v63, 8, v63
	v_lshlrev_b16 v193, 8, v193
	v_or_b32_sdwa v64, v64, v193 dst_sel:DWORD dst_unused:UNUSED_PAD src0_sel:BYTE_0 src1_sel:DWORD
	v_sub_nc_u16 v193, v194, v197
	ds_read2_b32 v[194:195], v196 offset0:4 offset1:5
	v_or_b32_sdwa v63, v193, v63 dst_sel:WORD_1 dst_unused:UNUSED_PAD src0_sel:BYTE_0 src1_sel:DWORD
	v_or_b32_sdwa v193, v64, v63 dst_sel:DWORD dst_unused:UNUSED_PAD src0_sel:WORD_0 src1_sel:DWORD
	v_add_nc_u32_e32 v63, 0x2110, v200
	v_dot4c_i32_i8 v213, v193, v9
	ds_read2_b32 v[63:64], v63 offset1:1
	s_waitcnt lgkmcnt(1)
	v_ashrrev_i32_e32 v194, s0, v194
	v_ashrrev_i32_e32 v195, s0, v195
	v_lshlrev_b32_e32 v194, 2, v194
	v_lshlrev_b32_e32 v195, 2, v195
	v_and_b32_e32 v194, 0x4040404, v194
	v_and_b32_e32 v195, 0x4040404, v195
	s_waitcnt lgkmcnt(0)
	v_ashrrev_i32_e32 v63, s16, v63
	v_lshrrev_b16 v203, 8, v194
	v_lshrrev_b32_e32 v201, 16, v194
	v_lshrrev_b32_e32 v202, 24, v194
	v_and_b32_e32 v197, 0x3030303, v63
	v_bfe_u32 v63, v63, 24, 2
	v_lshrrev_b16 v199, 8, v197
	v_lshrrev_b32_e32 v198, 16, v197
	v_sub_nc_u16 v194, v197, v194
	v_sub_nc_u16 v63, v63, v202
	v_lshrrev_b16 v202, 8, v195
	v_sub_nc_u16 v197, v199, v203
	v_lshrrev_b32_e32 v199, 16, v195
	v_lshlrev_b16 v63, 8, v63
	v_lshlrev_b16 v197, 8, v197
	v_or_b32_sdwa v194, v194, v197 dst_sel:DWORD dst_unused:UNUSED_PAD src0_sel:BYTE_0 src1_sel:DWORD
	v_sub_nc_u16 v197, v198, v201
	v_lshrrev_b32_e32 v201, 24, v195
	v_or_b32_sdwa v63, v197, v63 dst_sel:WORD_1 dst_unused:UNUSED_PAD src0_sel:BYTE_0 src1_sel:DWORD
	v_or_b32_sdwa v194, v194, v63 dst_sel:DWORD dst_unused:UNUSED_PAD src0_sel:WORD_0 src1_sel:DWORD
	v_ashrrev_i32_e32 v63, s16, v64
	v_dot4c_i32_i8 v215, v194, v2
	v_and_b32_e32 v64, 0x3030303, v63
	v_bfe_u32 v63, v63, 24, 2
	v_lshrrev_b16 v198, 8, v64
	v_lshrrev_b32_e32 v197, 16, v64
	v_sub_nc_u16 v64, v64, v195
	v_sub_nc_u16 v63, v63, v201
	v_sub_nc_u16 v195, v198, v202
	v_lshlrev_b16 v63, 8, v63
	v_lshlrev_b16 v195, 8, v195
	v_or_b32_sdwa v64, v64, v195 dst_sel:DWORD dst_unused:UNUSED_PAD src0_sel:BYTE_0 src1_sel:DWORD
	v_sub_nc_u16 v195, v197, v199
	ds_read2_b32 v[196:197], v196 offset0:6 offset1:7
	v_or_b32_sdwa v63, v195, v63 dst_sel:WORD_1 dst_unused:UNUSED_PAD src0_sel:BYTE_0 src1_sel:DWORD
	v_or_b32_sdwa v195, v64, v63 dst_sel:DWORD dst_unused:UNUSED_PAD src0_sel:WORD_0 src1_sel:DWORD
	v_add_nc_u32_e32 v63, 0x2118, v200
	v_dot4c_i32_i8 v215, v195, v3
	ds_read2_b32 v[63:64], v63 offset1:1
	s_waitcnt lgkmcnt(1)
	v_ashrrev_i32_e32 v196, s0, v196
	v_ashrrev_i32_e32 v197, s0, v197
	v_lshlrev_b32_e32 v196, 2, v196
	v_lshlrev_b32_e32 v197, 2, v197
	v_and_b32_e32 v196, 0x4040404, v196
	v_and_b32_e32 v197, 0x4040404, v197
	s_waitcnt lgkmcnt(0)
	v_ashrrev_i32_e32 v63, s16, v63
	v_lshrrev_b16 v204, 8, v196
	v_lshrrev_b32_e32 v202, 16, v196
	v_lshrrev_b32_e32 v203, 24, v196
	v_and_b32_e32 v198, 0x3030303, v63
	v_bfe_u32 v63, v63, 24, 2
	v_lshrrev_b16 v201, 8, v198
	v_lshrrev_b32_e32 v199, 16, v198
	v_sub_nc_u16 v196, v198, v196
	v_sub_nc_u16 v63, v63, v203
	v_lshrrev_b16 v203, 8, v197
	v_sub_nc_u16 v198, v201, v204
	v_lshrrev_b32_e32 v201, 16, v197
	v_lshlrev_b16 v63, 8, v63
	v_lshlrev_b16 v198, 8, v198
	v_or_b32_sdwa v196, v196, v198 dst_sel:DWORD dst_unused:UNUSED_PAD src0_sel:BYTE_0 src1_sel:DWORD
	v_sub_nc_u16 v198, v199, v202
	v_lshrrev_b32_e32 v202, 24, v197
	v_or_b32_sdwa v63, v198, v63 dst_sel:WORD_1 dst_unused:UNUSED_PAD src0_sel:BYTE_0 src1_sel:DWORD
	v_or_b32_sdwa v196, v196, v63 dst_sel:DWORD dst_unused:UNUSED_PAD src0_sel:WORD_0 src1_sel:DWORD
	v_ashrrev_i32_e32 v63, s16, v64
	v_dot4c_i32_i8 v215, v196, v4
	v_and_b32_e32 v64, 0x3030303, v63
	v_bfe_u32 v63, v63, 24, 2
	v_lshrrev_b16 v199, 8, v64
	v_lshrrev_b32_e32 v198, 16, v64
	v_sub_nc_u16 v64, v64, v197
	v_sub_nc_u16 v63, v63, v202
	;; [unrolled: 1-line block ×3, first 2 shown]
	ds_read2_b32 v[203:204], v208 offset1:1
	v_lshlrev_b16 v63, 8, v63
	v_lshlrev_b16 v197, 8, v197
	v_or_b32_sdwa v64, v64, v197 dst_sel:DWORD dst_unused:UNUSED_PAD src0_sel:BYTE_0 src1_sel:DWORD
	v_sub_nc_u16 v197, v198, v201
	v_or_b32_sdwa v63, v197, v63 dst_sel:WORD_1 dst_unused:UNUSED_PAD src0_sel:BYTE_0 src1_sel:DWORD
	v_or_b32_sdwa v198, v64, v63 dst_sel:DWORD dst_unused:UNUSED_PAD src0_sel:WORD_0 src1_sel:DWORD
	v_add3_u32 v63, s18, v162, v123
	s_waitcnt lgkmcnt(0)
	v_ashrrev_i32_e32 v203, s0, v203
	v_dot4c_i32_i8 v215, v198, v5
	ds_read_b32 v197, v63
	v_add_nc_u32_e32 v63, 0x3180, v200
	v_lshlrev_b32_e32 v203, 2, v203
	ds_read2_b32 v[63:64], v63 offset1:1
	v_and_b32_e32 v203, 0x4040404, v203
	v_lshrrev_b32_e32 v216, 24, v203
	v_lshrrev_b16 v217, 8, v203
	v_lshrrev_b32_e32 v205, 16, v203
	s_waitcnt lgkmcnt(0)
	v_ashrrev_i32_e32 v199, s16, v63
	v_and_b32_e32 v201, 0x3030303, v199
	v_bfe_u32 v199, v199, 24, 2
	v_lshrrev_b16 v202, 8, v201
	v_lshrrev_b32_e32 v63, 16, v201
	v_sub_nc_u16 v199, v199, v216
	v_sub_nc_u16 v201, v201, v203
	v_ashrrev_i32_e32 v203, s0, v204
	v_sub_nc_u16 v202, v202, v217
	v_sub_nc_u16 v63, v63, v205
	v_lshlrev_b16 v199, 8, v199
	v_lshlrev_b32_e32 v203, 2, v203
	v_lshlrev_b16 v202, 8, v202
	v_or_b32_sdwa v63, v63, v199 dst_sel:WORD_1 dst_unused:UNUSED_PAD src0_sel:BYTE_0 src1_sel:DWORD
	v_and_b32_e32 v203, 0x4040404, v203
	v_or_b32_sdwa v201, v201, v202 dst_sel:DWORD dst_unused:UNUSED_PAD src0_sel:BYTE_0 src1_sel:DWORD
	v_lshrrev_b32_e32 v205, 24, v203
	v_or_b32_sdwa v202, v201, v63 dst_sel:DWORD dst_unused:UNUSED_PAD src0_sel:WORD_0 src1_sel:DWORD
	v_ashrrev_i32_e32 v63, s16, v64
	v_lshrrev_b16 v216, 8, v203
	v_lshrrev_b32_e32 v204, 16, v203
	v_and_b32_e32 v64, 0x3030303, v63
	v_bfe_u32 v63, v63, 24, 2
	v_lshrrev_b16 v201, 8, v64
	v_lshrrev_b32_e32 v199, 16, v64
	v_sub_nc_u16 v63, v63, v205
	v_sub_nc_u16 v64, v64, v203
	;; [unrolled: 1-line block ×4, first 2 shown]
	v_lshlrev_b16 v63, 8, v63
	ds_read2_b32 v[204:205], v208 offset0:2 offset1:3
	v_lshlrev_b16 v201, 8, v201
	v_or_b32_sdwa v63, v199, v63 dst_sel:WORD_1 dst_unused:UNUSED_PAD src0_sel:BYTE_0 src1_sel:DWORD
	v_or_b32_sdwa v64, v64, v201 dst_sel:DWORD dst_unused:UNUSED_PAD src0_sel:BYTE_0 src1_sel:DWORD
	v_or_b32_sdwa v203, v64, v63 dst_sel:DWORD dst_unused:UNUSED_PAD src0_sel:WORD_0 src1_sel:DWORD
	v_add_nc_u32_e32 v63, 0x3188, v200
	ds_read2_b32 v[63:64], v63 offset1:1
	s_waitcnt lgkmcnt(1)
	v_ashrrev_i32_e32 v204, s0, v204
	v_ashrrev_i32_e32 v205, s0, v205
	v_lshlrev_b32_e32 v204, 2, v204
	v_lshlrev_b32_e32 v205, 2, v205
	v_and_b32_e32 v204, 0x4040404, v204
	v_and_b32_e32 v205, 0x4040404, v205
	v_lshrrev_b32_e32 v218, 24, v204
	v_lshrrev_b16 v219, 8, v204
	v_lshrrev_b32_e32 v217, 16, v204
	s_waitcnt lgkmcnt(0)
	v_ashrrev_i32_e32 v63, s16, v63
	v_and_b32_e32 v199, 0x3030303, v63
	v_bfe_u32 v63, v63, 24, 2
	v_lshrrev_b16 v216, 8, v199
	v_lshrrev_b32_e32 v201, 16, v199
	v_sub_nc_u16 v199, v199, v204
	v_sub_nc_u16 v63, v63, v218
	v_lshrrev_b16 v218, 8, v205
	v_sub_nc_u16 v204, v216, v219
	v_sub_nc_u16 v201, v201, v217
	v_lshrrev_b32_e32 v217, 24, v205
	v_lshrrev_b32_e32 v216, 16, v205
	v_lshlrev_b16 v63, 8, v63
	v_lshlrev_b16 v204, 8, v204
	v_or_b32_sdwa v63, v201, v63 dst_sel:WORD_1 dst_unused:UNUSED_PAD src0_sel:BYTE_0 src1_sel:DWORD
	v_or_b32_sdwa v199, v199, v204 dst_sel:DWORD dst_unused:UNUSED_PAD src0_sel:BYTE_0 src1_sel:DWORD
	v_or_b32_sdwa v204, v199, v63 dst_sel:DWORD dst_unused:UNUSED_PAD src0_sel:WORD_0 src1_sel:DWORD
	v_ashrrev_i32_e32 v63, s16, v64
	v_and_b32_e32 v64, 0x3030303, v63
	v_bfe_u32 v63, v63, 24, 2
	v_lshrrev_b16 v201, 8, v64
	v_lshrrev_b32_e32 v199, 16, v64
	v_sub_nc_u16 v63, v63, v217
	v_sub_nc_u16 v64, v64, v205
	;; [unrolled: 1-line block ×4, first 2 shown]
	v_lshlrev_b16 v63, 8, v63
	ds_read2_b32 v[218:219], v208 offset0:4 offset1:5
	v_lshlrev_b16 v201, 8, v201
	v_or_b32_sdwa v63, v199, v63 dst_sel:WORD_1 dst_unused:UNUSED_PAD src0_sel:BYTE_0 src1_sel:DWORD
	v_or_b32_sdwa v64, v64, v201 dst_sel:DWORD dst_unused:UNUSED_PAD src0_sel:BYTE_0 src1_sel:DWORD
	v_or_b32_sdwa v205, v64, v63 dst_sel:DWORD dst_unused:UNUSED_PAD src0_sel:WORD_0 src1_sel:DWORD
	v_add_nc_u32_e32 v63, 0x3190, v200
	ds_read2_b32 v[216:217], v63 offset1:1
	s_waitcnt lgkmcnt(0)
	v_ashrrev_i32_e32 v63, s16, v216
	v_ashrrev_i32_e32 v216, s0, v218
	v_and_b32_e32 v64, 0x3030303, v63
	v_lshlrev_b32_e32 v216, 2, v216
	v_bfe_u32 v63, v63, 24, 2
	v_lshrrev_b16 v201, 8, v64
	v_and_b32_e32 v216, 0x4040404, v216
	v_lshrrev_b32_e32 v199, 16, v64
	v_lshrrev_b32_e32 v220, 24, v216
	v_lshrrev_b16 v221, 8, v216
	v_lshrrev_b32_e32 v218, 16, v216
	v_sub_nc_u16 v64, v64, v216
	v_sub_nc_u16 v63, v63, v220
	v_sub_nc_u16 v201, v201, v221
	v_sub_nc_u16 v199, v199, v218
	v_lshlrev_b16 v63, 8, v63
	v_lshlrev_b16 v201, 8, v201
	v_or_b32_sdwa v63, v199, v63 dst_sel:WORD_1 dst_unused:UNUSED_PAD src0_sel:BYTE_0 src1_sel:DWORD
	v_or_b32_sdwa v64, v64, v201 dst_sel:DWORD dst_unused:UNUSED_PAD src0_sel:BYTE_0 src1_sel:DWORD
	v_or_b32_sdwa v64, v64, v63 dst_sel:DWORD dst_unused:UNUSED_PAD src0_sel:WORD_0 src1_sel:DWORD
	v_ashrrev_i32_e32 v63, s16, v217
	v_ashrrev_i32_e32 v217, s0, v219
	v_and_b32_e32 v199, 0x3030303, v63
	v_lshlrev_b32_e32 v217, 2, v217
	v_bfe_u32 v63, v63, 24, 2
	v_lshrrev_b16 v216, 8, v199
	v_and_b32_e32 v217, 0x4040404, v217
	v_lshrrev_b32_e32 v201, 16, v199
	v_lshrrev_b32_e32 v219, 24, v217
	v_lshrrev_b16 v220, 8, v217
	v_lshrrev_b32_e32 v218, 16, v217
	v_sub_nc_u16 v199, v199, v217
	v_sub_nc_u16 v63, v63, v219
	v_sub_nc_u16 v216, v216, v220
	v_sub_nc_u16 v201, v201, v218
	v_lshlrev_b16 v63, 8, v63
	v_lshlrev_b16 v216, 8, v216
	v_or_b32_sdwa v63, v201, v63 dst_sel:WORD_1 dst_unused:UNUSED_PAD src0_sel:BYTE_0 src1_sel:DWORD
	v_or_b32_sdwa v199, v199, v216 dst_sel:DWORD dst_unused:UNUSED_PAD src0_sel:BYTE_0 src1_sel:DWORD
	ds_read2_b32 v[216:217], v208 offset0:6 offset1:7
	v_or_b32_sdwa v199, v199, v63 dst_sel:DWORD dst_unused:UNUSED_PAD src0_sel:WORD_0 src1_sel:DWORD
	v_add_nc_u32_e32 v63, 0x3198, v200
	ds_read2_b32 v[200:201], v63 offset1:1
	s_waitcnt lgkmcnt(1)
	v_ashrrev_i32_e32 v208, s0, v216
	v_ashrrev_i32_e32 v217, s0, v217
	v_lshlrev_b32_e32 v208, 2, v208
	v_lshlrev_b32_e32 v217, 2, v217
	s_waitcnt lgkmcnt(0)
	v_ashrrev_i32_e32 v63, s16, v200
	v_and_b32_e32 v208, 0x4040404, v208
	v_and_b32_e32 v217, 0x4040404, v217
	v_and_b32_e32 v200, 0x3030303, v63
	v_lshrrev_b16 v221, 8, v208
	v_bfe_u32 v63, v63, 24, 2
	v_lshrrev_b32_e32 v216, 16, v208
	v_lshrrev_b32_e32 v220, 24, v208
	v_lshrrev_b16 v219, 8, v200
	v_lshrrev_b32_e32 v218, 16, v200
	v_sub_nc_u16 v200, v200, v208
	v_sub_nc_u16 v63, v63, v220
	;; [unrolled: 1-line block ×3, first 2 shown]
	v_lshrrev_b16 v220, 8, v217
	v_lshrrev_b32_e32 v219, 24, v217
	v_lshlrev_b16 v63, 8, v63
	v_lshlrev_b16 v208, 8, v208
	v_or_b32_sdwa v200, v200, v208 dst_sel:DWORD dst_unused:UNUSED_PAD src0_sel:BYTE_0 src1_sel:DWORD
	v_sub_nc_u16 v208, v218, v216
	v_lshrrev_b32_e32 v218, 16, v217
	v_or_b32_sdwa v63, v208, v63 dst_sel:WORD_1 dst_unused:UNUSED_PAD src0_sel:BYTE_0 src1_sel:DWORD
	v_or_b32_sdwa v200, v200, v63 dst_sel:DWORD dst_unused:UNUSED_PAD src0_sel:WORD_0 src1_sel:DWORD
	v_ashrrev_i32_e32 v63, s16, v201
	v_and_b32_e32 v201, 0x3030303, v63
	v_bfe_u32 v63, v63, 24, 2
	v_lshrrev_b16 v216, 8, v201
	v_lshrrev_b32_e32 v208, 16, v201
	v_sub_nc_u16 v201, v201, v217
	v_sub_nc_u16 v63, v63, v219
	v_mov_b32_e32 v219, 0
	v_sub_nc_u16 v216, v216, v220
	v_sub_nc_u16 v208, v208, v218
	v_mov_b32_e32 v218, 0
	v_lshlrev_b16 v63, 8, v63
	v_mov_b32_e32 v220, 0
	v_lshlrev_b16 v216, 8, v216
	v_add_nc_u32_e32 v217, s17, v132
	v_dot4c_i32_i8 v218, v64, v2
	v_or_b32_sdwa v63, v208, v63 dst_sel:WORD_1 dst_unused:UNUSED_PAD src0_sel:BYTE_0 src1_sel:DWORD
	s_mov_b32 s17, s11
	v_or_b32_sdwa v201, v201, v216 dst_sel:DWORD dst_unused:UNUSED_PAD src0_sel:BYTE_0 src1_sel:DWORD
	v_mov_b32_e32 v216, 0
	v_dot4c_i32_i8 v218, v199, v3
	v_or_b32_sdwa v201, v201, v63 dst_sel:DWORD dst_unused:UNUSED_PAD src0_sel:WORD_0 src1_sel:DWORD
	v_dot4c_i32_i8 v216, v202, v6
	v_add3_u32 v63, s18, v164, v125
	v_dot4c_i32_i8 v218, v200, v4
	v_dot4c_i32_i8 v216, v203, v7
	ds_read_b32 v63, v63
	v_dot4c_i32_i8 v218, v201, v5
	v_dot4c_i32_i8 v216, v204, v8
	;; [unrolled: 1-line block ×3, first 2 shown]
	ds_read_b128 v[6:9], v170 offset:1024
	ds_read_b128 v[2:5], v170 offset:1040
	ds_read_u16 v207, v207 offset:33538
	s_waitcnt lgkmcnt(2)
	v_dot4c_i32_i8 v219, v172, v6
	s_waitcnt lgkmcnt(1)
	v_dot4c_i32_i8 v220, v176, v2
	s_waitcnt lgkmcnt(0)
	v_lshrrev_b16 v208, 8, v207
	v_bfe_i32 v207, v207, 0, 8
	v_dot4c_i32_i8 v219, v173, v7
	v_dot4c_i32_i8 v220, v177, v3
	v_bfe_i32 v208, v208, 0, 8
	v_dot4c_i32_i8 v219, v174, v8
	v_dot4c_i32_i8 v220, v178, v4
	v_mul_lo_u32 v209, v209, v208
	v_dot4c_i32_i8 v219, v175, v9
	v_dot4c_i32_i8 v220, v180, v5
	v_mul_lo_u32 v219, v219, v207
	v_mad_u64_u32 v[219:220], null, v220, v208, v[219:220]
	v_mad_u64_u32 v[220:221], null, v206, v207, v[209:210]
	v_mul_f32_e32 v206, v179, v61
	v_mul_f32_e32 v209, v179, v62
	v_mov_b32_e32 v221, 0
	v_cvt_f32_i32_e32 v219, v219
	v_cvt_f32_i32_e32 v220, v220
	v_fma_f32 v11, v209, v219, v11
	v_mov_b32_e32 v219, 0
	v_fmac_f32_e32 v10, v206, v220
	ds_read_u16 v206, v211 offset:34562
	v_mov_b32_e32 v220, 0
	v_dot4c_i32_i8 v219, v183, v6
	v_dot4c_i32_i8 v220, v181, v2
	;; [unrolled: 1-line block ×7, first 2 shown]
	s_waitcnt lgkmcnt(0)
	v_lshrrev_b16 v209, 8, v206
	v_bfe_i32 v206, v206, 0, 8
	v_dot4c_i32_i8 v220, v189, v5
	v_bfe_i32 v209, v209, 0, 8
	v_mul_lo_u32 v211, v212, v209
	v_mul_lo_u32 v212, v219, v206
	v_mad_u64_u32 v[219:220], null, v220, v209, v[212:213]
                                        ; kill: def $vgpr212 killed $sgpr0 killed $exec
	v_mad_u64_u32 v[210:211], null, v210, v206, v[211:212]
	v_mul_f32_e32 v211, v188, v61
	v_mul_f32_e32 v212, v188, v62
	v_mov_b32_e32 v220, 0
	v_cvt_f32_i32_e32 v219, v219
	v_cvt_f32_i32_e32 v210, v210
	v_dot4c_i32_i8 v220, v194, v2
	v_fma_f32 v56, v212, v219, v56
	v_mov_b32_e32 v219, 0
	v_fmac_f32_e32 v55, v211, v210
	ds_read_u16 v210, v214 offset:35586
	v_dot4c_i32_i8 v220, v195, v3
	v_dot4c_i32_i8 v219, v190, v6
	v_dot4c_i32_i8 v220, v196, v4
	v_dot4c_i32_i8 v219, v191, v7
	v_dot4c_i32_i8 v220, v198, v5
	v_dot4c_i32_i8 v219, v192, v8
	v_dot4c_i32_i8 v219, v193, v9
	s_waitcnt lgkmcnt(0)
	v_lshrrev_b16 v211, 8, v210
	v_bfe_i32 v210, v210, 0, 8
	v_bfe_i32 v211, v211, 0, 8
	v_mul_lo_u32 v214, v219, v210
	v_mov_b32_e32 v219, 0
	v_mul_lo_u32 v212, v215, v211
                                        ; kill: def $vgpr215 killed $sgpr0 killed $exec
	v_mad_u64_u32 v[214:215], null, v220, v211, v[214:215]
	v_mul_f32_e32 v215, v197, v62
	v_mov_b32_e32 v220, 0
	v_mad_u64_u32 v[212:213], null, v213, v210, v[212:213]
	v_mul_f32_e32 v213, v197, v61
	v_cvt_f32_i32_e32 v214, v214
	v_cvt_f32_i32_e32 v212, v212
	v_fma_f32 v58, v215, v214, v58
	v_fmac_f32_e32 v57, v213, v212
	v_mov_b32_e32 v212, 0
	v_dot4c_i32_i8 v212, v202, v6
	v_mov_b32_e32 v6, 0
	v_dot4c_i32_i8 v212, v203, v7
	v_dot4c_i32_i8 v6, v64, v2
	ds_read_u16 v2, v217 offset:36610
	v_mov_b32_e32 v217, 0
	v_dot4c_i32_i8 v212, v204, v8
	v_dot4c_i32_i8 v6, v199, v3
	;; [unrolled: 1-line block ×4, first 2 shown]
                                        ; kill: def $vgpr4 killed $sgpr0 killed $exec
	v_dot4c_i32_i8 v6, v201, v5
	s_waitcnt lgkmcnt(0)
	v_lshrrev_b16 v3, 8, v2
	v_bfe_i32 v8, v2, 0, 8
	v_bfe_i32 v9, v3, 0, 8
	v_mul_lo_u32 v3, v212, v8
	v_mul_lo_u32 v2, v218, v9
	v_mov_b32_e32 v218, 0
	v_mad_u64_u32 v[3:4], null, v6, v9, v[3:4]
	v_mad_u64_u32 v[4:5], null, v216, v8, v[2:3]
	v_mul_f32_e32 v2, v63, v61
	v_mul_f32_e32 v5, v63, v62
	v_cvt_f32_i32_e32 v3, v3
	v_mov_b32_e32 v61, 0
	v_mov_b32_e32 v62, 0
	;; [unrolled: 1-line block ×3, first 2 shown]
	v_cvt_f32_i32_e32 v4, v4
	v_fma_f32 v60, v5, v3, v60
	v_fmac_f32_e32 v59, v2, v4
	ds_read2_b32 v[6:7], v171 offset0:64 offset1:96
	ds_read_b128 v[212:215], v170 offset:2048
	ds_read_b128 v[2:5], v170 offset:2064
	s_waitcnt lgkmcnt(1)
	v_dot4c_i32_i8 v61, v172, v212
	s_waitcnt lgkmcnt(0)
	v_dot4c_i32_i8 v62, v176, v2
	v_dot4c_i32_i8 v218, v183, v212
	;; [unrolled: 1-line block ×31, first 2 shown]
	ds_read_b128 v[2:5], v170 offset:3072
	ds_read_b128 v[212:215], v170 offset:3088
	v_mul_lo_u32 v62, v62, v208
	v_mad_u64_u32 v[61:62], null, v61, v207, v[62:63]
	v_mul_f32_e32 v62, v179, v6
	v_cvt_f32_i32_e32 v61, v61
	s_waitcnt lgkmcnt(1)
	v_dot4c_i32_i8 v216, v172, v2
	s_waitcnt lgkmcnt(0)
	v_dot4c_i32_i8 v217, v176, v212
	v_fmac_f32_e32 v51, v62, v61
	v_mov_b32_e32 v62, 0
	v_dot4c_i32_i8 v216, v173, v3
	v_dot4c_i32_i8 v217, v177, v213
	v_mul_lo_u32 v61, v219, v209
	v_mov_b32_e32 v219, 0
	v_dot4c_i32_i8 v62, v183, v2
	v_dot4c_i32_i8 v216, v174, v4
	;; [unrolled: 1-line block ×7, first 2 shown]
	v_mul_lo_u32 v216, v216, v207
	v_dot4c_i32_i8 v62, v187, v5
	v_mad_u64_u32 v[216:217], null, v217, v208, v[216:217]
	v_mul_f32_e32 v217, v179, v7
	v_mul_lo_u32 v62, v62, v206
	v_cvt_f32_i32_e32 v216, v216
	v_fma_f32 v52, v217, v216, v52
	v_mov_b32_e32 v216, 0
	v_dot4c_i32_i8 v216, v181, v212
	v_dot4c_i32_i8 v216, v182, v213
	;; [unrolled: 1-line block ×4, first 2 shown]
	v_mad_u64_u32 v[216:217], null, v216, v209, v[62:63]
                                        ; kill: def $vgpr62 killed $sgpr0 killed $exec
	v_mul_f32_e32 v217, v188, v7
	v_mad_u64_u32 v[61:62], null, v218, v206, v[61:62]
	v_mul_f32_e32 v62, v188, v6
	v_mov_b32_e32 v218, 0
	v_cvt_f32_i32_e32 v216, v216
	v_cvt_f32_i32_e32 v61, v61
	v_fma_f32 v54, v217, v216, v54
	v_mov_b32_e32 v216, 0
	v_fmac_f32_e32 v53, v62, v61
	v_mov_b32_e32 v62, 0
	v_mul_lo_u32 v61, v221, v211
	v_dot4c_i32_i8 v216, v194, v212
	v_mov_b32_e32 v221, 0
	v_dot4c_i32_i8 v62, v190, v2
	v_dot4c_i32_i8 v216, v195, v213
	;; [unrolled: 1-line block ×7, first 2 shown]
	v_mul_lo_u32 v62, v62, v210
	v_mad_u64_u32 v[216:217], null, v216, v211, v[62:63]
                                        ; kill: def $vgpr62 killed $sgpr0 killed $exec
	v_mul_f32_e32 v217, v197, v7
	v_mad_u64_u32 v[61:62], null, v220, v210, v[61:62]
	v_mul_f32_e32 v62, v197, v6
	v_mov_b32_e32 v220, 0
	v_cvt_f32_i32_e32 v216, v216
	v_cvt_f32_i32_e32 v61, v61
	v_fma_f32 v48, v217, v216, v48
	v_mov_b32_e32 v216, 0
	v_fmac_f32_e32 v47, v62, v61
	v_mov_b32_e32 v61, 0
	v_mov_b32_e32 v62, 0
	v_dot4c_i32_i8 v61, v202, v2
	v_mul_lo_u32 v2, v223, v9
	v_mov_b32_e32 v223, 0
	v_dot4c_i32_i8 v61, v203, v3
	v_dot4c_i32_i8 v61, v204, v4
	v_mov_b32_e32 v4, 0
	v_dot4c_i32_i8 v61, v205, v5
	v_dot4c_i32_i8 v4, v64, v212
	v_mul_lo_u32 v3, v61, v8
	v_dot4c_i32_i8 v4, v199, v213
	v_mov_b32_e32 v61, 0
	v_dot4c_i32_i8 v4, v200, v214
	v_dot4c_i32_i8 v4, v201, v215
	v_mad_u64_u32 v[3:4], null, v4, v9, v[3:4]
	v_mad_u64_u32 v[4:5], null, v222, v8, v[2:3]
	v_mul_f32_e32 v2, v63, v6
	v_mul_f32_e32 v5, v63, v7
	v_cvt_f32_i32_e32 v3, v3
	v_mov_b32_e32 v222, 0
	v_cvt_f32_i32_e32 v4, v4
	v_fma_f32 v50, v5, v3, v50
	v_fmac_f32_e32 v49, v2, v4
	ds_read2_b32 v[2:3], v171 offset0:128 offset1:160
	ds_read_b128 v[4:7], v170 offset:4096
	ds_read_b128 v[212:215], v170 offset:4112
	s_waitcnt lgkmcnt(1)
	v_dot4c_i32_i8 v218, v172, v4
	s_waitcnt lgkmcnt(0)
	v_dot4c_i32_i8 v61, v176, v212
	v_dot4c_i32_i8 v219, v183, v4
	;; [unrolled: 1-line block ×31, first 2 shown]
	ds_read_b128 v[4:7], v170 offset:5120
	ds_read_b128 v[212:215], v170 offset:5136
	v_mul_lo_u32 v61, v61, v208
	s_waitcnt lgkmcnt(1)
	v_dot4c_i32_i8 v62, v172, v4
	s_waitcnt lgkmcnt(0)
	v_dot4c_i32_i8 v216, v176, v212
	v_dot4c_i32_i8 v62, v173, v5
	;; [unrolled: 1-line block ×7, first 2 shown]
	v_mul_lo_u32 v62, v62, v207
	v_mad_u64_u32 v[216:217], null, v216, v208, v[62:63]
                                        ; kill: def $vgpr62 killed $sgpr0 killed $exec
	v_mul_f32_e32 v217, v179, v3
	v_mad_u64_u32 v[61:62], null, v218, v207, v[61:62]
	v_mul_f32_e32 v62, v179, v2
	v_mov_b32_e32 v218, 0
	v_cvt_f32_i32_e32 v216, v216
	v_cvt_f32_i32_e32 v61, v61
	v_fma_f32 v42, v217, v216, v42
	v_mov_b32_e32 v216, 0
	v_fmac_f32_e32 v41, v62, v61
	v_mov_b32_e32 v62, 0
	v_mul_lo_u32 v61, v220, v209
	v_dot4c_i32_i8 v216, v181, v212
	v_mov_b32_e32 v220, 0
	v_dot4c_i32_i8 v62, v183, v4
	v_dot4c_i32_i8 v216, v182, v213
	;; [unrolled: 1-line block ×7, first 2 shown]
	v_mul_lo_u32 v62, v62, v206
	v_mad_u64_u32 v[216:217], null, v216, v209, v[62:63]
                                        ; kill: def $vgpr62 killed $sgpr0 killed $exec
	v_mul_f32_e32 v217, v188, v3
	v_mad_u64_u32 v[61:62], null, v219, v206, v[61:62]
	v_mul_f32_e32 v62, v188, v2
	v_mov_b32_e32 v219, 0
	v_cvt_f32_i32_e32 v216, v216
	v_cvt_f32_i32_e32 v61, v61
	v_fma_f32 v44, v217, v216, v44
	v_mov_b32_e32 v216, 0
	v_fmac_f32_e32 v43, v62, v61
	v_mov_b32_e32 v62, 0
	v_mul_lo_u32 v61, v222, v211
	v_dot4c_i32_i8 v216, v194, v212
	v_mov_b32_e32 v222, 0
	v_dot4c_i32_i8 v62, v190, v4
	v_dot4c_i32_i8 v216, v195, v213
	;; [unrolled: 1-line block ×7, first 2 shown]
	v_mul_lo_u32 v62, v62, v210
	v_mad_u64_u32 v[216:217], null, v216, v211, v[62:63]
                                        ; kill: def $vgpr62 killed $sgpr0 killed $exec
	v_mul_f32_e32 v217, v197, v3
	v_mad_u64_u32 v[61:62], null, v221, v210, v[61:62]
	v_mul_f32_e32 v62, v197, v2
	v_mul_f32_e32 v2, v63, v2
	;; [unrolled: 1-line block ×3, first 2 shown]
	v_cvt_f32_i32_e32 v216, v216
	v_mov_b32_e32 v221, 0
	v_cvt_f32_i32_e32 v61, v61
	v_fma_f32 v46, v217, v216, v46
	v_mov_b32_e32 v216, 0
	v_mov_b32_e32 v217, 0
	v_fmac_f32_e32 v45, v62, v61
	v_mov_b32_e32 v61, 0
	v_mov_b32_e32 v62, 0
	v_dot4c_i32_i8 v61, v202, v4
	v_mul_lo_u32 v4, v224, v9
	v_dot4c_i32_i8 v61, v203, v5
	v_dot4c_i32_i8 v61, v204, v6
	v_mov_b32_e32 v6, 0
	v_dot4c_i32_i8 v61, v205, v7
	v_dot4c_i32_i8 v6, v64, v212
	v_mul_lo_u32 v5, v61, v8
	v_dot4c_i32_i8 v6, v199, v213
	v_mov_b32_e32 v61, 0
	v_dot4c_i32_i8 v6, v200, v214
	v_dot4c_i32_i8 v6, v201, v215
	v_mad_u64_u32 v[5:6], null, v6, v9, v[5:6]
	v_mad_u64_u32 v[6:7], null, v223, v8, v[4:5]
	v_cvt_f32_i32_e32 v5, v5
	v_fma_f32 v40, v3, v5, v40
	v_cvt_f32_i32_e32 v4, v6
	v_fmac_f32_e32 v39, v2, v4
	ds_read2_b32 v[6:7], v171 offset0:192 offset1:224
	ds_read_b128 v[2:5], v170 offset:6144
	ds_read_b128 v[212:215], v170 offset:6160
	v_add_nc_u32_e32 v171, 4, v171
	s_waitcnt lgkmcnt(1)
	v_dot4c_i32_i8 v216, v172, v2
	s_waitcnt lgkmcnt(0)
	v_dot4c_i32_i8 v217, v176, v212
	v_dot4c_i32_i8 v218, v183, v2
	;; [unrolled: 1-line block ×31, first 2 shown]
	ds_read_b128 v[212:215], v170 offset:7168
	ds_read_b128 v[2:5], v170 offset:7184
	v_add_nc_u32_e32 v170, 32, v170
	s_waitcnt lgkmcnt(1)
	v_dot4c_i32_i8 v222, v172, v212
	v_mul_lo_u32 v172, v217, v208
	v_dot4c_i32_i8 v222, v173, v213
	v_dot4c_i32_i8 v222, v174, v214
	v_mov_b32_e32 v174, 0
	v_dot4c_i32_i8 v222, v175, v215
	s_waitcnt lgkmcnt(0)
	v_dot4c_i32_i8 v174, v176, v2
	v_mul_lo_u32 v173, v222, v207
	v_dot4c_i32_i8 v174, v177, v3
	v_dot4c_i32_i8 v174, v178, v4
	;; [unrolled: 1-line block ×3, first 2 shown]
	v_mad_u64_u32 v[173:174], null, v174, v208, v[173:174]
	v_mad_u64_u32 v[174:175], null, v216, v207, v[172:173]
	v_mul_f32_e32 v175, v179, v7
	v_cvt_f32_i32_e32 v173, v173
	v_mul_f32_e32 v172, v179, v6
	v_fma_f32 v30, v175, v173, v30
	v_mov_b32_e32 v173, 0
	v_cvt_f32_i32_e32 v174, v174
	v_dot4c_i32_i8 v173, v183, v212
	v_fmac_f32_e32 v29, v172, v174
	v_mov_b32_e32 v174, 0
	v_mul_lo_u32 v172, v219, v209
	v_dot4c_i32_i8 v173, v184, v213
	v_dot4c_i32_i8 v174, v181, v2
	;; [unrolled: 1-line block ×6, first 2 shown]
	v_mul_lo_u32 v173, v173, v206
	v_dot4c_i32_i8 v174, v189, v5
	v_mad_u64_u32 v[173:174], null, v174, v209, v[173:174]
	v_mad_u64_u32 v[174:175], null, v218, v206, v[172:173]
	v_mul_f32_e32 v175, v188, v7
	v_cvt_f32_i32_e32 v173, v173
	v_mul_f32_e32 v172, v188, v6
	v_fma_f32 v32, v175, v173, v32
	v_mov_b32_e32 v173, 0
	v_cvt_f32_i32_e32 v174, v174
	v_dot4c_i32_i8 v173, v190, v212
	v_fmac_f32_e32 v31, v172, v174
	v_mov_b32_e32 v174, 0
	v_mul_lo_u32 v172, v221, v211
	v_dot4c_i32_i8 v173, v191, v213
	v_dot4c_i32_i8 v174, v194, v2
	;; [unrolled: 1-line block ×6, first 2 shown]
	v_mul_lo_u32 v173, v173, v210
	v_dot4c_i32_i8 v174, v198, v5
	v_mad_u64_u32 v[173:174], null, v174, v211, v[173:174]
	v_mad_u64_u32 v[174:175], null, v220, v210, v[172:173]
	v_mul_f32_e32 v172, v197, v6
	v_mul_f32_e32 v175, v197, v7
	v_cvt_f32_i32_e32 v173, v173
	v_cvt_f32_i32_e32 v174, v174
	v_fma_f32 v34, v175, v173, v34
	v_mov_b32_e32 v173, 0
	v_fmac_f32_e32 v33, v172, v174
	v_mov_b32_e32 v172, 0
	v_dot4c_i32_i8 v173, v64, v2
	v_dot4c_i32_i8 v172, v202, v212
	;; [unrolled: 1-line block ×3, first 2 shown]
                                        ; kill: def $vgpr3 killed $sgpr0 killed $exec
	s_add_i32 s0, s0, 1
	s_cmp_lt_u32 s11, 14
	v_dot4c_i32_i8 v172, v203, v213
	v_dot4c_i32_i8 v173, v200, v4
	v_mul_lo_u32 v4, v62, v9
	v_dot4c_i32_i8 v172, v204, v214
	v_dot4c_i32_i8 v173, v201, v5
	;; [unrolled: 1-line block ×3, first 2 shown]
	v_mul_lo_u32 v2, v172, v8
	v_mad_u64_u32 v[2:3], null, v173, v9, v[2:3]
	v_mad_u64_u32 v[3:4], null, v61, v8, v[4:5]
	v_mul_f32_e32 v4, v63, v6
	v_mul_f32_e32 v5, v63, v7
	v_cvt_f32_i32_e32 v2, v2
	v_cvt_f32_i32_e32 v3, v3
	v_fma_f32 v36, v5, v2, v36
	v_fmac_f32_e32 v35, v4, v3
	s_cbranch_scc1 .LBB150_9
; %bb.10:                               ;   in Loop: Header=BB150_6 Depth=1
	s_or_b32 s0, s15, 1
	s_cmp_ge_i32 s0, s4
	s_barrier
	buffer_gl0_inv
	s_cbranch_scc1 .LBB150_5
; %bb.11:                               ;   in Loop: Header=BB150_6 Depth=1
	v_add_nc_u32_e32 v170, s9, v127
	v_add_nc_u32_e32 v63, 8, v168
	s_mov_b32 s0, 16
	s_mov_b32 s17, 14
	;; [unrolled: 1-line block ×3, first 2 shown]
	v_add_nc_u32_e32 v2, v170, v109
	v_add_nc_u32_e32 v4, v170, v111
	;; [unrolled: 1-line block ×5, first 2 shown]
	v_mad_u64_u32 v[63:64], null, v63, 36, s[2:3]
	v_mad_i64_i32 v[2:3], null, v2, 36, v[37:38]
	v_add_nc_u32_e32 v171, v170, v115
	v_mad_i64_i32 v[4:5], null, v4, 36, v[37:38]
	v_add_nc_u32_e32 v172, v170, v116
	;; [unrolled: 2-line block ×3, first 2 shown]
	v_mad_i64_i32 v[8:9], null, v8, 36, v[37:38]
	v_mad_i64_i32 v[61:62], null, v61, 36, v[37:38]
	;; [unrolled: 1-line block ×5, first 2 shown]
	s_clause 0x8
	global_load_dword v63, v[63:64], off
	global_load_dword v2, v[2:3], off offset:4
	global_load_dword v3, v[4:5], off offset:4
	;; [unrolled: 1-line block ×8, first 2 shown]
	v_mov_b32_e32 v170, v138
	v_mov_b32_e32 v171, v137
	s_waitcnt vmcnt(8)
	v_cvt_f32_f16_e32 v61, v63
	s_waitcnt vmcnt(7)
	ds_write_b32 v169, v2
	s_waitcnt vmcnt(6)
	ds_write_b32 v152, v3
	;; [unrolled: 2-line block ×8, first 2 shown]
	ds_write_b32 v108, v61
	s_waitcnt lgkmcnt(0)
	s_barrier
	buffer_gl0_inv
.LBB150_12:                             ;   Parent Loop BB150_6 Depth=1
                                        ; =>  This Inner Loop Header: Depth=2
	s_add_i32 s11, s17, 2
	ds_read2_b32 v[61:62], v171 offset1:32
	ds_read_b128 v[6:9], v170
	ds_read_b128 v[2:5], v170 offset:16
	s_lshr_b32 s18, s11, 4
	s_and_b32 s19, s11, 0x3ffffff8
	s_add_i32 s16, s17, -14
	v_lshl_add_u32 v200, s19, 2, v118
	s_lshl_b32 s19, s18, 5
	s_lshl_b32 s18, s18, 2
	s_addk_i32 s19, 0x4200
	s_add_i32 s18, s18, 0x9380
	v_add3_u32 v178, s19, v165, v119
	ds_read2_b32 v[63:64], v200 offset1:1
	v_add3_u32 v186, s19, v159, v120
	v_add3_u32 v196, s19, v161, v122
	;; [unrolled: 1-line block ×3, first 2 shown]
	ds_read2_b32 v[172:173], v178 offset1:1
	v_mov_b32_e32 v206, 0
	v_mov_b32_e32 v209, 0
	;; [unrolled: 1-line block ×6, first 2 shown]
	s_and_b32 s20, s0, -16
	v_mov_b32_e32 v222, 0
	s_add_i32 s17, s17, s20
	v_mov_b32_e32 v223, 0
	v_add_nc_u32_e32 v207, s17, v129
	v_add_nc_u32_e32 v211, s17, v130
	;; [unrolled: 1-line block ×3, first 2 shown]
	v_mov_b32_e32 v224, 0
	s_waitcnt lgkmcnt(1)
	v_ashrrev_i32_e32 v63, s16, v63
	s_waitcnt lgkmcnt(0)
	v_ashrrev_i32_e32 v172, s1, v172
	v_and_b32_e32 v174, 0x3030303, v63
	v_bfe_u32 v63, v63, 24, 2
	v_ashrrev_i32_e32 v173, s1, v173
	v_lshlrev_b32_e32 v172, 2, v172
	v_lshrrev_b16 v176, 8, v174
	v_lshrrev_b32_e32 v175, 16, v174
	v_lshlrev_b32_e32 v173, 2, v173
	v_and_b32_e32 v172, 0x4040404, v172
	v_and_b32_e32 v173, 0x4040404, v173
	v_lshrrev_b16 v180, 8, v172
	v_lshrrev_b32_e32 v177, 16, v172
	v_lshrrev_b32_e32 v179, 24, v172
	v_sub_nc_u16 v172, v174, v172
	v_sub_nc_u16 v174, v176, v180
	v_lshrrev_b32_e32 v176, 16, v173
	v_sub_nc_u16 v63, v63, v179
	v_lshrrev_b16 v179, 8, v173
	v_lshlrev_b16 v174, 8, v174
	v_lshlrev_b16 v63, 8, v63
	v_or_b32_sdwa v172, v172, v174 dst_sel:DWORD dst_unused:UNUSED_PAD src0_sel:BYTE_0 src1_sel:DWORD
	v_sub_nc_u16 v174, v175, v177
	v_lshrrev_b32_e32 v177, 24, v173
	v_or_b32_sdwa v63, v174, v63 dst_sel:WORD_1 dst_unused:UNUSED_PAD src0_sel:BYTE_0 src1_sel:DWORD
	v_or_b32_sdwa v172, v172, v63 dst_sel:DWORD dst_unused:UNUSED_PAD src0_sel:WORD_0 src1_sel:DWORD
	v_ashrrev_i32_e32 v63, s16, v64
	v_dot4c_i32_i8 v206, v172, v6
	v_and_b32_e32 v64, 0x3030303, v63
	v_bfe_u32 v63, v63, 24, 2
	v_lshrrev_b16 v175, 8, v64
	v_lshrrev_b32_e32 v174, 16, v64
	v_sub_nc_u16 v64, v64, v173
	v_sub_nc_u16 v63, v63, v177
	v_sub_nc_u16 v173, v175, v179
	v_lshlrev_b16 v63, 8, v63
	v_lshlrev_b16 v173, 8, v173
	v_or_b32_sdwa v64, v64, v173 dst_sel:DWORD dst_unused:UNUSED_PAD src0_sel:BYTE_0 src1_sel:DWORD
	v_sub_nc_u16 v173, v174, v176
	ds_read2_b32 v[174:175], v178 offset0:2 offset1:3
	v_or_b32_sdwa v63, v173, v63 dst_sel:WORD_1 dst_unused:UNUSED_PAD src0_sel:BYTE_0 src1_sel:DWORD
	v_or_b32_sdwa v173, v64, v63 dst_sel:DWORD dst_unused:UNUSED_PAD src0_sel:WORD_0 src1_sel:DWORD
	ds_read2_b32 v[63:64], v200 offset0:2 offset1:3
	v_dot4c_i32_i8 v206, v173, v7
	s_waitcnt lgkmcnt(1)
	v_ashrrev_i32_e32 v174, s1, v174
	v_ashrrev_i32_e32 v175, s1, v175
	v_lshlrev_b32_e32 v174, 2, v174
	v_lshlrev_b32_e32 v175, 2, v175
	s_waitcnt lgkmcnt(0)
	v_ashrrev_i32_e32 v63, s16, v63
	v_and_b32_e32 v174, 0x4040404, v174
	v_and_b32_e32 v175, 0x4040404, v175
	v_and_b32_e32 v176, 0x3030303, v63
	v_bfe_u32 v63, v63, 24, 2
	v_lshrrev_b16 v182, 8, v174
	v_lshrrev_b32_e32 v180, 16, v174
	v_lshrrev_b32_e32 v181, 24, v174
	v_lshrrev_b16 v179, 8, v176
	v_lshrrev_b32_e32 v177, 16, v176
	v_sub_nc_u16 v174, v176, v174
	v_sub_nc_u16 v63, v63, v181
	v_sub_nc_u16 v176, v179, v182
	v_lshrrev_b16 v181, 8, v175
	v_lshrrev_b32_e32 v179, 16, v175
	v_lshlrev_b16 v63, 8, v63
	v_lshlrev_b16 v176, 8, v176
	v_or_b32_sdwa v174, v174, v176 dst_sel:DWORD dst_unused:UNUSED_PAD src0_sel:BYTE_0 src1_sel:DWORD
	v_sub_nc_u16 v176, v177, v180
	v_lshrrev_b32_e32 v180, 24, v175
	v_or_b32_sdwa v63, v176, v63 dst_sel:WORD_1 dst_unused:UNUSED_PAD src0_sel:BYTE_0 src1_sel:DWORD
	v_or_b32_sdwa v174, v174, v63 dst_sel:DWORD dst_unused:UNUSED_PAD src0_sel:WORD_0 src1_sel:DWORD
	v_ashrrev_i32_e32 v63, s16, v64
	v_dot4c_i32_i8 v206, v174, v8
	v_and_b32_e32 v64, 0x3030303, v63
	v_bfe_u32 v63, v63, 24, 2
	v_lshrrev_b16 v177, 8, v64
	v_lshrrev_b32_e32 v176, 16, v64
	v_sub_nc_u16 v64, v64, v175
	v_sub_nc_u16 v63, v63, v180
	v_sub_nc_u16 v175, v177, v181
	v_lshlrev_b16 v63, 8, v63
	v_lshlrev_b16 v175, 8, v175
	v_or_b32_sdwa v64, v64, v175 dst_sel:DWORD dst_unused:UNUSED_PAD src0_sel:BYTE_0 src1_sel:DWORD
	v_sub_nc_u16 v175, v176, v179
	ds_read2_b32 v[176:177], v178 offset0:4 offset1:5
	v_or_b32_sdwa v63, v175, v63 dst_sel:WORD_1 dst_unused:UNUSED_PAD src0_sel:BYTE_0 src1_sel:DWORD
	v_or_b32_sdwa v175, v64, v63 dst_sel:DWORD dst_unused:UNUSED_PAD src0_sel:WORD_0 src1_sel:DWORD
	ds_read2_b32 v[63:64], v200 offset0:4 offset1:5
	v_dot4c_i32_i8 v206, v175, v9
	s_waitcnt lgkmcnt(1)
	v_ashrrev_i32_e32 v176, s1, v176
	v_ashrrev_i32_e32 v177, s1, v177
	v_lshlrev_b32_e32 v176, 2, v176
	v_lshlrev_b32_e32 v177, 2, v177
	s_waitcnt lgkmcnt(0)
	v_ashrrev_i32_e32 v63, s16, v63
	v_and_b32_e32 v176, 0x4040404, v176
	v_and_b32_e32 v177, 0x4040404, v177
	v_and_b32_e32 v179, 0x3030303, v63
	v_bfe_u32 v63, v63, 24, 2
	v_lshrrev_b16 v184, 8, v176
	v_lshrrev_b32_e32 v182, 16, v176
	v_lshrrev_b32_e32 v183, 24, v176
	v_lshrrev_b16 v181, 8, v179
	v_lshrrev_b32_e32 v180, 16, v179
	v_sub_nc_u16 v176, v179, v176
	v_sub_nc_u16 v63, v63, v183
	v_sub_nc_u16 v179, v181, v184
	v_lshrrev_b16 v183, 8, v177
	v_lshrrev_b32_e32 v181, 16, v177
	;; [unrolled: 46-line block ×3, first 2 shown]
	v_lshlrev_b16 v63, 8, v63
	v_lshlrev_b16 v180, 8, v180
	v_or_b32_sdwa v178, v178, v180 dst_sel:DWORD dst_unused:UNUSED_PAD src0_sel:BYTE_0 src1_sel:DWORD
	v_sub_nc_u16 v180, v181, v183
	v_lshrrev_b32_e32 v183, 24, v179
	v_or_b32_sdwa v63, v180, v63 dst_sel:WORD_1 dst_unused:UNUSED_PAD src0_sel:BYTE_0 src1_sel:DWORD
	v_or_b32_sdwa v178, v178, v63 dst_sel:DWORD dst_unused:UNUSED_PAD src0_sel:WORD_0 src1_sel:DWORD
	v_ashrrev_i32_e32 v63, s16, v64
	v_dot4c_i32_i8 v209, v178, v4
	v_and_b32_e32 v64, 0x3030303, v63
	v_bfe_u32 v63, v63, 24, 2
	v_lshrrev_b16 v181, 8, v64
	v_lshrrev_b32_e32 v180, 16, v64
	v_sub_nc_u16 v64, v64, v179
	v_sub_nc_u16 v63, v63, v183
	;; [unrolled: 1-line block ×3, first 2 shown]
	v_lshlrev_b16 v63, 8, v63
	v_lshlrev_b16 v179, 8, v179
	v_or_b32_sdwa v64, v64, v179 dst_sel:DWORD dst_unused:UNUSED_PAD src0_sel:BYTE_0 src1_sel:DWORD
	v_sub_nc_u16 v179, v180, v182
	ds_read2_b32 v[181:182], v186 offset1:1
	v_or_b32_sdwa v63, v179, v63 dst_sel:WORD_1 dst_unused:UNUSED_PAD src0_sel:BYTE_0 src1_sel:DWORD
	v_or_b32_sdwa v180, v64, v63 dst_sel:DWORD dst_unused:UNUSED_PAD src0_sel:WORD_0 src1_sel:DWORD
	v_add3_u32 v63, s18, v166, v167
	v_dot4c_i32_i8 v209, v180, v5
	ds_read_b32 v179, v63
	v_add_nc_u32_e32 v63, 0x1080, v200
	s_waitcnt lgkmcnt(1)
	v_ashrrev_i32_e32 v181, s1, v181
	ds_read2_b32 v[63:64], v63 offset1:1
	v_ashrrev_i32_e32 v182, s1, v182
	v_lshlrev_b32_e32 v181, 2, v181
	v_lshlrev_b32_e32 v182, 2, v182
	v_and_b32_e32 v181, 0x4040404, v181
	v_and_b32_e32 v182, 0x4040404, v182
	v_lshrrev_b16 v189, 8, v181
	v_lshrrev_b32_e32 v187, 16, v181
	v_lshrrev_b32_e32 v188, 24, v181
	s_waitcnt lgkmcnt(0)
	v_ashrrev_i32_e32 v63, s16, v63
	v_and_b32_e32 v183, 0x3030303, v63
	v_bfe_u32 v63, v63, 24, 2
	v_lshrrev_b16 v185, 8, v183
	v_lshrrev_b32_e32 v184, 16, v183
	v_sub_nc_u16 v181, v183, v181
	v_sub_nc_u16 v63, v63, v188
	v_lshrrev_b16 v188, 8, v182
	v_sub_nc_u16 v183, v185, v189
	v_lshrrev_b32_e32 v185, 16, v182
	v_lshlrev_b16 v63, 8, v63
	v_lshlrev_b16 v183, 8, v183
	v_or_b32_sdwa v181, v181, v183 dst_sel:DWORD dst_unused:UNUSED_PAD src0_sel:BYTE_0 src1_sel:DWORD
	v_sub_nc_u16 v183, v184, v187
	v_lshrrev_b32_e32 v187, 24, v182
	v_or_b32_sdwa v63, v183, v63 dst_sel:WORD_1 dst_unused:UNUSED_PAD src0_sel:BYTE_0 src1_sel:DWORD
	v_or_b32_sdwa v183, v181, v63 dst_sel:DWORD dst_unused:UNUSED_PAD src0_sel:WORD_0 src1_sel:DWORD
	v_ashrrev_i32_e32 v63, s16, v64
	v_dot4c_i32_i8 v210, v183, v6
	v_and_b32_e32 v64, 0x3030303, v63
	v_bfe_u32 v63, v63, 24, 2
	v_lshrrev_b16 v184, 8, v64
	v_lshrrev_b32_e32 v181, 16, v64
	v_sub_nc_u16 v64, v64, v182
	v_sub_nc_u16 v63, v63, v187
	;; [unrolled: 1-line block ×4, first 2 shown]
	v_lshlrev_b16 v63, 8, v63
	v_lshlrev_b16 v182, 8, v182
	v_or_b32_sdwa v63, v181, v63 dst_sel:WORD_1 dst_unused:UNUSED_PAD src0_sel:BYTE_0 src1_sel:DWORD
	v_or_b32_sdwa v64, v64, v182 dst_sel:DWORD dst_unused:UNUSED_PAD src0_sel:BYTE_0 src1_sel:DWORD
	ds_read2_b32 v[181:182], v186 offset0:2 offset1:3
	v_or_b32_sdwa v184, v64, v63 dst_sel:DWORD dst_unused:UNUSED_PAD src0_sel:WORD_0 src1_sel:DWORD
	v_add_nc_u32_e32 v63, 0x1088, v200
	v_dot4c_i32_i8 v210, v184, v7
	ds_read2_b32 v[63:64], v63 offset1:1
	s_waitcnt lgkmcnt(1)
	v_ashrrev_i32_e32 v181, s1, v181
	v_ashrrev_i32_e32 v182, s1, v182
	v_lshlrev_b32_e32 v181, 2, v181
	v_lshlrev_b32_e32 v182, 2, v182
	s_waitcnt lgkmcnt(0)
	v_ashrrev_i32_e32 v63, s16, v63
	v_and_b32_e32 v181, 0x4040404, v181
	v_and_b32_e32 v182, 0x4040404, v182
	;; [unrolled: 1-line block ×3, first 2 shown]
	v_bfe_u32 v63, v63, 24, 2
	v_lshrrev_b16 v191, 8, v181
	v_lshrrev_b32_e32 v189, 16, v181
	v_lshrrev_b32_e32 v190, 24, v181
	v_lshrrev_b16 v188, 8, v185
	v_lshrrev_b32_e32 v187, 16, v185
	v_sub_nc_u16 v181, v185, v181
	v_sub_nc_u16 v63, v63, v190
	;; [unrolled: 1-line block ×3, first 2 shown]
	v_lshrrev_b16 v190, 8, v182
	v_lshrrev_b32_e32 v188, 16, v182
	v_lshlrev_b16 v63, 8, v63
	v_lshlrev_b16 v185, 8, v185
	v_or_b32_sdwa v181, v181, v185 dst_sel:DWORD dst_unused:UNUSED_PAD src0_sel:BYTE_0 src1_sel:DWORD
	v_sub_nc_u16 v185, v187, v189
	v_lshrrev_b32_e32 v189, 24, v182
	v_or_b32_sdwa v63, v185, v63 dst_sel:WORD_1 dst_unused:UNUSED_PAD src0_sel:BYTE_0 src1_sel:DWORD
	v_or_b32_sdwa v185, v181, v63 dst_sel:DWORD dst_unused:UNUSED_PAD src0_sel:WORD_0 src1_sel:DWORD
	v_ashrrev_i32_e32 v63, s16, v64
	v_dot4c_i32_i8 v210, v185, v8
	v_and_b32_e32 v64, 0x3030303, v63
	v_bfe_u32 v63, v63, 24, 2
	v_lshrrev_b16 v187, 8, v64
	v_lshrrev_b32_e32 v181, 16, v64
	v_sub_nc_u16 v64, v64, v182
	v_sub_nc_u16 v63, v63, v189
	;; [unrolled: 1-line block ×4, first 2 shown]
	v_lshlrev_b16 v63, 8, v63
	v_lshlrev_b16 v182, 8, v182
	v_or_b32_sdwa v63, v181, v63 dst_sel:WORD_1 dst_unused:UNUSED_PAD src0_sel:BYTE_0 src1_sel:DWORD
	v_or_b32_sdwa v64, v64, v182 dst_sel:DWORD dst_unused:UNUSED_PAD src0_sel:BYTE_0 src1_sel:DWORD
	ds_read2_b32 v[181:182], v186 offset0:4 offset1:5
	v_or_b32_sdwa v187, v64, v63 dst_sel:DWORD dst_unused:UNUSED_PAD src0_sel:WORD_0 src1_sel:DWORD
	v_add_nc_u32_e32 v63, 0x1090, v200
	v_dot4c_i32_i8 v210, v187, v9
	ds_read2_b32 v[63:64], v63 offset1:1
	s_waitcnt lgkmcnt(1)
	v_ashrrev_i32_e32 v181, s1, v181
	v_ashrrev_i32_e32 v182, s1, v182
	v_lshlrev_b32_e32 v181, 2, v181
	v_lshlrev_b32_e32 v182, 2, v182
	s_waitcnt lgkmcnt(0)
	v_ashrrev_i32_e32 v63, s16, v63
	v_and_b32_e32 v181, 0x4040404, v181
	v_and_b32_e32 v182, 0x4040404, v182
	;; [unrolled: 1-line block ×3, first 2 shown]
	v_bfe_u32 v63, v63, 24, 2
	v_lshrrev_b16 v193, 8, v181
	v_lshrrev_b32_e32 v191, 16, v181
	v_lshrrev_b32_e32 v192, 24, v181
	v_lshrrev_b16 v190, 8, v188
	v_lshrrev_b32_e32 v189, 16, v188
	v_sub_nc_u16 v181, v188, v181
	v_sub_nc_u16 v63, v63, v192
	;; [unrolled: 1-line block ×3, first 2 shown]
	v_lshrrev_b16 v192, 8, v182
	v_lshrrev_b32_e32 v190, 16, v182
	v_lshlrev_b16 v63, 8, v63
	v_lshlrev_b16 v188, 8, v188
	v_or_b32_sdwa v181, v181, v188 dst_sel:DWORD dst_unused:UNUSED_PAD src0_sel:BYTE_0 src1_sel:DWORD
	v_sub_nc_u16 v188, v189, v191
	v_lshrrev_b32_e32 v191, 24, v182
	v_or_b32_sdwa v63, v188, v63 dst_sel:WORD_1 dst_unused:UNUSED_PAD src0_sel:BYTE_0 src1_sel:DWORD
	v_or_b32_sdwa v181, v181, v63 dst_sel:DWORD dst_unused:UNUSED_PAD src0_sel:WORD_0 src1_sel:DWORD
	v_ashrrev_i32_e32 v63, s16, v64
	v_dot4c_i32_i8 v212, v181, v2
	v_and_b32_e32 v64, 0x3030303, v63
	v_bfe_u32 v63, v63, 24, 2
	v_lshrrev_b16 v189, 8, v64
	v_lshrrev_b32_e32 v188, 16, v64
	v_sub_nc_u16 v64, v64, v182
	v_sub_nc_u16 v63, v63, v191
	;; [unrolled: 1-line block ×3, first 2 shown]
	v_lshlrev_b16 v63, 8, v63
	v_lshlrev_b16 v182, 8, v182
	v_or_b32_sdwa v64, v64, v182 dst_sel:DWORD dst_unused:UNUSED_PAD src0_sel:BYTE_0 src1_sel:DWORD
	v_sub_nc_u16 v182, v188, v190
	ds_read2_b32 v[188:189], v186 offset0:6 offset1:7
	v_or_b32_sdwa v63, v182, v63 dst_sel:WORD_1 dst_unused:UNUSED_PAD src0_sel:BYTE_0 src1_sel:DWORD
	v_or_b32_sdwa v182, v64, v63 dst_sel:DWORD dst_unused:UNUSED_PAD src0_sel:WORD_0 src1_sel:DWORD
	v_add_nc_u32_e32 v63, 0x1098, v200
	v_dot4c_i32_i8 v212, v182, v3
	ds_read2_b32 v[63:64], v63 offset1:1
	s_waitcnt lgkmcnt(1)
	v_ashrrev_i32_e32 v186, s1, v188
	v_ashrrev_i32_e32 v189, s1, v189
	v_lshlrev_b32_e32 v186, 2, v186
	v_lshlrev_b32_e32 v189, 2, v189
	v_and_b32_e32 v186, 0x4040404, v186
	v_and_b32_e32 v189, 0x4040404, v189
	s_waitcnt lgkmcnt(0)
	v_ashrrev_i32_e32 v63, s16, v63
	v_lshrrev_b32_e32 v193, 24, v186
	v_lshrrev_b16 v194, 8, v186
	v_lshrrev_b32_e32 v188, 16, v186
	v_and_b32_e32 v190, 0x3030303, v63
	v_bfe_u32 v63, v63, 24, 2
	v_lshrrev_b16 v192, 8, v190
	v_lshrrev_b32_e32 v191, 16, v190
	v_sub_nc_u16 v186, v190, v186
	v_sub_nc_u16 v63, v63, v193
	v_lshrrev_b16 v193, 8, v189
	v_sub_nc_u16 v190, v192, v194
	v_sub_nc_u16 v188, v191, v188
	v_lshrrev_b32_e32 v192, 24, v189
	v_lshrrev_b32_e32 v191, 16, v189
	v_lshlrev_b16 v63, 8, v63
	v_lshlrev_b16 v190, 8, v190
	v_or_b32_sdwa v63, v188, v63 dst_sel:WORD_1 dst_unused:UNUSED_PAD src0_sel:BYTE_0 src1_sel:DWORD
	v_or_b32_sdwa v186, v186, v190 dst_sel:DWORD dst_unused:UNUSED_PAD src0_sel:BYTE_0 src1_sel:DWORD
	v_or_b32_sdwa v186, v186, v63 dst_sel:DWORD dst_unused:UNUSED_PAD src0_sel:WORD_0 src1_sel:DWORD
	v_ashrrev_i32_e32 v63, s16, v64
	v_dot4c_i32_i8 v212, v186, v4
	v_and_b32_e32 v64, 0x3030303, v63
	v_bfe_u32 v63, v63, 24, 2
	v_lshrrev_b16 v190, 8, v64
	v_lshrrev_b32_e32 v188, 16, v64
	v_sub_nc_u16 v64, v64, v189
	v_sub_nc_u16 v63, v63, v192
	;; [unrolled: 1-line block ×4, first 2 shown]
	ds_read2_b32 v[190:191], v196 offset1:1
	v_lshlrev_b16 v63, 8, v63
	v_lshlrev_b16 v189, 8, v189
	v_or_b32_sdwa v63, v188, v63 dst_sel:WORD_1 dst_unused:UNUSED_PAD src0_sel:BYTE_0 src1_sel:DWORD
	v_or_b32_sdwa v64, v64, v189 dst_sel:DWORD dst_unused:UNUSED_PAD src0_sel:BYTE_0 src1_sel:DWORD
	v_or_b32_sdwa v189, v64, v63 dst_sel:DWORD dst_unused:UNUSED_PAD src0_sel:WORD_0 src1_sel:DWORD
	v_add3_u32 v63, s18, v160, v121
	v_dot4c_i32_i8 v212, v189, v5
	ds_read_b32 v188, v63
	v_add_nc_u32_e32 v63, 0x2100, v200
	s_waitcnt lgkmcnt(1)
	v_ashrrev_i32_e32 v190, s1, v190
	v_ashrrev_i32_e32 v191, s1, v191
	ds_read2_b32 v[63:64], v63 offset1:1
	v_lshlrev_b32_e32 v190, 2, v190
	v_lshlrev_b32_e32 v191, 2, v191
	v_and_b32_e32 v190, 0x4040404, v190
	v_and_b32_e32 v191, 0x4040404, v191
	v_lshrrev_b16 v198, 8, v190
	v_lshrrev_b32_e32 v195, 16, v190
	v_lshrrev_b32_e32 v197, 24, v190
	s_waitcnt lgkmcnt(0)
	v_ashrrev_i32_e32 v63, s16, v63
	v_and_b32_e32 v192, 0x3030303, v63
	v_bfe_u32 v63, v63, 24, 2
	v_lshrrev_b16 v194, 8, v192
	v_lshrrev_b32_e32 v193, 16, v192
	v_sub_nc_u16 v190, v192, v190
	v_sub_nc_u16 v63, v63, v197
	v_lshrrev_b16 v197, 8, v191
	v_sub_nc_u16 v192, v194, v198
	v_lshrrev_b32_e32 v194, 16, v191
	v_lshlrev_b16 v63, 8, v63
	v_lshlrev_b16 v192, 8, v192
	v_or_b32_sdwa v190, v190, v192 dst_sel:DWORD dst_unused:UNUSED_PAD src0_sel:BYTE_0 src1_sel:DWORD
	v_sub_nc_u16 v192, v193, v195
	v_lshrrev_b32_e32 v195, 24, v191
	v_or_b32_sdwa v63, v192, v63 dst_sel:WORD_1 dst_unused:UNUSED_PAD src0_sel:BYTE_0 src1_sel:DWORD
	v_or_b32_sdwa v190, v190, v63 dst_sel:DWORD dst_unused:UNUSED_PAD src0_sel:WORD_0 src1_sel:DWORD
	v_ashrrev_i32_e32 v63, s16, v64
	v_dot4c_i32_i8 v213, v190, v6
	v_and_b32_e32 v64, 0x3030303, v63
	v_bfe_u32 v63, v63, 24, 2
	v_lshrrev_b16 v193, 8, v64
	v_lshrrev_b32_e32 v192, 16, v64
	v_sub_nc_u16 v64, v64, v191
	v_sub_nc_u16 v63, v63, v195
	v_sub_nc_u16 v191, v193, v197
	v_lshlrev_b16 v63, 8, v63
	v_lshlrev_b16 v191, 8, v191
	v_or_b32_sdwa v64, v64, v191 dst_sel:DWORD dst_unused:UNUSED_PAD src0_sel:BYTE_0 src1_sel:DWORD
	v_sub_nc_u16 v191, v192, v194
	ds_read2_b32 v[192:193], v196 offset0:2 offset1:3
	v_or_b32_sdwa v63, v191, v63 dst_sel:WORD_1 dst_unused:UNUSED_PAD src0_sel:BYTE_0 src1_sel:DWORD
	v_or_b32_sdwa v191, v64, v63 dst_sel:DWORD dst_unused:UNUSED_PAD src0_sel:WORD_0 src1_sel:DWORD
	v_add_nc_u32_e32 v63, 0x2108, v200
	v_dot4c_i32_i8 v213, v191, v7
	ds_read2_b32 v[63:64], v63 offset1:1
	s_waitcnt lgkmcnt(1)
	v_ashrrev_i32_e32 v192, s1, v192
	v_ashrrev_i32_e32 v193, s1, v193
	v_lshlrev_b32_e32 v192, 2, v192
	v_lshlrev_b32_e32 v193, 2, v193
	v_and_b32_e32 v192, 0x4040404, v192
	v_and_b32_e32 v193, 0x4040404, v193
	s_waitcnt lgkmcnt(0)
	v_ashrrev_i32_e32 v63, s16, v63
	v_lshrrev_b16 v201, 8, v192
	v_lshrrev_b32_e32 v198, 16, v192
	v_lshrrev_b32_e32 v199, 24, v192
	v_and_b32_e32 v194, 0x3030303, v63
	v_bfe_u32 v63, v63, 24, 2
	v_lshrrev_b16 v197, 8, v194
	v_lshrrev_b32_e32 v195, 16, v194
	v_sub_nc_u16 v192, v194, v192
	v_sub_nc_u16 v63, v63, v199
	v_lshrrev_b16 v199, 8, v193
	v_sub_nc_u16 v194, v197, v201
	v_lshrrev_b32_e32 v197, 16, v193
	v_lshlrev_b16 v63, 8, v63
	v_lshlrev_b16 v194, 8, v194
	v_or_b32_sdwa v192, v192, v194 dst_sel:DWORD dst_unused:UNUSED_PAD src0_sel:BYTE_0 src1_sel:DWORD
	v_sub_nc_u16 v194, v195, v198
	v_lshrrev_b32_e32 v198, 24, v193
	v_or_b32_sdwa v63, v194, v63 dst_sel:WORD_1 dst_unused:UNUSED_PAD src0_sel:BYTE_0 src1_sel:DWORD
	v_or_b32_sdwa v192, v192, v63 dst_sel:DWORD dst_unused:UNUSED_PAD src0_sel:WORD_0 src1_sel:DWORD
	v_ashrrev_i32_e32 v63, s16, v64
	v_dot4c_i32_i8 v213, v192, v8
	v_and_b32_e32 v64, 0x3030303, v63
	v_bfe_u32 v63, v63, 24, 2
	v_lshrrev_b16 v195, 8, v64
	v_lshrrev_b32_e32 v194, 16, v64
	v_sub_nc_u16 v64, v64, v193
	v_sub_nc_u16 v63, v63, v198
	v_sub_nc_u16 v193, v195, v199
	v_lshlrev_b16 v63, 8, v63
	v_lshlrev_b16 v193, 8, v193
	v_or_b32_sdwa v64, v64, v193 dst_sel:DWORD dst_unused:UNUSED_PAD src0_sel:BYTE_0 src1_sel:DWORD
	v_sub_nc_u16 v193, v194, v197
	ds_read2_b32 v[194:195], v196 offset0:4 offset1:5
	v_or_b32_sdwa v63, v193, v63 dst_sel:WORD_1 dst_unused:UNUSED_PAD src0_sel:BYTE_0 src1_sel:DWORD
	v_or_b32_sdwa v193, v64, v63 dst_sel:DWORD dst_unused:UNUSED_PAD src0_sel:WORD_0 src1_sel:DWORD
	v_add_nc_u32_e32 v63, 0x2110, v200
	v_dot4c_i32_i8 v213, v193, v9
	ds_read2_b32 v[63:64], v63 offset1:1
	s_waitcnt lgkmcnt(1)
	v_ashrrev_i32_e32 v194, s1, v194
	v_ashrrev_i32_e32 v195, s1, v195
	v_lshlrev_b32_e32 v194, 2, v194
	v_lshlrev_b32_e32 v195, 2, v195
	v_and_b32_e32 v194, 0x4040404, v194
	v_and_b32_e32 v195, 0x4040404, v195
	s_waitcnt lgkmcnt(0)
	v_ashrrev_i32_e32 v63, s16, v63
	v_lshrrev_b16 v203, 8, v194
	v_lshrrev_b32_e32 v201, 16, v194
	v_lshrrev_b32_e32 v202, 24, v194
	;; [unrolled: 47-line block ×3, first 2 shown]
	v_and_b32_e32 v198, 0x3030303, v63
	v_bfe_u32 v63, v63, 24, 2
	v_lshrrev_b16 v201, 8, v198
	v_lshrrev_b32_e32 v199, 16, v198
	v_sub_nc_u16 v196, v198, v196
	v_sub_nc_u16 v63, v63, v203
	v_lshrrev_b16 v203, 8, v197
	v_sub_nc_u16 v198, v201, v204
	v_lshrrev_b32_e32 v201, 16, v197
	v_lshlrev_b16 v63, 8, v63
	v_lshlrev_b16 v198, 8, v198
	v_or_b32_sdwa v196, v196, v198 dst_sel:DWORD dst_unused:UNUSED_PAD src0_sel:BYTE_0 src1_sel:DWORD
	v_sub_nc_u16 v198, v199, v202
	v_lshrrev_b32_e32 v202, 24, v197
	v_or_b32_sdwa v63, v198, v63 dst_sel:WORD_1 dst_unused:UNUSED_PAD src0_sel:BYTE_0 src1_sel:DWORD
	v_or_b32_sdwa v196, v196, v63 dst_sel:DWORD dst_unused:UNUSED_PAD src0_sel:WORD_0 src1_sel:DWORD
	v_ashrrev_i32_e32 v63, s16, v64
	v_dot4c_i32_i8 v215, v196, v4
	v_and_b32_e32 v64, 0x3030303, v63
	v_bfe_u32 v63, v63, 24, 2
	v_lshrrev_b16 v199, 8, v64
	v_lshrrev_b32_e32 v198, 16, v64
	v_sub_nc_u16 v64, v64, v197
	v_sub_nc_u16 v63, v63, v202
	v_sub_nc_u16 v197, v199, v203
	ds_read2_b32 v[203:204], v208 offset1:1
	v_lshlrev_b16 v63, 8, v63
	v_lshlrev_b16 v197, 8, v197
	v_or_b32_sdwa v64, v64, v197 dst_sel:DWORD dst_unused:UNUSED_PAD src0_sel:BYTE_0 src1_sel:DWORD
	v_sub_nc_u16 v197, v198, v201
	v_or_b32_sdwa v63, v197, v63 dst_sel:WORD_1 dst_unused:UNUSED_PAD src0_sel:BYTE_0 src1_sel:DWORD
	v_or_b32_sdwa v198, v64, v63 dst_sel:DWORD dst_unused:UNUSED_PAD src0_sel:WORD_0 src1_sel:DWORD
	v_add3_u32 v63, s18, v162, v123
	s_waitcnt lgkmcnt(0)
	v_ashrrev_i32_e32 v203, s1, v203
	v_dot4c_i32_i8 v215, v198, v5
	ds_read_b32 v197, v63
	v_add_nc_u32_e32 v63, 0x3180, v200
	v_lshlrev_b32_e32 v203, 2, v203
	ds_read2_b32 v[63:64], v63 offset1:1
	v_and_b32_e32 v203, 0x4040404, v203
	v_lshrrev_b32_e32 v216, 24, v203
	v_lshrrev_b16 v217, 8, v203
	v_lshrrev_b32_e32 v205, 16, v203
	s_waitcnt lgkmcnt(0)
	v_ashrrev_i32_e32 v199, s16, v63
	v_and_b32_e32 v201, 0x3030303, v199
	v_bfe_u32 v199, v199, 24, 2
	v_lshrrev_b16 v202, 8, v201
	v_lshrrev_b32_e32 v63, 16, v201
	v_sub_nc_u16 v199, v199, v216
	v_sub_nc_u16 v201, v201, v203
	v_ashrrev_i32_e32 v203, s1, v204
	v_sub_nc_u16 v202, v202, v217
	v_sub_nc_u16 v63, v63, v205
	v_lshlrev_b16 v199, 8, v199
	v_lshlrev_b32_e32 v203, 2, v203
	v_lshlrev_b16 v202, 8, v202
	v_or_b32_sdwa v63, v63, v199 dst_sel:WORD_1 dst_unused:UNUSED_PAD src0_sel:BYTE_0 src1_sel:DWORD
	v_and_b32_e32 v203, 0x4040404, v203
	v_or_b32_sdwa v201, v201, v202 dst_sel:DWORD dst_unused:UNUSED_PAD src0_sel:BYTE_0 src1_sel:DWORD
	v_lshrrev_b32_e32 v205, 24, v203
	v_or_b32_sdwa v202, v201, v63 dst_sel:DWORD dst_unused:UNUSED_PAD src0_sel:WORD_0 src1_sel:DWORD
	v_ashrrev_i32_e32 v63, s16, v64
	v_lshrrev_b16 v216, 8, v203
	v_lshrrev_b32_e32 v204, 16, v203
	v_and_b32_e32 v64, 0x3030303, v63
	v_bfe_u32 v63, v63, 24, 2
	v_lshrrev_b16 v201, 8, v64
	v_lshrrev_b32_e32 v199, 16, v64
	v_sub_nc_u16 v63, v63, v205
	v_sub_nc_u16 v64, v64, v203
	;; [unrolled: 1-line block ×4, first 2 shown]
	v_lshlrev_b16 v63, 8, v63
	ds_read2_b32 v[204:205], v208 offset0:2 offset1:3
	v_lshlrev_b16 v201, 8, v201
	v_or_b32_sdwa v63, v199, v63 dst_sel:WORD_1 dst_unused:UNUSED_PAD src0_sel:BYTE_0 src1_sel:DWORD
	v_or_b32_sdwa v64, v64, v201 dst_sel:DWORD dst_unused:UNUSED_PAD src0_sel:BYTE_0 src1_sel:DWORD
	v_or_b32_sdwa v203, v64, v63 dst_sel:DWORD dst_unused:UNUSED_PAD src0_sel:WORD_0 src1_sel:DWORD
	v_add_nc_u32_e32 v63, 0x3188, v200
	ds_read2_b32 v[63:64], v63 offset1:1
	s_waitcnt lgkmcnt(1)
	v_ashrrev_i32_e32 v204, s1, v204
	v_ashrrev_i32_e32 v205, s1, v205
	v_lshlrev_b32_e32 v204, 2, v204
	v_lshlrev_b32_e32 v205, 2, v205
	v_and_b32_e32 v204, 0x4040404, v204
	v_and_b32_e32 v205, 0x4040404, v205
	v_lshrrev_b32_e32 v218, 24, v204
	v_lshrrev_b16 v219, 8, v204
	v_lshrrev_b32_e32 v217, 16, v204
	s_waitcnt lgkmcnt(0)
	v_ashrrev_i32_e32 v63, s16, v63
	v_and_b32_e32 v199, 0x3030303, v63
	v_bfe_u32 v63, v63, 24, 2
	v_lshrrev_b16 v216, 8, v199
	v_lshrrev_b32_e32 v201, 16, v199
	v_sub_nc_u16 v199, v199, v204
	v_sub_nc_u16 v63, v63, v218
	v_lshrrev_b16 v218, 8, v205
	v_sub_nc_u16 v204, v216, v219
	v_sub_nc_u16 v201, v201, v217
	v_lshrrev_b32_e32 v217, 24, v205
	v_lshrrev_b32_e32 v216, 16, v205
	v_lshlrev_b16 v63, 8, v63
	v_lshlrev_b16 v204, 8, v204
	v_or_b32_sdwa v63, v201, v63 dst_sel:WORD_1 dst_unused:UNUSED_PAD src0_sel:BYTE_0 src1_sel:DWORD
	v_or_b32_sdwa v199, v199, v204 dst_sel:DWORD dst_unused:UNUSED_PAD src0_sel:BYTE_0 src1_sel:DWORD
	v_or_b32_sdwa v204, v199, v63 dst_sel:DWORD dst_unused:UNUSED_PAD src0_sel:WORD_0 src1_sel:DWORD
	v_ashrrev_i32_e32 v63, s16, v64
	v_and_b32_e32 v64, 0x3030303, v63
	v_bfe_u32 v63, v63, 24, 2
	v_lshrrev_b16 v201, 8, v64
	v_lshrrev_b32_e32 v199, 16, v64
	v_sub_nc_u16 v63, v63, v217
	v_sub_nc_u16 v64, v64, v205
	;; [unrolled: 1-line block ×4, first 2 shown]
	v_lshlrev_b16 v63, 8, v63
	ds_read2_b32 v[218:219], v208 offset0:4 offset1:5
	v_lshlrev_b16 v201, 8, v201
	v_or_b32_sdwa v63, v199, v63 dst_sel:WORD_1 dst_unused:UNUSED_PAD src0_sel:BYTE_0 src1_sel:DWORD
	v_or_b32_sdwa v64, v64, v201 dst_sel:DWORD dst_unused:UNUSED_PAD src0_sel:BYTE_0 src1_sel:DWORD
	v_or_b32_sdwa v205, v64, v63 dst_sel:DWORD dst_unused:UNUSED_PAD src0_sel:WORD_0 src1_sel:DWORD
	v_add_nc_u32_e32 v63, 0x3190, v200
	ds_read2_b32 v[216:217], v63 offset1:1
	s_waitcnt lgkmcnt(0)
	v_ashrrev_i32_e32 v63, s16, v216
	v_ashrrev_i32_e32 v216, s1, v218
	v_and_b32_e32 v64, 0x3030303, v63
	v_lshlrev_b32_e32 v216, 2, v216
	v_bfe_u32 v63, v63, 24, 2
	v_lshrrev_b16 v201, 8, v64
	v_and_b32_e32 v216, 0x4040404, v216
	v_lshrrev_b32_e32 v199, 16, v64
	v_lshrrev_b32_e32 v220, 24, v216
	v_lshrrev_b16 v221, 8, v216
	v_lshrrev_b32_e32 v218, 16, v216
	v_sub_nc_u16 v64, v64, v216
	v_sub_nc_u16 v63, v63, v220
	;; [unrolled: 1-line block ×4, first 2 shown]
	v_lshlrev_b16 v63, 8, v63
	v_lshlrev_b16 v201, 8, v201
	v_or_b32_sdwa v63, v199, v63 dst_sel:WORD_1 dst_unused:UNUSED_PAD src0_sel:BYTE_0 src1_sel:DWORD
	v_or_b32_sdwa v64, v64, v201 dst_sel:DWORD dst_unused:UNUSED_PAD src0_sel:BYTE_0 src1_sel:DWORD
	v_or_b32_sdwa v64, v64, v63 dst_sel:DWORD dst_unused:UNUSED_PAD src0_sel:WORD_0 src1_sel:DWORD
	v_ashrrev_i32_e32 v63, s16, v217
	v_ashrrev_i32_e32 v217, s1, v219
	v_and_b32_e32 v199, 0x3030303, v63
	v_lshlrev_b32_e32 v217, 2, v217
	v_bfe_u32 v63, v63, 24, 2
	v_lshrrev_b16 v216, 8, v199
	v_and_b32_e32 v217, 0x4040404, v217
	v_lshrrev_b32_e32 v201, 16, v199
	v_lshrrev_b32_e32 v219, 24, v217
	v_lshrrev_b16 v220, 8, v217
	v_lshrrev_b32_e32 v218, 16, v217
	v_sub_nc_u16 v199, v199, v217
	v_sub_nc_u16 v63, v63, v219
	;; [unrolled: 1-line block ×4, first 2 shown]
	v_lshlrev_b16 v63, 8, v63
	v_lshlrev_b16 v216, 8, v216
	v_or_b32_sdwa v63, v201, v63 dst_sel:WORD_1 dst_unused:UNUSED_PAD src0_sel:BYTE_0 src1_sel:DWORD
	v_or_b32_sdwa v199, v199, v216 dst_sel:DWORD dst_unused:UNUSED_PAD src0_sel:BYTE_0 src1_sel:DWORD
	ds_read2_b32 v[216:217], v208 offset0:6 offset1:7
	v_or_b32_sdwa v199, v199, v63 dst_sel:DWORD dst_unused:UNUSED_PAD src0_sel:WORD_0 src1_sel:DWORD
	v_add_nc_u32_e32 v63, 0x3198, v200
	ds_read2_b32 v[200:201], v63 offset1:1
	s_waitcnt lgkmcnt(1)
	v_ashrrev_i32_e32 v208, s1, v216
	v_ashrrev_i32_e32 v217, s1, v217
	s_add_i32 s1, s1, 1
	v_lshlrev_b32_e32 v208, 2, v208
	v_lshlrev_b32_e32 v217, 2, v217
	s_waitcnt lgkmcnt(0)
	v_ashrrev_i32_e32 v63, s16, v200
	v_and_b32_e32 v208, 0x4040404, v208
	v_and_b32_e32 v217, 0x4040404, v217
	;; [unrolled: 1-line block ×3, first 2 shown]
	v_lshrrev_b16 v221, 8, v208
	v_bfe_u32 v63, v63, 24, 2
	v_lshrrev_b32_e32 v216, 16, v208
	v_lshrrev_b32_e32 v220, 24, v208
	v_lshrrev_b16 v219, 8, v200
	v_lshrrev_b32_e32 v218, 16, v200
	v_sub_nc_u16 v200, v200, v208
	v_sub_nc_u16 v63, v63, v220
	;; [unrolled: 1-line block ×3, first 2 shown]
	v_lshrrev_b16 v220, 8, v217
	v_lshrrev_b32_e32 v219, 24, v217
	v_lshlrev_b16 v63, 8, v63
	v_lshlrev_b16 v208, 8, v208
	v_or_b32_sdwa v200, v200, v208 dst_sel:DWORD dst_unused:UNUSED_PAD src0_sel:BYTE_0 src1_sel:DWORD
	v_sub_nc_u16 v208, v218, v216
	v_lshrrev_b32_e32 v218, 16, v217
	v_or_b32_sdwa v63, v208, v63 dst_sel:WORD_1 dst_unused:UNUSED_PAD src0_sel:BYTE_0 src1_sel:DWORD
	v_or_b32_sdwa v200, v200, v63 dst_sel:DWORD dst_unused:UNUSED_PAD src0_sel:WORD_0 src1_sel:DWORD
	v_ashrrev_i32_e32 v63, s16, v201
	v_and_b32_e32 v201, 0x3030303, v63
	v_bfe_u32 v63, v63, 24, 2
	v_lshrrev_b16 v216, 8, v201
	v_lshrrev_b32_e32 v208, 16, v201
	v_sub_nc_u16 v201, v201, v217
	v_sub_nc_u16 v63, v63, v219
	v_mov_b32_e32 v219, 0
	v_sub_nc_u16 v216, v216, v220
	v_sub_nc_u16 v208, v208, v218
	v_mov_b32_e32 v218, 0
	v_lshlrev_b16 v63, 8, v63
	v_mov_b32_e32 v220, 0
	v_lshlrev_b16 v216, 8, v216
	v_add_nc_u32_e32 v217, s17, v132
	v_dot4c_i32_i8 v218, v64, v2
	v_or_b32_sdwa v63, v208, v63 dst_sel:WORD_1 dst_unused:UNUSED_PAD src0_sel:BYTE_0 src1_sel:DWORD
	s_mov_b32 s17, s11
	v_or_b32_sdwa v201, v201, v216 dst_sel:DWORD dst_unused:UNUSED_PAD src0_sel:BYTE_0 src1_sel:DWORD
	v_mov_b32_e32 v216, 0
	v_dot4c_i32_i8 v218, v199, v3
	v_or_b32_sdwa v201, v201, v63 dst_sel:DWORD dst_unused:UNUSED_PAD src0_sel:WORD_0 src1_sel:DWORD
	v_dot4c_i32_i8 v216, v202, v6
	v_add3_u32 v63, s18, v164, v125
	v_dot4c_i32_i8 v218, v200, v4
	v_dot4c_i32_i8 v216, v203, v7
	ds_read_b32 v63, v63
	v_dot4c_i32_i8 v218, v201, v5
	v_dot4c_i32_i8 v216, v204, v8
	;; [unrolled: 1-line block ×3, first 2 shown]
	ds_read_b128 v[6:9], v170 offset:1024
	ds_read_b128 v[2:5], v170 offset:1040
	ds_read_u16 v207, v207 offset:33522
	s_waitcnt lgkmcnt(2)
	v_dot4c_i32_i8 v219, v172, v6
	s_waitcnt lgkmcnt(1)
	v_dot4c_i32_i8 v220, v176, v2
	s_waitcnt lgkmcnt(0)
	v_lshrrev_b16 v208, 8, v207
	v_bfe_i32 v207, v207, 0, 8
	v_dot4c_i32_i8 v219, v173, v7
	v_dot4c_i32_i8 v220, v177, v3
	v_bfe_i32 v208, v208, 0, 8
	v_dot4c_i32_i8 v219, v174, v8
	v_dot4c_i32_i8 v220, v178, v4
	v_mul_lo_u32 v209, v209, v208
	v_dot4c_i32_i8 v219, v175, v9
	v_dot4c_i32_i8 v220, v180, v5
	v_mul_lo_u32 v219, v219, v207
	v_mad_u64_u32 v[219:220], null, v220, v208, v[219:220]
	v_mad_u64_u32 v[220:221], null, v206, v207, v[209:210]
	v_mul_f32_e32 v206, v179, v61
	v_mul_f32_e32 v209, v179, v62
	v_mov_b32_e32 v221, 0
	v_cvt_f32_i32_e32 v219, v219
	v_cvt_f32_i32_e32 v220, v220
	v_fma_f32 v11, v209, v219, v11
	v_mov_b32_e32 v219, 0
	v_fmac_f32_e32 v10, v206, v220
	ds_read_u16 v206, v211 offset:34546
	v_mov_b32_e32 v220, 0
	v_dot4c_i32_i8 v219, v183, v6
	v_dot4c_i32_i8 v220, v181, v2
	;; [unrolled: 1-line block ×7, first 2 shown]
	s_waitcnt lgkmcnt(0)
	v_lshrrev_b16 v209, 8, v206
	v_bfe_i32 v206, v206, 0, 8
	v_dot4c_i32_i8 v220, v189, v5
	v_bfe_i32 v209, v209, 0, 8
	v_mul_lo_u32 v211, v212, v209
	v_mul_lo_u32 v212, v219, v206
	v_mad_u64_u32 v[219:220], null, v220, v209, v[212:213]
                                        ; kill: def $vgpr212 killed $sgpr0 killed $exec
	v_mad_u64_u32 v[210:211], null, v210, v206, v[211:212]
	v_mul_f32_e32 v211, v188, v61
	v_mul_f32_e32 v212, v188, v62
	v_mov_b32_e32 v220, 0
	v_cvt_f32_i32_e32 v219, v219
	v_cvt_f32_i32_e32 v210, v210
	v_dot4c_i32_i8 v220, v194, v2
	v_fma_f32 v56, v212, v219, v56
	v_mov_b32_e32 v219, 0
	v_fmac_f32_e32 v55, v211, v210
	ds_read_u16 v210, v214 offset:35570
	v_dot4c_i32_i8 v220, v195, v3
	v_dot4c_i32_i8 v219, v190, v6
	;; [unrolled: 1-line block ×7, first 2 shown]
	s_waitcnt lgkmcnt(0)
	v_lshrrev_b16 v211, 8, v210
	v_bfe_i32 v210, v210, 0, 8
	v_bfe_i32 v211, v211, 0, 8
	v_mul_lo_u32 v214, v219, v210
	v_mov_b32_e32 v219, 0
	v_mul_lo_u32 v212, v215, v211
                                        ; kill: def $vgpr215 killed $sgpr0 killed $exec
	v_mad_u64_u32 v[214:215], null, v220, v211, v[214:215]
	v_mul_f32_e32 v215, v197, v62
	v_mov_b32_e32 v220, 0
	v_mad_u64_u32 v[212:213], null, v213, v210, v[212:213]
	v_mul_f32_e32 v213, v197, v61
	v_cvt_f32_i32_e32 v214, v214
	v_cvt_f32_i32_e32 v212, v212
	v_fma_f32 v58, v215, v214, v58
	v_fmac_f32_e32 v57, v213, v212
	v_mov_b32_e32 v212, 0
	v_dot4c_i32_i8 v212, v202, v6
	v_mov_b32_e32 v6, 0
	v_dot4c_i32_i8 v212, v203, v7
	v_dot4c_i32_i8 v6, v64, v2
	ds_read_u16 v2, v217 offset:36594
	v_mov_b32_e32 v217, 0
	v_dot4c_i32_i8 v212, v204, v8
	v_dot4c_i32_i8 v6, v199, v3
	;; [unrolled: 1-line block ×4, first 2 shown]
                                        ; kill: def $vgpr4 killed $sgpr0 killed $exec
	v_dot4c_i32_i8 v6, v201, v5
	s_waitcnt lgkmcnt(0)
	v_lshrrev_b16 v3, 8, v2
	v_bfe_i32 v8, v2, 0, 8
	v_bfe_i32 v9, v3, 0, 8
	v_mul_lo_u32 v3, v212, v8
	v_mul_lo_u32 v2, v218, v9
	v_mov_b32_e32 v218, 0
	v_mad_u64_u32 v[3:4], null, v6, v9, v[3:4]
	v_mad_u64_u32 v[4:5], null, v216, v8, v[2:3]
	v_mul_f32_e32 v2, v63, v61
	v_mul_f32_e32 v5, v63, v62
	v_cvt_f32_i32_e32 v3, v3
	v_mov_b32_e32 v61, 0
	v_mov_b32_e32 v62, 0
	;; [unrolled: 1-line block ×3, first 2 shown]
	v_cvt_f32_i32_e32 v4, v4
	v_fma_f32 v60, v5, v3, v60
	v_fmac_f32_e32 v59, v2, v4
	ds_read2_b32 v[6:7], v171 offset0:64 offset1:96
	ds_read_b128 v[212:215], v170 offset:2048
	ds_read_b128 v[2:5], v170 offset:2064
	s_waitcnt lgkmcnt(1)
	v_dot4c_i32_i8 v61, v172, v212
	s_waitcnt lgkmcnt(0)
	v_dot4c_i32_i8 v62, v176, v2
	v_dot4c_i32_i8 v218, v183, v212
	;; [unrolled: 1-line block ×31, first 2 shown]
	ds_read_b128 v[2:5], v170 offset:3072
	ds_read_b128 v[212:215], v170 offset:3088
	v_mul_lo_u32 v62, v62, v208
	v_mad_u64_u32 v[61:62], null, v61, v207, v[62:63]
	v_mul_f32_e32 v62, v179, v6
	v_cvt_f32_i32_e32 v61, v61
	s_waitcnt lgkmcnt(1)
	v_dot4c_i32_i8 v216, v172, v2
	s_waitcnt lgkmcnt(0)
	v_dot4c_i32_i8 v217, v176, v212
	v_fmac_f32_e32 v51, v62, v61
	v_mov_b32_e32 v62, 0
	v_dot4c_i32_i8 v216, v173, v3
	v_dot4c_i32_i8 v217, v177, v213
	v_mul_lo_u32 v61, v219, v209
	v_mov_b32_e32 v219, 0
	v_dot4c_i32_i8 v62, v183, v2
	v_dot4c_i32_i8 v216, v174, v4
	;; [unrolled: 1-line block ×7, first 2 shown]
	v_mul_lo_u32 v216, v216, v207
	v_dot4c_i32_i8 v62, v187, v5
	v_mad_u64_u32 v[216:217], null, v217, v208, v[216:217]
	v_mul_f32_e32 v217, v179, v7
	v_mul_lo_u32 v62, v62, v206
	v_cvt_f32_i32_e32 v216, v216
	v_fma_f32 v52, v217, v216, v52
	v_mov_b32_e32 v216, 0
	v_dot4c_i32_i8 v216, v181, v212
	v_dot4c_i32_i8 v216, v182, v213
	;; [unrolled: 1-line block ×4, first 2 shown]
	v_mad_u64_u32 v[216:217], null, v216, v209, v[62:63]
                                        ; kill: def $vgpr62 killed $sgpr0 killed $exec
	v_mul_f32_e32 v217, v188, v7
	v_mad_u64_u32 v[61:62], null, v218, v206, v[61:62]
	v_mul_f32_e32 v62, v188, v6
	v_mov_b32_e32 v218, 0
	v_cvt_f32_i32_e32 v216, v216
	v_cvt_f32_i32_e32 v61, v61
	v_fma_f32 v54, v217, v216, v54
	v_mov_b32_e32 v216, 0
	v_fmac_f32_e32 v53, v62, v61
	v_mov_b32_e32 v62, 0
	v_mul_lo_u32 v61, v221, v211
	v_dot4c_i32_i8 v216, v194, v212
	v_mov_b32_e32 v221, 0
	v_dot4c_i32_i8 v62, v190, v2
	v_dot4c_i32_i8 v216, v195, v213
	;; [unrolled: 1-line block ×7, first 2 shown]
	v_mul_lo_u32 v62, v62, v210
	v_mad_u64_u32 v[216:217], null, v216, v211, v[62:63]
                                        ; kill: def $vgpr62 killed $sgpr0 killed $exec
	v_mul_f32_e32 v217, v197, v7
	v_mad_u64_u32 v[61:62], null, v220, v210, v[61:62]
	v_mul_f32_e32 v62, v197, v6
	v_mov_b32_e32 v220, 0
	v_cvt_f32_i32_e32 v216, v216
	v_cvt_f32_i32_e32 v61, v61
	v_fma_f32 v48, v217, v216, v48
	v_mov_b32_e32 v216, 0
	v_fmac_f32_e32 v47, v62, v61
	v_mov_b32_e32 v61, 0
	v_mov_b32_e32 v62, 0
	v_dot4c_i32_i8 v61, v202, v2
	v_mul_lo_u32 v2, v223, v9
	v_mov_b32_e32 v223, 0
	v_dot4c_i32_i8 v61, v203, v3
	v_dot4c_i32_i8 v61, v204, v4
	v_mov_b32_e32 v4, 0
	v_dot4c_i32_i8 v61, v205, v5
	v_dot4c_i32_i8 v4, v64, v212
	v_mul_lo_u32 v3, v61, v8
	v_dot4c_i32_i8 v4, v199, v213
	v_mov_b32_e32 v61, 0
	v_dot4c_i32_i8 v4, v200, v214
	v_dot4c_i32_i8 v4, v201, v215
	v_mad_u64_u32 v[3:4], null, v4, v9, v[3:4]
	v_mad_u64_u32 v[4:5], null, v222, v8, v[2:3]
	v_mul_f32_e32 v2, v63, v6
	v_mul_f32_e32 v5, v63, v7
	v_cvt_f32_i32_e32 v3, v3
	v_mov_b32_e32 v222, 0
	v_cvt_f32_i32_e32 v4, v4
	v_fma_f32 v50, v5, v3, v50
	v_fmac_f32_e32 v49, v2, v4
	ds_read2_b32 v[2:3], v171 offset0:128 offset1:160
	ds_read_b128 v[4:7], v170 offset:4096
	ds_read_b128 v[212:215], v170 offset:4112
	s_waitcnt lgkmcnt(1)
	v_dot4c_i32_i8 v218, v172, v4
	s_waitcnt lgkmcnt(0)
	v_dot4c_i32_i8 v61, v176, v212
	v_dot4c_i32_i8 v219, v183, v4
	;; [unrolled: 1-line block ×31, first 2 shown]
	ds_read_b128 v[4:7], v170 offset:5120
	ds_read_b128 v[212:215], v170 offset:5136
	v_mul_lo_u32 v61, v61, v208
	s_waitcnt lgkmcnt(1)
	v_dot4c_i32_i8 v62, v172, v4
	s_waitcnt lgkmcnt(0)
	v_dot4c_i32_i8 v216, v176, v212
	v_dot4c_i32_i8 v62, v173, v5
	;; [unrolled: 1-line block ×7, first 2 shown]
	v_mul_lo_u32 v62, v62, v207
	v_mad_u64_u32 v[216:217], null, v216, v208, v[62:63]
                                        ; kill: def $vgpr62 killed $sgpr0 killed $exec
	v_mul_f32_e32 v217, v179, v3
	v_mad_u64_u32 v[61:62], null, v218, v207, v[61:62]
	v_mul_f32_e32 v62, v179, v2
	v_mov_b32_e32 v218, 0
	v_cvt_f32_i32_e32 v216, v216
	v_cvt_f32_i32_e32 v61, v61
	v_fma_f32 v42, v217, v216, v42
	v_mov_b32_e32 v216, 0
	v_fmac_f32_e32 v41, v62, v61
	v_mov_b32_e32 v62, 0
	v_mul_lo_u32 v61, v220, v209
	v_dot4c_i32_i8 v216, v181, v212
	v_mov_b32_e32 v220, 0
	v_dot4c_i32_i8 v62, v183, v4
	v_dot4c_i32_i8 v216, v182, v213
	;; [unrolled: 1-line block ×7, first 2 shown]
	v_mul_lo_u32 v62, v62, v206
	v_mad_u64_u32 v[216:217], null, v216, v209, v[62:63]
                                        ; kill: def $vgpr62 killed $sgpr0 killed $exec
	v_mul_f32_e32 v217, v188, v3
	v_mad_u64_u32 v[61:62], null, v219, v206, v[61:62]
	v_mul_f32_e32 v62, v188, v2
	v_mov_b32_e32 v219, 0
	v_cvt_f32_i32_e32 v216, v216
	v_cvt_f32_i32_e32 v61, v61
	v_fma_f32 v44, v217, v216, v44
	v_mov_b32_e32 v216, 0
	v_fmac_f32_e32 v43, v62, v61
	v_mov_b32_e32 v62, 0
	v_mul_lo_u32 v61, v222, v211
	v_dot4c_i32_i8 v216, v194, v212
	v_mov_b32_e32 v222, 0
	v_dot4c_i32_i8 v62, v190, v4
	v_dot4c_i32_i8 v216, v195, v213
	;; [unrolled: 1-line block ×7, first 2 shown]
	v_mul_lo_u32 v62, v62, v210
	v_mad_u64_u32 v[216:217], null, v216, v211, v[62:63]
                                        ; kill: def $vgpr62 killed $sgpr0 killed $exec
	v_mul_f32_e32 v217, v197, v3
	v_mad_u64_u32 v[61:62], null, v221, v210, v[61:62]
	v_mul_f32_e32 v62, v197, v2
	v_mul_f32_e32 v2, v63, v2
	v_mul_f32_e32 v3, v63, v3
	v_cvt_f32_i32_e32 v216, v216
	v_mov_b32_e32 v221, 0
	v_cvt_f32_i32_e32 v61, v61
	v_fma_f32 v46, v217, v216, v46
	v_mov_b32_e32 v216, 0
	v_mov_b32_e32 v217, 0
	v_fmac_f32_e32 v45, v62, v61
	v_mov_b32_e32 v61, 0
	v_mov_b32_e32 v62, 0
	v_dot4c_i32_i8 v61, v202, v4
	v_mul_lo_u32 v4, v224, v9
	v_dot4c_i32_i8 v61, v203, v5
	v_dot4c_i32_i8 v61, v204, v6
	v_mov_b32_e32 v6, 0
	v_dot4c_i32_i8 v61, v205, v7
	v_dot4c_i32_i8 v6, v64, v212
	v_mul_lo_u32 v5, v61, v8
	v_dot4c_i32_i8 v6, v199, v213
	v_mov_b32_e32 v61, 0
	v_dot4c_i32_i8 v6, v200, v214
	v_dot4c_i32_i8 v6, v201, v215
	v_mad_u64_u32 v[5:6], null, v6, v9, v[5:6]
	v_mad_u64_u32 v[6:7], null, v223, v8, v[4:5]
	v_cvt_f32_i32_e32 v5, v5
	v_fma_f32 v40, v3, v5, v40
	v_cvt_f32_i32_e32 v4, v6
	v_fmac_f32_e32 v39, v2, v4
	ds_read2_b32 v[6:7], v171 offset0:192 offset1:224
	ds_read_b128 v[2:5], v170 offset:6144
	ds_read_b128 v[212:215], v170 offset:6160
	v_add_nc_u32_e32 v171, 4, v171
	s_waitcnt lgkmcnt(1)
	v_dot4c_i32_i8 v216, v172, v2
	s_waitcnt lgkmcnt(0)
	v_dot4c_i32_i8 v217, v176, v212
	v_dot4c_i32_i8 v218, v183, v2
	v_dot4c_i32_i8 v219, v181, v212
	v_dot4c_i32_i8 v220, v190, v2
	v_dot4c_i32_i8 v221, v194, v212
	v_dot4c_i32_i8 v61, v202, v2
	v_dot4c_i32_i8 v62, v64, v212
	v_dot4c_i32_i8 v216, v173, v3
	v_dot4c_i32_i8 v217, v177, v213
	v_dot4c_i32_i8 v218, v184, v3
	v_dot4c_i32_i8 v219, v182, v213
	v_dot4c_i32_i8 v220, v191, v3
	v_dot4c_i32_i8 v221, v195, v213
	v_dot4c_i32_i8 v61, v203, v3
	v_dot4c_i32_i8 v62, v199, v213
	v_dot4c_i32_i8 v216, v174, v4
	v_dot4c_i32_i8 v217, v178, v214
	v_dot4c_i32_i8 v218, v185, v4
	v_dot4c_i32_i8 v219, v186, v214
	v_dot4c_i32_i8 v220, v192, v4
	v_dot4c_i32_i8 v221, v196, v214
	v_dot4c_i32_i8 v61, v204, v4
	v_dot4c_i32_i8 v62, v200, v214
	v_dot4c_i32_i8 v216, v175, v5
	v_dot4c_i32_i8 v217, v180, v215
	v_dot4c_i32_i8 v218, v187, v5
	v_dot4c_i32_i8 v219, v189, v215
	v_dot4c_i32_i8 v220, v193, v5
	v_dot4c_i32_i8 v221, v198, v215
	v_dot4c_i32_i8 v61, v205, v5
	v_dot4c_i32_i8 v62, v201, v215
	ds_read_b128 v[212:215], v170 offset:7168
	ds_read_b128 v[2:5], v170 offset:7184
	v_add_nc_u32_e32 v170, 32, v170
	s_waitcnt lgkmcnt(1)
	v_dot4c_i32_i8 v222, v172, v212
	v_mul_lo_u32 v172, v217, v208
	v_dot4c_i32_i8 v222, v173, v213
	v_dot4c_i32_i8 v222, v174, v214
	v_mov_b32_e32 v174, 0
	v_dot4c_i32_i8 v222, v175, v215
	s_waitcnt lgkmcnt(0)
	v_dot4c_i32_i8 v174, v176, v2
	v_mul_lo_u32 v173, v222, v207
	v_dot4c_i32_i8 v174, v177, v3
	v_dot4c_i32_i8 v174, v178, v4
	;; [unrolled: 1-line block ×3, first 2 shown]
	v_mad_u64_u32 v[173:174], null, v174, v208, v[173:174]
	v_mad_u64_u32 v[174:175], null, v216, v207, v[172:173]
	v_mul_f32_e32 v175, v179, v7
	v_cvt_f32_i32_e32 v173, v173
	v_mul_f32_e32 v172, v179, v6
	v_fma_f32 v30, v175, v173, v30
	v_mov_b32_e32 v173, 0
	v_cvt_f32_i32_e32 v174, v174
	v_dot4c_i32_i8 v173, v183, v212
	v_fmac_f32_e32 v29, v172, v174
	v_mov_b32_e32 v174, 0
	v_mul_lo_u32 v172, v219, v209
	v_dot4c_i32_i8 v173, v184, v213
	v_dot4c_i32_i8 v174, v181, v2
	;; [unrolled: 1-line block ×6, first 2 shown]
	v_mul_lo_u32 v173, v173, v206
	v_dot4c_i32_i8 v174, v189, v5
	v_mad_u64_u32 v[173:174], null, v174, v209, v[173:174]
	v_mad_u64_u32 v[174:175], null, v218, v206, v[172:173]
	v_mul_f32_e32 v175, v188, v7
	v_cvt_f32_i32_e32 v173, v173
	v_mul_f32_e32 v172, v188, v6
	v_fma_f32 v32, v175, v173, v32
	v_mov_b32_e32 v173, 0
	v_cvt_f32_i32_e32 v174, v174
	v_dot4c_i32_i8 v173, v190, v212
	v_fmac_f32_e32 v31, v172, v174
	v_mov_b32_e32 v174, 0
	v_mul_lo_u32 v172, v221, v211
	v_dot4c_i32_i8 v173, v191, v213
	v_dot4c_i32_i8 v174, v194, v2
	;; [unrolled: 1-line block ×6, first 2 shown]
	v_mul_lo_u32 v173, v173, v210
	v_dot4c_i32_i8 v174, v198, v5
	v_mad_u64_u32 v[173:174], null, v174, v211, v[173:174]
	v_mad_u64_u32 v[174:175], null, v220, v210, v[172:173]
	v_mul_f32_e32 v172, v197, v6
	v_mul_f32_e32 v175, v197, v7
	v_cvt_f32_i32_e32 v173, v173
	v_cvt_f32_i32_e32 v174, v174
	v_fma_f32 v34, v175, v173, v34
	v_mov_b32_e32 v173, 0
	v_fmac_f32_e32 v33, v172, v174
	v_mov_b32_e32 v172, 0
	v_dot4c_i32_i8 v173, v64, v2
	v_dot4c_i32_i8 v172, v202, v212
	;; [unrolled: 1-line block ×3, first 2 shown]
                                        ; kill: def $vgpr3 killed $sgpr0 killed $exec
	s_add_i32 s0, s0, 2
	s_cmp_lt_u32 s11, 22
	v_dot4c_i32_i8 v172, v203, v213
	v_dot4c_i32_i8 v173, v200, v4
	v_mul_lo_u32 v4, v62, v9
	v_dot4c_i32_i8 v172, v204, v214
	v_dot4c_i32_i8 v173, v201, v5
	;; [unrolled: 1-line block ×3, first 2 shown]
	v_mul_lo_u32 v2, v172, v8
	v_mad_u64_u32 v[2:3], null, v173, v9, v[2:3]
	v_mad_u64_u32 v[3:4], null, v61, v8, v[4:5]
	v_mul_f32_e32 v4, v63, v6
	v_mul_f32_e32 v5, v63, v7
	v_cvt_f32_i32_e32 v2, v2
	v_cvt_f32_i32_e32 v3, v3
	v_fma_f32 v36, v5, v2, v36
	v_fmac_f32_e32 v35, v4, v3
	s_cbranch_scc1 .LBB150_12
; %bb.13:                               ;   in Loop: Header=BB150_6 Depth=1
	v_add_nc_u32_e32 v170, s9, v128
	v_add_nc_u32_e32 v63, 12, v168
	s_barrier
	buffer_gl0_inv
	v_add_nc_u32_e32 v2, v170, v109
	v_add_nc_u32_e32 v4, v170, v111
	;; [unrolled: 1-line block ×5, first 2 shown]
	v_mad_u64_u32 v[63:64], null, v63, 36, s[2:3]
	v_mad_i64_i32 v[2:3], null, v2, 36, v[37:38]
	v_add_nc_u32_e32 v168, v170, v115
	v_mad_i64_i32 v[4:5], null, v4, 36, v[37:38]
	v_add_nc_u32_e32 v172, v170, v116
	;; [unrolled: 2-line block ×3, first 2 shown]
	v_mad_i64_i32 v[8:9], null, v8, 36, v[37:38]
	v_mad_i64_i32 v[61:62], null, v61, 36, v[37:38]
	;; [unrolled: 1-line block ×5, first 2 shown]
	s_clause 0x8
	global_load_dword v63, v[63:64], off
	global_load_dword v2, v[2:3], off offset:4
	global_load_dword v3, v[4:5], off offset:4
	;; [unrolled: 1-line block ×8, first 2 shown]
	v_mov_b32_e32 v168, v138
	v_mov_b32_e32 v170, v137
	s_mov_b32 s0, 24
	s_mov_b32 s16, 22
	;; [unrolled: 1-line block ×3, first 2 shown]
	s_waitcnt vmcnt(8)
	v_cvt_f32_f16_e32 v61, v63
	s_waitcnt vmcnt(7)
	ds_write_b32 v169, v2
	s_waitcnt vmcnt(6)
	ds_write_b32 v152, v3
	;; [unrolled: 2-line block ×8, first 2 shown]
	ds_write_b32 v108, v61
	s_waitcnt lgkmcnt(0)
	s_barrier
	buffer_gl0_inv
.LBB150_14:                             ;   Parent Loop BB150_6 Depth=1
                                        ; =>  This Inner Loop Header: Depth=2
	s_add_i32 s9, s16, 2
	ds_read2_b32 v[61:62], v170 offset1:32
	ds_read_b128 v[6:9], v168
	ds_read_b128 v[2:5], v168 offset:16
	s_lshr_b32 s17, s9, 4
	s_and_b32 s18, s9, 0x3ffffff8
	s_sub_i32 s11, s16, 22
	v_lshl_add_u32 v198, s18, 2, v118
	s_lshl_b32 s18, s17, 5
	s_lshl_b32 s17, s17, 2
	s_addk_i32 s18, 0x4200
	s_add_i32 s17, s17, 0x9380
	v_add3_u32 v176, s18, v165, v119
	ds_read2_b32 v[63:64], v198 offset1:1
	v_add3_u32 v184, s18, v159, v120
	v_add3_u32 v194, s18, v161, v122
	;; [unrolled: 1-line block ×3, first 2 shown]
	ds_read2_b32 v[171:172], v176 offset1:1
	v_mov_b32_e32 v204, 0
	v_mov_b32_e32 v207, 0
	;; [unrolled: 1-line block ×6, first 2 shown]
	s_and_b32 s19, s0, -16
	v_mov_b32_e32 v220, 0
	s_add_i32 s16, s16, s19
	v_mov_b32_e32 v221, 0
	v_add_nc_u32_e32 v205, s16, v129
	v_add_nc_u32_e32 v209, s16, v130
	;; [unrolled: 1-line block ×3, first 2 shown]
	v_mov_b32_e32 v222, 0
	s_waitcnt lgkmcnt(1)
	v_ashrrev_i32_e32 v63, s11, v63
	s_waitcnt lgkmcnt(0)
	v_ashrrev_i32_e32 v171, s1, v171
	v_and_b32_e32 v169, 0x3030303, v63
	v_bfe_u32 v63, v63, 24, 2
	v_ashrrev_i32_e32 v172, s1, v172
	v_lshlrev_b32_e32 v171, 2, v171
	v_lshrrev_b16 v174, 8, v169
	v_lshrrev_b32_e32 v173, 16, v169
	v_lshlrev_b32_e32 v172, 2, v172
	v_and_b32_e32 v171, 0x4040404, v171
	v_and_b32_e32 v172, 0x4040404, v172
	v_lshrrev_b16 v178, 8, v171
	v_lshrrev_b32_e32 v175, 16, v171
	v_lshrrev_b32_e32 v177, 24, v171
	v_sub_nc_u16 v169, v169, v171
	v_sub_nc_u16 v171, v174, v178
	v_lshrrev_b32_e32 v174, 16, v172
	v_sub_nc_u16 v63, v63, v177
	v_lshrrev_b16 v177, 8, v172
	v_lshlrev_b16 v171, 8, v171
	v_lshlrev_b16 v63, 8, v63
	v_or_b32_sdwa v169, v169, v171 dst_sel:DWORD dst_unused:UNUSED_PAD src0_sel:BYTE_0 src1_sel:DWORD
	v_sub_nc_u16 v171, v173, v175
	v_lshrrev_b32_e32 v175, 24, v172
	v_or_b32_sdwa v63, v171, v63 dst_sel:WORD_1 dst_unused:UNUSED_PAD src0_sel:BYTE_0 src1_sel:DWORD
	v_or_b32_sdwa v169, v169, v63 dst_sel:DWORD dst_unused:UNUSED_PAD src0_sel:WORD_0 src1_sel:DWORD
	v_ashrrev_i32_e32 v63, s11, v64
	v_dot4c_i32_i8 v204, v169, v6
	v_and_b32_e32 v64, 0x3030303, v63
	v_bfe_u32 v63, v63, 24, 2
	v_lshrrev_b16 v173, 8, v64
	v_lshrrev_b32_e32 v171, 16, v64
	v_sub_nc_u16 v64, v64, v172
	v_sub_nc_u16 v63, v63, v175
	;; [unrolled: 1-line block ×4, first 2 shown]
	v_lshlrev_b16 v63, 8, v63
	v_lshlrev_b16 v172, 8, v172
	v_or_b32_sdwa v63, v171, v63 dst_sel:WORD_1 dst_unused:UNUSED_PAD src0_sel:BYTE_0 src1_sel:DWORD
	v_or_b32_sdwa v64, v64, v172 dst_sel:DWORD dst_unused:UNUSED_PAD src0_sel:BYTE_0 src1_sel:DWORD
	ds_read2_b32 v[172:173], v176 offset0:2 offset1:3
	v_or_b32_sdwa v171, v64, v63 dst_sel:DWORD dst_unused:UNUSED_PAD src0_sel:WORD_0 src1_sel:DWORD
	ds_read2_b32 v[63:64], v198 offset0:2 offset1:3
	v_dot4c_i32_i8 v204, v171, v7
	s_waitcnt lgkmcnt(1)
	v_ashrrev_i32_e32 v172, s1, v172
	v_ashrrev_i32_e32 v173, s1, v173
	s_waitcnt lgkmcnt(0)
	v_ashrrev_i32_e32 v63, s11, v63
	v_lshlrev_b32_e32 v172, 2, v172
	v_lshlrev_b32_e32 v173, 2, v173
	v_and_b32_e32 v174, 0x3030303, v63
	v_and_b32_e32 v172, 0x4040404, v172
	v_bfe_u32 v63, v63, 24, 2
	v_and_b32_e32 v173, 0x4040404, v173
	v_lshrrev_b16 v177, 8, v174
	v_lshrrev_b16 v180, 8, v172
	v_lshrrev_b32_e32 v175, 16, v174
	v_lshrrev_b32_e32 v178, 16, v172
	;; [unrolled: 1-line block ×3, first 2 shown]
	v_sub_nc_u16 v172, v174, v172
	v_sub_nc_u16 v174, v177, v180
	v_lshrrev_b32_e32 v177, 16, v173
	v_sub_nc_u16 v63, v63, v179
	v_lshrrev_b16 v179, 8, v173
	v_lshlrev_b16 v174, 8, v174
	v_lshlrev_b16 v63, 8, v63
	v_or_b32_sdwa v172, v172, v174 dst_sel:DWORD dst_unused:UNUSED_PAD src0_sel:BYTE_0 src1_sel:DWORD
	v_sub_nc_u16 v174, v175, v178
	v_lshrrev_b32_e32 v178, 24, v173
	v_or_b32_sdwa v63, v174, v63 dst_sel:WORD_1 dst_unused:UNUSED_PAD src0_sel:BYTE_0 src1_sel:DWORD
	v_or_b32_sdwa v172, v172, v63 dst_sel:DWORD dst_unused:UNUSED_PAD src0_sel:WORD_0 src1_sel:DWORD
	v_ashrrev_i32_e32 v63, s11, v64
	v_dot4c_i32_i8 v204, v172, v8
	v_and_b32_e32 v64, 0x3030303, v63
	v_bfe_u32 v63, v63, 24, 2
	v_lshrrev_b16 v175, 8, v64
	v_lshrrev_b32_e32 v174, 16, v64
	v_sub_nc_u16 v64, v64, v173
	v_sub_nc_u16 v63, v63, v178
	;; [unrolled: 1-line block ×3, first 2 shown]
	v_lshlrev_b16 v63, 8, v63
	v_lshlrev_b16 v173, 8, v173
	v_or_b32_sdwa v64, v64, v173 dst_sel:DWORD dst_unused:UNUSED_PAD src0_sel:BYTE_0 src1_sel:DWORD
	v_sub_nc_u16 v173, v174, v177
	ds_read2_b32 v[174:175], v176 offset0:4 offset1:5
	v_or_b32_sdwa v63, v173, v63 dst_sel:WORD_1 dst_unused:UNUSED_PAD src0_sel:BYTE_0 src1_sel:DWORD
	v_or_b32_sdwa v173, v64, v63 dst_sel:DWORD dst_unused:UNUSED_PAD src0_sel:WORD_0 src1_sel:DWORD
	ds_read2_b32 v[63:64], v198 offset0:4 offset1:5
	v_dot4c_i32_i8 v204, v173, v9
	s_waitcnt lgkmcnt(1)
	v_ashrrev_i32_e32 v174, s1, v174
	v_ashrrev_i32_e32 v175, s1, v175
	v_lshlrev_b32_e32 v174, 2, v174
	v_lshlrev_b32_e32 v175, 2, v175
	s_waitcnt lgkmcnt(0)
	v_ashrrev_i32_e32 v63, s11, v63
	v_and_b32_e32 v174, 0x4040404, v174
	v_and_b32_e32 v175, 0x4040404, v175
	;; [unrolled: 1-line block ×3, first 2 shown]
	v_bfe_u32 v63, v63, 24, 2
	v_lshrrev_b16 v182, 8, v174
	v_lshrrev_b32_e32 v180, 16, v174
	v_lshrrev_b32_e32 v181, 24, v174
	v_lshrrev_b16 v179, 8, v177
	v_lshrrev_b32_e32 v178, 16, v177
	v_sub_nc_u16 v174, v177, v174
	v_sub_nc_u16 v63, v63, v181
	;; [unrolled: 1-line block ×3, first 2 shown]
	v_lshrrev_b16 v181, 8, v175
	v_lshrrev_b32_e32 v179, 16, v175
	v_lshlrev_b16 v63, 8, v63
	v_lshlrev_b16 v177, 8, v177
	v_or_b32_sdwa v174, v174, v177 dst_sel:DWORD dst_unused:UNUSED_PAD src0_sel:BYTE_0 src1_sel:DWORD
	v_sub_nc_u16 v177, v178, v180
	v_lshrrev_b32_e32 v180, 24, v175
	v_or_b32_sdwa v63, v177, v63 dst_sel:WORD_1 dst_unused:UNUSED_PAD src0_sel:BYTE_0 src1_sel:DWORD
	v_or_b32_sdwa v174, v174, v63 dst_sel:DWORD dst_unused:UNUSED_PAD src0_sel:WORD_0 src1_sel:DWORD
	v_ashrrev_i32_e32 v63, s11, v64
	v_dot4c_i32_i8 v207, v174, v2
	v_and_b32_e32 v64, 0x3030303, v63
	v_bfe_u32 v63, v63, 24, 2
	v_lshrrev_b16 v178, 8, v64
	v_lshrrev_b32_e32 v177, 16, v64
	v_sub_nc_u16 v64, v64, v175
	v_sub_nc_u16 v63, v63, v180
	;; [unrolled: 1-line block ×3, first 2 shown]
	v_lshlrev_b16 v63, 8, v63
	v_lshlrev_b16 v175, 8, v175
	v_or_b32_sdwa v64, v64, v175 dst_sel:DWORD dst_unused:UNUSED_PAD src0_sel:BYTE_0 src1_sel:DWORD
	v_sub_nc_u16 v175, v177, v179
	ds_read2_b32 v[176:177], v176 offset0:6 offset1:7
	v_or_b32_sdwa v63, v175, v63 dst_sel:WORD_1 dst_unused:UNUSED_PAD src0_sel:BYTE_0 src1_sel:DWORD
	v_or_b32_sdwa v175, v64, v63 dst_sel:DWORD dst_unused:UNUSED_PAD src0_sel:WORD_0 src1_sel:DWORD
	ds_read2_b32 v[63:64], v198 offset0:6 offset1:7
	v_dot4c_i32_i8 v207, v175, v3
	s_waitcnt lgkmcnt(1)
	v_ashrrev_i32_e32 v176, s1, v176
	v_ashrrev_i32_e32 v177, s1, v177
	v_lshlrev_b32_e32 v176, 2, v176
	v_lshlrev_b32_e32 v177, 2, v177
	s_waitcnt lgkmcnt(0)
	v_ashrrev_i32_e32 v63, s11, v63
	v_and_b32_e32 v176, 0x4040404, v176
	v_and_b32_e32 v177, 0x4040404, v177
	;; [unrolled: 1-line block ×3, first 2 shown]
	v_bfe_u32 v63, v63, 24, 2
	v_lshrrev_b16 v183, 8, v176
	v_lshrrev_b32_e32 v181, 16, v176
	v_lshrrev_b32_e32 v182, 24, v176
	v_lshrrev_b16 v180, 8, v178
	v_lshrrev_b32_e32 v179, 16, v178
	v_sub_nc_u16 v176, v178, v176
	v_sub_nc_u16 v63, v63, v182
	;; [unrolled: 1-line block ×3, first 2 shown]
	v_lshrrev_b16 v182, 8, v177
	v_lshrrev_b32_e32 v180, 16, v177
	v_lshlrev_b16 v63, 8, v63
	v_lshlrev_b16 v178, 8, v178
	v_or_b32_sdwa v176, v176, v178 dst_sel:DWORD dst_unused:UNUSED_PAD src0_sel:BYTE_0 src1_sel:DWORD
	v_sub_nc_u16 v178, v179, v181
	v_lshrrev_b32_e32 v181, 24, v177
	v_or_b32_sdwa v63, v178, v63 dst_sel:WORD_1 dst_unused:UNUSED_PAD src0_sel:BYTE_0 src1_sel:DWORD
	v_or_b32_sdwa v176, v176, v63 dst_sel:DWORD dst_unused:UNUSED_PAD src0_sel:WORD_0 src1_sel:DWORD
	v_ashrrev_i32_e32 v63, s11, v64
	v_dot4c_i32_i8 v207, v176, v4
	v_and_b32_e32 v64, 0x3030303, v63
	v_bfe_u32 v63, v63, 24, 2
	v_lshrrev_b16 v179, 8, v64
	v_lshrrev_b32_e32 v178, 16, v64
	v_sub_nc_u16 v64, v64, v177
	v_sub_nc_u16 v63, v63, v181
	;; [unrolled: 1-line block ×3, first 2 shown]
	v_lshlrev_b16 v63, 8, v63
	v_lshlrev_b16 v177, 8, v177
	v_or_b32_sdwa v64, v64, v177 dst_sel:DWORD dst_unused:UNUSED_PAD src0_sel:BYTE_0 src1_sel:DWORD
	v_sub_nc_u16 v177, v178, v180
	ds_read2_b32 v[179:180], v184 offset1:1
	v_or_b32_sdwa v63, v177, v63 dst_sel:WORD_1 dst_unused:UNUSED_PAD src0_sel:BYTE_0 src1_sel:DWORD
	v_or_b32_sdwa v178, v64, v63 dst_sel:DWORD dst_unused:UNUSED_PAD src0_sel:WORD_0 src1_sel:DWORD
	v_add3_u32 v63, s17, v166, v167
	v_dot4c_i32_i8 v207, v178, v5
	ds_read_b32 v177, v63
	v_add_nc_u32_e32 v63, 0x1080, v198
	s_waitcnt lgkmcnt(1)
	v_ashrrev_i32_e32 v179, s1, v179
	ds_read2_b32 v[63:64], v63 offset1:1
	v_ashrrev_i32_e32 v180, s1, v180
	v_lshlrev_b32_e32 v179, 2, v179
	v_lshlrev_b32_e32 v180, 2, v180
	v_and_b32_e32 v179, 0x4040404, v179
	v_and_b32_e32 v180, 0x4040404, v180
	v_lshrrev_b16 v187, 8, v179
	v_lshrrev_b32_e32 v185, 16, v179
	v_lshrrev_b32_e32 v186, 24, v179
	s_waitcnt lgkmcnt(0)
	v_ashrrev_i32_e32 v63, s11, v63
	v_and_b32_e32 v181, 0x3030303, v63
	v_bfe_u32 v63, v63, 24, 2
	v_lshrrev_b16 v183, 8, v181
	v_lshrrev_b32_e32 v182, 16, v181
	v_sub_nc_u16 v179, v181, v179
	v_sub_nc_u16 v63, v63, v186
	v_lshrrev_b16 v186, 8, v180
	v_sub_nc_u16 v181, v183, v187
	v_lshrrev_b32_e32 v183, 16, v180
	v_lshlrev_b16 v63, 8, v63
	v_lshlrev_b16 v181, 8, v181
	v_or_b32_sdwa v179, v179, v181 dst_sel:DWORD dst_unused:UNUSED_PAD src0_sel:BYTE_0 src1_sel:DWORD
	v_sub_nc_u16 v181, v182, v185
	v_lshrrev_b32_e32 v185, 24, v180
	v_or_b32_sdwa v63, v181, v63 dst_sel:WORD_1 dst_unused:UNUSED_PAD src0_sel:BYTE_0 src1_sel:DWORD
	v_or_b32_sdwa v181, v179, v63 dst_sel:DWORD dst_unused:UNUSED_PAD src0_sel:WORD_0 src1_sel:DWORD
	v_ashrrev_i32_e32 v63, s11, v64
	v_dot4c_i32_i8 v208, v181, v6
	v_and_b32_e32 v64, 0x3030303, v63
	v_bfe_u32 v63, v63, 24, 2
	v_lshrrev_b16 v182, 8, v64
	v_lshrrev_b32_e32 v179, 16, v64
	v_sub_nc_u16 v64, v64, v180
	v_sub_nc_u16 v63, v63, v185
	;; [unrolled: 1-line block ×4, first 2 shown]
	v_lshlrev_b16 v63, 8, v63
	v_lshlrev_b16 v180, 8, v180
	v_or_b32_sdwa v63, v179, v63 dst_sel:WORD_1 dst_unused:UNUSED_PAD src0_sel:BYTE_0 src1_sel:DWORD
	v_or_b32_sdwa v64, v64, v180 dst_sel:DWORD dst_unused:UNUSED_PAD src0_sel:BYTE_0 src1_sel:DWORD
	ds_read2_b32 v[179:180], v184 offset0:2 offset1:3
	v_or_b32_sdwa v182, v64, v63 dst_sel:DWORD dst_unused:UNUSED_PAD src0_sel:WORD_0 src1_sel:DWORD
	v_add_nc_u32_e32 v63, 0x1088, v198
	v_dot4c_i32_i8 v208, v182, v7
	ds_read2_b32 v[63:64], v63 offset1:1
	s_waitcnt lgkmcnt(1)
	v_ashrrev_i32_e32 v179, s1, v179
	v_ashrrev_i32_e32 v180, s1, v180
	v_lshlrev_b32_e32 v179, 2, v179
	v_lshlrev_b32_e32 v180, 2, v180
	s_waitcnt lgkmcnt(0)
	v_ashrrev_i32_e32 v63, s11, v63
	v_and_b32_e32 v179, 0x4040404, v179
	v_and_b32_e32 v180, 0x4040404, v180
	;; [unrolled: 1-line block ×3, first 2 shown]
	v_bfe_u32 v63, v63, 24, 2
	v_lshrrev_b16 v189, 8, v179
	v_lshrrev_b32_e32 v187, 16, v179
	v_lshrrev_b32_e32 v188, 24, v179
	v_lshrrev_b16 v186, 8, v183
	v_lshrrev_b32_e32 v185, 16, v183
	v_sub_nc_u16 v179, v183, v179
	v_sub_nc_u16 v63, v63, v188
	;; [unrolled: 1-line block ×3, first 2 shown]
	v_lshrrev_b16 v188, 8, v180
	v_lshrrev_b32_e32 v186, 16, v180
	v_lshlrev_b16 v63, 8, v63
	v_lshlrev_b16 v183, 8, v183
	v_or_b32_sdwa v179, v179, v183 dst_sel:DWORD dst_unused:UNUSED_PAD src0_sel:BYTE_0 src1_sel:DWORD
	v_sub_nc_u16 v183, v185, v187
	v_lshrrev_b32_e32 v187, 24, v180
	v_or_b32_sdwa v63, v183, v63 dst_sel:WORD_1 dst_unused:UNUSED_PAD src0_sel:BYTE_0 src1_sel:DWORD
	v_or_b32_sdwa v183, v179, v63 dst_sel:DWORD dst_unused:UNUSED_PAD src0_sel:WORD_0 src1_sel:DWORD
	v_ashrrev_i32_e32 v63, s11, v64
	v_dot4c_i32_i8 v208, v183, v8
	v_and_b32_e32 v64, 0x3030303, v63
	v_bfe_u32 v63, v63, 24, 2
	v_lshrrev_b16 v185, 8, v64
	v_lshrrev_b32_e32 v179, 16, v64
	v_sub_nc_u16 v64, v64, v180
	v_sub_nc_u16 v63, v63, v187
	;; [unrolled: 1-line block ×4, first 2 shown]
	v_lshlrev_b16 v63, 8, v63
	v_lshlrev_b16 v180, 8, v180
	v_or_b32_sdwa v63, v179, v63 dst_sel:WORD_1 dst_unused:UNUSED_PAD src0_sel:BYTE_0 src1_sel:DWORD
	v_or_b32_sdwa v64, v64, v180 dst_sel:DWORD dst_unused:UNUSED_PAD src0_sel:BYTE_0 src1_sel:DWORD
	ds_read2_b32 v[179:180], v184 offset0:4 offset1:5
	v_or_b32_sdwa v185, v64, v63 dst_sel:DWORD dst_unused:UNUSED_PAD src0_sel:WORD_0 src1_sel:DWORD
	v_add_nc_u32_e32 v63, 0x1090, v198
	v_dot4c_i32_i8 v208, v185, v9
	ds_read2_b32 v[63:64], v63 offset1:1
	s_waitcnt lgkmcnt(1)
	v_ashrrev_i32_e32 v179, s1, v179
	v_ashrrev_i32_e32 v180, s1, v180
	v_lshlrev_b32_e32 v179, 2, v179
	v_lshlrev_b32_e32 v180, 2, v180
	s_waitcnt lgkmcnt(0)
	v_ashrrev_i32_e32 v63, s11, v63
	v_and_b32_e32 v179, 0x4040404, v179
	v_and_b32_e32 v180, 0x4040404, v180
	;; [unrolled: 1-line block ×3, first 2 shown]
	v_bfe_u32 v63, v63, 24, 2
	v_lshrrev_b16 v191, 8, v179
	v_lshrrev_b32_e32 v189, 16, v179
	v_lshrrev_b32_e32 v190, 24, v179
	v_lshrrev_b16 v188, 8, v186
	v_lshrrev_b32_e32 v187, 16, v186
	v_sub_nc_u16 v179, v186, v179
	v_sub_nc_u16 v63, v63, v190
	;; [unrolled: 1-line block ×3, first 2 shown]
	v_lshrrev_b16 v190, 8, v180
	v_lshrrev_b32_e32 v188, 16, v180
	v_lshlrev_b16 v63, 8, v63
	v_lshlrev_b16 v186, 8, v186
	v_or_b32_sdwa v179, v179, v186 dst_sel:DWORD dst_unused:UNUSED_PAD src0_sel:BYTE_0 src1_sel:DWORD
	v_sub_nc_u16 v186, v187, v189
	v_lshrrev_b32_e32 v189, 24, v180
	v_or_b32_sdwa v63, v186, v63 dst_sel:WORD_1 dst_unused:UNUSED_PAD src0_sel:BYTE_0 src1_sel:DWORD
	v_or_b32_sdwa v179, v179, v63 dst_sel:DWORD dst_unused:UNUSED_PAD src0_sel:WORD_0 src1_sel:DWORD
	v_ashrrev_i32_e32 v63, s11, v64
	v_dot4c_i32_i8 v210, v179, v2
	v_and_b32_e32 v64, 0x3030303, v63
	v_bfe_u32 v63, v63, 24, 2
	v_lshrrev_b16 v187, 8, v64
	v_lshrrev_b32_e32 v186, 16, v64
	v_sub_nc_u16 v64, v64, v180
	v_sub_nc_u16 v63, v63, v189
	;; [unrolled: 1-line block ×3, first 2 shown]
	v_lshlrev_b16 v63, 8, v63
	v_lshlrev_b16 v180, 8, v180
	v_or_b32_sdwa v64, v64, v180 dst_sel:DWORD dst_unused:UNUSED_PAD src0_sel:BYTE_0 src1_sel:DWORD
	v_sub_nc_u16 v180, v186, v188
	ds_read2_b32 v[186:187], v184 offset0:6 offset1:7
	v_or_b32_sdwa v63, v180, v63 dst_sel:WORD_1 dst_unused:UNUSED_PAD src0_sel:BYTE_0 src1_sel:DWORD
	v_or_b32_sdwa v180, v64, v63 dst_sel:DWORD dst_unused:UNUSED_PAD src0_sel:WORD_0 src1_sel:DWORD
	v_add_nc_u32_e32 v63, 0x1098, v198
	v_dot4c_i32_i8 v210, v180, v3
	ds_read2_b32 v[63:64], v63 offset1:1
	s_waitcnt lgkmcnt(1)
	v_ashrrev_i32_e32 v184, s1, v186
	v_ashrrev_i32_e32 v187, s1, v187
	v_lshlrev_b32_e32 v184, 2, v184
	v_lshlrev_b32_e32 v187, 2, v187
	v_and_b32_e32 v184, 0x4040404, v184
	v_and_b32_e32 v187, 0x4040404, v187
	s_waitcnt lgkmcnt(0)
	v_ashrrev_i32_e32 v63, s11, v63
	v_lshrrev_b32_e32 v191, 24, v184
	v_lshrrev_b16 v192, 8, v184
	v_lshrrev_b32_e32 v186, 16, v184
	v_and_b32_e32 v188, 0x3030303, v63
	v_bfe_u32 v63, v63, 24, 2
	v_lshrrev_b16 v190, 8, v188
	v_lshrrev_b32_e32 v189, 16, v188
	v_sub_nc_u16 v184, v188, v184
	v_sub_nc_u16 v63, v63, v191
	v_lshrrev_b16 v191, 8, v187
	v_sub_nc_u16 v188, v190, v192
	v_sub_nc_u16 v186, v189, v186
	v_lshrrev_b32_e32 v190, 24, v187
	v_lshrrev_b32_e32 v189, 16, v187
	v_lshlrev_b16 v63, 8, v63
	v_lshlrev_b16 v188, 8, v188
	v_or_b32_sdwa v63, v186, v63 dst_sel:WORD_1 dst_unused:UNUSED_PAD src0_sel:BYTE_0 src1_sel:DWORD
	v_or_b32_sdwa v184, v184, v188 dst_sel:DWORD dst_unused:UNUSED_PAD src0_sel:BYTE_0 src1_sel:DWORD
	v_or_b32_sdwa v184, v184, v63 dst_sel:DWORD dst_unused:UNUSED_PAD src0_sel:WORD_0 src1_sel:DWORD
	v_ashrrev_i32_e32 v63, s11, v64
	v_dot4c_i32_i8 v210, v184, v4
	v_and_b32_e32 v64, 0x3030303, v63
	v_bfe_u32 v63, v63, 24, 2
	v_lshrrev_b16 v188, 8, v64
	v_lshrrev_b32_e32 v186, 16, v64
	v_sub_nc_u16 v64, v64, v187
	v_sub_nc_u16 v63, v63, v190
	;; [unrolled: 1-line block ×4, first 2 shown]
	ds_read2_b32 v[188:189], v194 offset1:1
	v_lshlrev_b16 v63, 8, v63
	v_lshlrev_b16 v187, 8, v187
	v_or_b32_sdwa v63, v186, v63 dst_sel:WORD_1 dst_unused:UNUSED_PAD src0_sel:BYTE_0 src1_sel:DWORD
	v_or_b32_sdwa v64, v64, v187 dst_sel:DWORD dst_unused:UNUSED_PAD src0_sel:BYTE_0 src1_sel:DWORD
	v_or_b32_sdwa v187, v64, v63 dst_sel:DWORD dst_unused:UNUSED_PAD src0_sel:WORD_0 src1_sel:DWORD
	v_add3_u32 v63, s17, v160, v121
	v_dot4c_i32_i8 v210, v187, v5
	ds_read_b32 v186, v63
	v_add_nc_u32_e32 v63, 0x2100, v198
	s_waitcnt lgkmcnt(1)
	v_ashrrev_i32_e32 v188, s1, v188
	v_ashrrev_i32_e32 v189, s1, v189
	ds_read2_b32 v[63:64], v63 offset1:1
	v_lshlrev_b32_e32 v188, 2, v188
	v_lshlrev_b32_e32 v189, 2, v189
	v_and_b32_e32 v188, 0x4040404, v188
	v_and_b32_e32 v189, 0x4040404, v189
	v_lshrrev_b16 v196, 8, v188
	v_lshrrev_b32_e32 v193, 16, v188
	v_lshrrev_b32_e32 v195, 24, v188
	s_waitcnt lgkmcnt(0)
	v_ashrrev_i32_e32 v63, s11, v63
	v_and_b32_e32 v190, 0x3030303, v63
	v_bfe_u32 v63, v63, 24, 2
	v_lshrrev_b16 v192, 8, v190
	v_lshrrev_b32_e32 v191, 16, v190
	v_sub_nc_u16 v188, v190, v188
	v_sub_nc_u16 v63, v63, v195
	v_lshrrev_b16 v195, 8, v189
	v_sub_nc_u16 v190, v192, v196
	v_lshrrev_b32_e32 v192, 16, v189
	v_lshlrev_b16 v63, 8, v63
	v_lshlrev_b16 v190, 8, v190
	v_or_b32_sdwa v188, v188, v190 dst_sel:DWORD dst_unused:UNUSED_PAD src0_sel:BYTE_0 src1_sel:DWORD
	v_sub_nc_u16 v190, v191, v193
	v_lshrrev_b32_e32 v193, 24, v189
	v_or_b32_sdwa v63, v190, v63 dst_sel:WORD_1 dst_unused:UNUSED_PAD src0_sel:BYTE_0 src1_sel:DWORD
	v_or_b32_sdwa v188, v188, v63 dst_sel:DWORD dst_unused:UNUSED_PAD src0_sel:WORD_0 src1_sel:DWORD
	v_ashrrev_i32_e32 v63, s11, v64
	v_dot4c_i32_i8 v211, v188, v6
	v_and_b32_e32 v64, 0x3030303, v63
	v_bfe_u32 v63, v63, 24, 2
	v_lshrrev_b16 v191, 8, v64
	v_lshrrev_b32_e32 v190, 16, v64
	v_sub_nc_u16 v64, v64, v189
	v_sub_nc_u16 v63, v63, v193
	v_sub_nc_u16 v189, v191, v195
	v_lshlrev_b16 v63, 8, v63
	v_lshlrev_b16 v189, 8, v189
	v_or_b32_sdwa v64, v64, v189 dst_sel:DWORD dst_unused:UNUSED_PAD src0_sel:BYTE_0 src1_sel:DWORD
	v_sub_nc_u16 v189, v190, v192
	ds_read2_b32 v[190:191], v194 offset0:2 offset1:3
	v_or_b32_sdwa v63, v189, v63 dst_sel:WORD_1 dst_unused:UNUSED_PAD src0_sel:BYTE_0 src1_sel:DWORD
	v_or_b32_sdwa v189, v64, v63 dst_sel:DWORD dst_unused:UNUSED_PAD src0_sel:WORD_0 src1_sel:DWORD
	v_add_nc_u32_e32 v63, 0x2108, v198
	v_dot4c_i32_i8 v211, v189, v7
	ds_read2_b32 v[63:64], v63 offset1:1
	s_waitcnt lgkmcnt(1)
	v_ashrrev_i32_e32 v190, s1, v190
	v_ashrrev_i32_e32 v191, s1, v191
	v_lshlrev_b32_e32 v190, 2, v190
	v_lshlrev_b32_e32 v191, 2, v191
	v_and_b32_e32 v190, 0x4040404, v190
	v_and_b32_e32 v191, 0x4040404, v191
	s_waitcnt lgkmcnt(0)
	v_ashrrev_i32_e32 v63, s11, v63
	v_lshrrev_b16 v199, 8, v190
	v_lshrrev_b32_e32 v196, 16, v190
	v_lshrrev_b32_e32 v197, 24, v190
	v_and_b32_e32 v192, 0x3030303, v63
	v_bfe_u32 v63, v63, 24, 2
	v_lshrrev_b16 v195, 8, v192
	v_lshrrev_b32_e32 v193, 16, v192
	v_sub_nc_u16 v190, v192, v190
	v_sub_nc_u16 v63, v63, v197
	v_lshrrev_b16 v197, 8, v191
	v_sub_nc_u16 v192, v195, v199
	v_lshrrev_b32_e32 v195, 16, v191
	v_lshlrev_b16 v63, 8, v63
	v_lshlrev_b16 v192, 8, v192
	v_or_b32_sdwa v190, v190, v192 dst_sel:DWORD dst_unused:UNUSED_PAD src0_sel:BYTE_0 src1_sel:DWORD
	v_sub_nc_u16 v192, v193, v196
	v_lshrrev_b32_e32 v196, 24, v191
	v_or_b32_sdwa v63, v192, v63 dst_sel:WORD_1 dst_unused:UNUSED_PAD src0_sel:BYTE_0 src1_sel:DWORD
	v_or_b32_sdwa v190, v190, v63 dst_sel:DWORD dst_unused:UNUSED_PAD src0_sel:WORD_0 src1_sel:DWORD
	v_ashrrev_i32_e32 v63, s11, v64
	v_dot4c_i32_i8 v211, v190, v8
	v_and_b32_e32 v64, 0x3030303, v63
	v_bfe_u32 v63, v63, 24, 2
	v_lshrrev_b16 v193, 8, v64
	v_lshrrev_b32_e32 v192, 16, v64
	v_sub_nc_u16 v64, v64, v191
	v_sub_nc_u16 v63, v63, v196
	v_sub_nc_u16 v191, v193, v197
	v_lshlrev_b16 v63, 8, v63
	v_lshlrev_b16 v191, 8, v191
	v_or_b32_sdwa v64, v64, v191 dst_sel:DWORD dst_unused:UNUSED_PAD src0_sel:BYTE_0 src1_sel:DWORD
	v_sub_nc_u16 v191, v192, v195
	ds_read2_b32 v[192:193], v194 offset0:4 offset1:5
	v_or_b32_sdwa v63, v191, v63 dst_sel:WORD_1 dst_unused:UNUSED_PAD src0_sel:BYTE_0 src1_sel:DWORD
	v_or_b32_sdwa v191, v64, v63 dst_sel:DWORD dst_unused:UNUSED_PAD src0_sel:WORD_0 src1_sel:DWORD
	v_add_nc_u32_e32 v63, 0x2110, v198
	v_dot4c_i32_i8 v211, v191, v9
	ds_read2_b32 v[63:64], v63 offset1:1
	s_waitcnt lgkmcnt(1)
	v_ashrrev_i32_e32 v192, s1, v192
	v_ashrrev_i32_e32 v193, s1, v193
	v_lshlrev_b32_e32 v192, 2, v192
	v_lshlrev_b32_e32 v193, 2, v193
	v_and_b32_e32 v192, 0x4040404, v192
	v_and_b32_e32 v193, 0x4040404, v193
	s_waitcnt lgkmcnt(0)
	v_ashrrev_i32_e32 v63, s11, v63
	v_lshrrev_b16 v201, 8, v192
	v_lshrrev_b32_e32 v199, 16, v192
	v_lshrrev_b32_e32 v200, 24, v192
	;; [unrolled: 47-line block ×3, first 2 shown]
	v_and_b32_e32 v196, 0x3030303, v63
	v_bfe_u32 v63, v63, 24, 2
	v_lshrrev_b16 v199, 8, v196
	v_lshrrev_b32_e32 v197, 16, v196
	v_sub_nc_u16 v194, v196, v194
	v_sub_nc_u16 v63, v63, v201
	v_lshrrev_b16 v201, 8, v195
	v_sub_nc_u16 v196, v199, v202
	v_lshrrev_b32_e32 v199, 16, v195
	v_lshlrev_b16 v63, 8, v63
	v_lshlrev_b16 v196, 8, v196
	v_or_b32_sdwa v194, v194, v196 dst_sel:DWORD dst_unused:UNUSED_PAD src0_sel:BYTE_0 src1_sel:DWORD
	v_sub_nc_u16 v196, v197, v200
	v_lshrrev_b32_e32 v200, 24, v195
	v_or_b32_sdwa v63, v196, v63 dst_sel:WORD_1 dst_unused:UNUSED_PAD src0_sel:BYTE_0 src1_sel:DWORD
	v_or_b32_sdwa v194, v194, v63 dst_sel:DWORD dst_unused:UNUSED_PAD src0_sel:WORD_0 src1_sel:DWORD
	v_ashrrev_i32_e32 v63, s11, v64
	v_dot4c_i32_i8 v213, v194, v4
	v_and_b32_e32 v64, 0x3030303, v63
	v_bfe_u32 v63, v63, 24, 2
	v_lshrrev_b16 v197, 8, v64
	v_lshrrev_b32_e32 v196, 16, v64
	v_sub_nc_u16 v64, v64, v195
	v_sub_nc_u16 v63, v63, v200
	;; [unrolled: 1-line block ×3, first 2 shown]
	ds_read2_b32 v[201:202], v206 offset1:1
	v_lshlrev_b16 v63, 8, v63
	v_lshlrev_b16 v195, 8, v195
	v_or_b32_sdwa v64, v64, v195 dst_sel:DWORD dst_unused:UNUSED_PAD src0_sel:BYTE_0 src1_sel:DWORD
	v_sub_nc_u16 v195, v196, v199
	v_or_b32_sdwa v63, v195, v63 dst_sel:WORD_1 dst_unused:UNUSED_PAD src0_sel:BYTE_0 src1_sel:DWORD
	v_or_b32_sdwa v196, v64, v63 dst_sel:DWORD dst_unused:UNUSED_PAD src0_sel:WORD_0 src1_sel:DWORD
	v_add3_u32 v63, s17, v162, v123
	s_waitcnt lgkmcnt(0)
	v_ashrrev_i32_e32 v201, s1, v201
	v_dot4c_i32_i8 v213, v196, v5
	ds_read_b32 v195, v63
	v_add_nc_u32_e32 v63, 0x3180, v198
	v_lshlrev_b32_e32 v201, 2, v201
	ds_read2_b32 v[63:64], v63 offset1:1
	v_and_b32_e32 v201, 0x4040404, v201
	v_lshrrev_b32_e32 v214, 24, v201
	v_lshrrev_b16 v215, 8, v201
	v_lshrrev_b32_e32 v203, 16, v201
	s_waitcnt lgkmcnt(0)
	v_ashrrev_i32_e32 v197, s11, v63
	v_and_b32_e32 v199, 0x3030303, v197
	v_bfe_u32 v197, v197, 24, 2
	v_lshrrev_b16 v200, 8, v199
	v_lshrrev_b32_e32 v63, 16, v199
	v_sub_nc_u16 v197, v197, v214
	v_sub_nc_u16 v199, v199, v201
	v_ashrrev_i32_e32 v201, s1, v202
	v_sub_nc_u16 v200, v200, v215
	v_sub_nc_u16 v63, v63, v203
	v_lshlrev_b16 v197, 8, v197
	v_lshlrev_b32_e32 v201, 2, v201
	v_lshlrev_b16 v200, 8, v200
	v_or_b32_sdwa v63, v63, v197 dst_sel:WORD_1 dst_unused:UNUSED_PAD src0_sel:BYTE_0 src1_sel:DWORD
	v_and_b32_e32 v201, 0x4040404, v201
	v_or_b32_sdwa v199, v199, v200 dst_sel:DWORD dst_unused:UNUSED_PAD src0_sel:BYTE_0 src1_sel:DWORD
	v_lshrrev_b32_e32 v203, 24, v201
	v_or_b32_sdwa v200, v199, v63 dst_sel:DWORD dst_unused:UNUSED_PAD src0_sel:WORD_0 src1_sel:DWORD
	v_ashrrev_i32_e32 v63, s11, v64
	v_lshrrev_b16 v214, 8, v201
	v_lshrrev_b32_e32 v202, 16, v201
	v_and_b32_e32 v64, 0x3030303, v63
	v_bfe_u32 v63, v63, 24, 2
	v_lshrrev_b16 v199, 8, v64
	v_lshrrev_b32_e32 v197, 16, v64
	v_sub_nc_u16 v63, v63, v203
	v_sub_nc_u16 v64, v64, v201
	;; [unrolled: 1-line block ×4, first 2 shown]
	v_lshlrev_b16 v63, 8, v63
	ds_read2_b32 v[202:203], v206 offset0:2 offset1:3
	v_lshlrev_b16 v199, 8, v199
	v_or_b32_sdwa v63, v197, v63 dst_sel:WORD_1 dst_unused:UNUSED_PAD src0_sel:BYTE_0 src1_sel:DWORD
	v_or_b32_sdwa v64, v64, v199 dst_sel:DWORD dst_unused:UNUSED_PAD src0_sel:BYTE_0 src1_sel:DWORD
	v_or_b32_sdwa v201, v64, v63 dst_sel:DWORD dst_unused:UNUSED_PAD src0_sel:WORD_0 src1_sel:DWORD
	v_add_nc_u32_e32 v63, 0x3188, v198
	ds_read2_b32 v[63:64], v63 offset1:1
	s_waitcnt lgkmcnt(1)
	v_ashrrev_i32_e32 v202, s1, v202
	v_ashrrev_i32_e32 v203, s1, v203
	v_lshlrev_b32_e32 v202, 2, v202
	v_lshlrev_b32_e32 v203, 2, v203
	v_and_b32_e32 v202, 0x4040404, v202
	v_and_b32_e32 v203, 0x4040404, v203
	v_lshrrev_b32_e32 v216, 24, v202
	v_lshrrev_b16 v217, 8, v202
	v_lshrrev_b32_e32 v215, 16, v202
	s_waitcnt lgkmcnt(0)
	v_ashrrev_i32_e32 v63, s11, v63
	v_and_b32_e32 v197, 0x3030303, v63
	v_bfe_u32 v63, v63, 24, 2
	v_lshrrev_b16 v214, 8, v197
	v_lshrrev_b32_e32 v199, 16, v197
	v_sub_nc_u16 v197, v197, v202
	v_sub_nc_u16 v63, v63, v216
	v_lshrrev_b16 v216, 8, v203
	v_sub_nc_u16 v202, v214, v217
	v_sub_nc_u16 v199, v199, v215
	v_lshrrev_b32_e32 v215, 24, v203
	v_lshrrev_b32_e32 v214, 16, v203
	v_lshlrev_b16 v63, 8, v63
	v_lshlrev_b16 v202, 8, v202
	v_or_b32_sdwa v63, v199, v63 dst_sel:WORD_1 dst_unused:UNUSED_PAD src0_sel:BYTE_0 src1_sel:DWORD
	v_or_b32_sdwa v197, v197, v202 dst_sel:DWORD dst_unused:UNUSED_PAD src0_sel:BYTE_0 src1_sel:DWORD
	v_or_b32_sdwa v202, v197, v63 dst_sel:DWORD dst_unused:UNUSED_PAD src0_sel:WORD_0 src1_sel:DWORD
	v_ashrrev_i32_e32 v63, s11, v64
	v_and_b32_e32 v64, 0x3030303, v63
	v_bfe_u32 v63, v63, 24, 2
	v_lshrrev_b16 v199, 8, v64
	v_lshrrev_b32_e32 v197, 16, v64
	v_sub_nc_u16 v63, v63, v215
	v_sub_nc_u16 v64, v64, v203
	;; [unrolled: 1-line block ×4, first 2 shown]
	v_lshlrev_b16 v63, 8, v63
	ds_read2_b32 v[216:217], v206 offset0:4 offset1:5
	v_lshlrev_b16 v199, 8, v199
	v_or_b32_sdwa v63, v197, v63 dst_sel:WORD_1 dst_unused:UNUSED_PAD src0_sel:BYTE_0 src1_sel:DWORD
	v_or_b32_sdwa v64, v64, v199 dst_sel:DWORD dst_unused:UNUSED_PAD src0_sel:BYTE_0 src1_sel:DWORD
	v_or_b32_sdwa v203, v64, v63 dst_sel:DWORD dst_unused:UNUSED_PAD src0_sel:WORD_0 src1_sel:DWORD
	v_add_nc_u32_e32 v63, 0x3190, v198
	ds_read2_b32 v[214:215], v63 offset1:1
	s_waitcnt lgkmcnt(0)
	v_ashrrev_i32_e32 v63, s11, v214
	v_ashrrev_i32_e32 v214, s1, v216
	v_and_b32_e32 v64, 0x3030303, v63
	v_lshlrev_b32_e32 v214, 2, v214
	v_bfe_u32 v63, v63, 24, 2
	v_lshrrev_b16 v199, 8, v64
	v_and_b32_e32 v214, 0x4040404, v214
	v_lshrrev_b32_e32 v197, 16, v64
	v_lshrrev_b32_e32 v218, 24, v214
	v_lshrrev_b16 v219, 8, v214
	v_lshrrev_b32_e32 v216, 16, v214
	v_sub_nc_u16 v64, v64, v214
	v_sub_nc_u16 v63, v63, v218
	;; [unrolled: 1-line block ×4, first 2 shown]
	v_lshlrev_b16 v63, 8, v63
	v_lshlrev_b16 v199, 8, v199
	v_or_b32_sdwa v63, v197, v63 dst_sel:WORD_1 dst_unused:UNUSED_PAD src0_sel:BYTE_0 src1_sel:DWORD
	v_or_b32_sdwa v64, v64, v199 dst_sel:DWORD dst_unused:UNUSED_PAD src0_sel:BYTE_0 src1_sel:DWORD
	v_or_b32_sdwa v64, v64, v63 dst_sel:DWORD dst_unused:UNUSED_PAD src0_sel:WORD_0 src1_sel:DWORD
	v_ashrrev_i32_e32 v63, s11, v215
	v_ashrrev_i32_e32 v215, s1, v217
	v_and_b32_e32 v197, 0x3030303, v63
	v_lshlrev_b32_e32 v215, 2, v215
	v_bfe_u32 v63, v63, 24, 2
	v_lshrrev_b16 v214, 8, v197
	v_and_b32_e32 v215, 0x4040404, v215
	v_lshrrev_b32_e32 v199, 16, v197
	v_lshrrev_b32_e32 v217, 24, v215
	v_lshrrev_b16 v218, 8, v215
	v_lshrrev_b32_e32 v216, 16, v215
	v_sub_nc_u16 v197, v197, v215
	v_sub_nc_u16 v63, v63, v217
	;; [unrolled: 1-line block ×4, first 2 shown]
	v_lshlrev_b16 v63, 8, v63
	v_lshlrev_b16 v214, 8, v214
	v_or_b32_sdwa v63, v199, v63 dst_sel:WORD_1 dst_unused:UNUSED_PAD src0_sel:BYTE_0 src1_sel:DWORD
	v_or_b32_sdwa v197, v197, v214 dst_sel:DWORD dst_unused:UNUSED_PAD src0_sel:BYTE_0 src1_sel:DWORD
	ds_read2_b32 v[214:215], v206 offset0:6 offset1:7
	v_or_b32_sdwa v197, v197, v63 dst_sel:DWORD dst_unused:UNUSED_PAD src0_sel:WORD_0 src1_sel:DWORD
	v_add_nc_u32_e32 v63, 0x3198, v198
	ds_read2_b32 v[198:199], v63 offset1:1
	s_waitcnt lgkmcnt(1)
	v_ashrrev_i32_e32 v206, s1, v214
	v_ashrrev_i32_e32 v215, s1, v215
	s_add_i32 s1, s1, 1
	v_lshlrev_b32_e32 v206, 2, v206
	v_lshlrev_b32_e32 v215, 2, v215
	s_waitcnt lgkmcnt(0)
	v_ashrrev_i32_e32 v63, s11, v198
	v_and_b32_e32 v206, 0x4040404, v206
	v_and_b32_e32 v215, 0x4040404, v215
	;; [unrolled: 1-line block ×3, first 2 shown]
	v_lshrrev_b16 v219, 8, v206
	v_bfe_u32 v63, v63, 24, 2
	v_lshrrev_b32_e32 v214, 16, v206
	v_lshrrev_b32_e32 v218, 24, v206
	v_lshrrev_b16 v217, 8, v198
	v_lshrrev_b32_e32 v216, 16, v198
	v_sub_nc_u16 v198, v198, v206
	v_sub_nc_u16 v63, v63, v218
	;; [unrolled: 1-line block ×3, first 2 shown]
	v_lshrrev_b16 v218, 8, v215
	v_lshrrev_b32_e32 v217, 24, v215
	v_lshlrev_b16 v63, 8, v63
	v_lshlrev_b16 v206, 8, v206
	v_or_b32_sdwa v198, v198, v206 dst_sel:DWORD dst_unused:UNUSED_PAD src0_sel:BYTE_0 src1_sel:DWORD
	v_sub_nc_u16 v206, v216, v214
	v_lshrrev_b32_e32 v216, 16, v215
	v_or_b32_sdwa v63, v206, v63 dst_sel:WORD_1 dst_unused:UNUSED_PAD src0_sel:BYTE_0 src1_sel:DWORD
	v_or_b32_sdwa v198, v198, v63 dst_sel:DWORD dst_unused:UNUSED_PAD src0_sel:WORD_0 src1_sel:DWORD
	v_ashrrev_i32_e32 v63, s11, v199
	v_and_b32_e32 v199, 0x3030303, v63
	v_bfe_u32 v63, v63, 24, 2
	v_lshrrev_b16 v214, 8, v199
	v_lshrrev_b32_e32 v206, 16, v199
	v_sub_nc_u16 v199, v199, v215
	v_sub_nc_u16 v63, v63, v217
	v_mov_b32_e32 v217, 0
	v_sub_nc_u16 v214, v214, v218
	v_sub_nc_u16 v206, v206, v216
	v_mov_b32_e32 v216, 0
	v_lshlrev_b16 v63, 8, v63
	v_mov_b32_e32 v218, 0
	v_lshlrev_b16 v214, 8, v214
	v_add_nc_u32_e32 v215, s16, v132
	v_dot4c_i32_i8 v216, v64, v2
	v_or_b32_sdwa v63, v206, v63 dst_sel:WORD_1 dst_unused:UNUSED_PAD src0_sel:BYTE_0 src1_sel:DWORD
	s_mov_b32 s16, s9
	v_or_b32_sdwa v199, v199, v214 dst_sel:DWORD dst_unused:UNUSED_PAD src0_sel:BYTE_0 src1_sel:DWORD
	v_mov_b32_e32 v214, 0
	v_dot4c_i32_i8 v216, v197, v3
	v_or_b32_sdwa v199, v199, v63 dst_sel:DWORD dst_unused:UNUSED_PAD src0_sel:WORD_0 src1_sel:DWORD
	v_dot4c_i32_i8 v214, v200, v6
	v_add3_u32 v63, s17, v164, v125
	v_dot4c_i32_i8 v216, v198, v4
	v_dot4c_i32_i8 v214, v201, v7
	ds_read_b32 v63, v63
	v_dot4c_i32_i8 v216, v199, v5
	v_dot4c_i32_i8 v214, v202, v8
	;; [unrolled: 1-line block ×3, first 2 shown]
	ds_read_b128 v[6:9], v168 offset:1024
	ds_read_b128 v[2:5], v168 offset:1040
	ds_read_u16 v205, v205 offset:33522
	s_waitcnt lgkmcnt(2)
	v_dot4c_i32_i8 v217, v169, v6
	s_waitcnt lgkmcnt(1)
	v_dot4c_i32_i8 v218, v174, v2
	s_waitcnt lgkmcnt(0)
	v_lshrrev_b16 v206, 8, v205
	v_bfe_i32 v205, v205, 0, 8
	v_dot4c_i32_i8 v217, v171, v7
	v_dot4c_i32_i8 v218, v175, v3
	v_bfe_i32 v206, v206, 0, 8
	v_dot4c_i32_i8 v217, v172, v8
	v_dot4c_i32_i8 v218, v176, v4
	v_mul_lo_u32 v207, v207, v206
	v_dot4c_i32_i8 v217, v173, v9
	v_dot4c_i32_i8 v218, v178, v5
	v_mul_lo_u32 v217, v217, v205
	v_mad_u64_u32 v[217:218], null, v218, v206, v[217:218]
	v_mad_u64_u32 v[218:219], null, v204, v205, v[207:208]
	v_mul_f32_e32 v204, v177, v61
	v_mul_f32_e32 v207, v177, v62
	v_mov_b32_e32 v219, 0
	v_cvt_f32_i32_e32 v217, v217
	v_cvt_f32_i32_e32 v218, v218
	v_fma_f32 v11, v207, v217, v11
	v_mov_b32_e32 v217, 0
	v_fmac_f32_e32 v10, v204, v218
	ds_read_u16 v204, v209 offset:34546
	v_mov_b32_e32 v218, 0
	v_dot4c_i32_i8 v217, v181, v6
	v_dot4c_i32_i8 v218, v179, v2
	;; [unrolled: 1-line block ×7, first 2 shown]
	s_waitcnt lgkmcnt(0)
	v_lshrrev_b16 v207, 8, v204
	v_bfe_i32 v204, v204, 0, 8
	v_dot4c_i32_i8 v218, v187, v5
	v_bfe_i32 v207, v207, 0, 8
	v_mul_lo_u32 v209, v210, v207
	v_mul_lo_u32 v210, v217, v204
	v_mad_u64_u32 v[217:218], null, v218, v207, v[210:211]
                                        ; kill: def $vgpr210 killed $sgpr0 killed $exec
	v_mad_u64_u32 v[208:209], null, v208, v204, v[209:210]
	v_mul_f32_e32 v209, v186, v61
	v_mul_f32_e32 v210, v186, v62
	v_mov_b32_e32 v218, 0
	v_cvt_f32_i32_e32 v217, v217
	v_cvt_f32_i32_e32 v208, v208
	v_dot4c_i32_i8 v218, v192, v2
	v_fma_f32 v56, v210, v217, v56
	v_mov_b32_e32 v217, 0
	v_fmac_f32_e32 v55, v209, v208
	ds_read_u16 v208, v212 offset:35570
	v_dot4c_i32_i8 v218, v193, v3
	v_dot4c_i32_i8 v217, v188, v6
	;; [unrolled: 1-line block ×7, first 2 shown]
	s_waitcnt lgkmcnt(0)
	v_lshrrev_b16 v209, 8, v208
	v_bfe_i32 v208, v208, 0, 8
	v_bfe_i32 v209, v209, 0, 8
	v_mul_lo_u32 v212, v217, v208
	v_mov_b32_e32 v217, 0
	v_mul_lo_u32 v210, v213, v209
                                        ; kill: def $vgpr213 killed $sgpr0 killed $exec
	v_mad_u64_u32 v[212:213], null, v218, v209, v[212:213]
	v_mul_f32_e32 v213, v195, v62
	v_mov_b32_e32 v218, 0
	v_mad_u64_u32 v[210:211], null, v211, v208, v[210:211]
	v_mul_f32_e32 v211, v195, v61
	v_cvt_f32_i32_e32 v212, v212
	v_cvt_f32_i32_e32 v210, v210
	v_fma_f32 v58, v213, v212, v58
	v_fmac_f32_e32 v57, v211, v210
	v_mov_b32_e32 v210, 0
	v_dot4c_i32_i8 v210, v200, v6
	v_mov_b32_e32 v6, 0
	v_dot4c_i32_i8 v210, v201, v7
	v_dot4c_i32_i8 v6, v64, v2
	ds_read_u16 v2, v215 offset:36594
	v_mov_b32_e32 v215, 0
	v_dot4c_i32_i8 v210, v202, v8
	v_dot4c_i32_i8 v6, v197, v3
	;; [unrolled: 1-line block ×4, first 2 shown]
                                        ; kill: def $vgpr4 killed $sgpr0 killed $exec
	v_dot4c_i32_i8 v6, v199, v5
	s_waitcnt lgkmcnt(0)
	v_lshrrev_b16 v3, 8, v2
	v_bfe_i32 v8, v2, 0, 8
	v_bfe_i32 v9, v3, 0, 8
	v_mul_lo_u32 v3, v210, v8
	v_mul_lo_u32 v2, v216, v9
	v_mov_b32_e32 v216, 0
	v_mad_u64_u32 v[3:4], null, v6, v9, v[3:4]
	v_mad_u64_u32 v[4:5], null, v214, v8, v[2:3]
	v_mul_f32_e32 v2, v63, v61
	v_mul_f32_e32 v5, v63, v62
	v_cvt_f32_i32_e32 v3, v3
	v_mov_b32_e32 v61, 0
	v_mov_b32_e32 v62, 0
	;; [unrolled: 1-line block ×3, first 2 shown]
	v_cvt_f32_i32_e32 v4, v4
	v_fma_f32 v60, v5, v3, v60
	v_fmac_f32_e32 v59, v2, v4
	ds_read2_b32 v[6:7], v170 offset0:64 offset1:96
	ds_read_b128 v[210:213], v168 offset:2048
	ds_read_b128 v[2:5], v168 offset:2064
	s_waitcnt lgkmcnt(1)
	v_dot4c_i32_i8 v61, v169, v210
	s_waitcnt lgkmcnt(0)
	v_dot4c_i32_i8 v62, v174, v2
	v_dot4c_i32_i8 v216, v181, v210
	;; [unrolled: 1-line block ×31, first 2 shown]
	ds_read_b128 v[2:5], v168 offset:3072
	ds_read_b128 v[210:213], v168 offset:3088
	v_mul_lo_u32 v62, v62, v206
	v_mad_u64_u32 v[61:62], null, v61, v205, v[62:63]
	v_mul_f32_e32 v62, v177, v6
	v_cvt_f32_i32_e32 v61, v61
	s_waitcnt lgkmcnt(1)
	v_dot4c_i32_i8 v214, v169, v2
	s_waitcnt lgkmcnt(0)
	v_dot4c_i32_i8 v215, v174, v210
	v_fmac_f32_e32 v51, v62, v61
	v_mov_b32_e32 v62, 0
	v_dot4c_i32_i8 v214, v171, v3
	v_dot4c_i32_i8 v215, v175, v211
	v_mul_lo_u32 v61, v217, v207
	v_mov_b32_e32 v217, 0
	v_dot4c_i32_i8 v62, v181, v2
	v_dot4c_i32_i8 v214, v172, v4
	;; [unrolled: 1-line block ×7, first 2 shown]
	v_mul_lo_u32 v214, v214, v205
	v_dot4c_i32_i8 v62, v185, v5
	v_mad_u64_u32 v[214:215], null, v215, v206, v[214:215]
	v_mul_f32_e32 v215, v177, v7
	v_mul_lo_u32 v62, v62, v204
	v_cvt_f32_i32_e32 v214, v214
	v_fma_f32 v52, v215, v214, v52
	v_mov_b32_e32 v214, 0
	v_dot4c_i32_i8 v214, v179, v210
	v_dot4c_i32_i8 v214, v180, v211
	;; [unrolled: 1-line block ×4, first 2 shown]
	v_mad_u64_u32 v[214:215], null, v214, v207, v[62:63]
                                        ; kill: def $vgpr62 killed $sgpr0 killed $exec
	v_mul_f32_e32 v215, v186, v7
	v_mad_u64_u32 v[61:62], null, v216, v204, v[61:62]
	v_mul_f32_e32 v62, v186, v6
	v_mov_b32_e32 v216, 0
	v_cvt_f32_i32_e32 v214, v214
	v_cvt_f32_i32_e32 v61, v61
	v_fma_f32 v54, v215, v214, v54
	v_mov_b32_e32 v214, 0
	v_fmac_f32_e32 v53, v62, v61
	v_mov_b32_e32 v62, 0
	v_mul_lo_u32 v61, v219, v209
	v_dot4c_i32_i8 v214, v192, v210
	v_mov_b32_e32 v219, 0
	v_dot4c_i32_i8 v62, v188, v2
	v_dot4c_i32_i8 v214, v193, v211
	;; [unrolled: 1-line block ×7, first 2 shown]
	v_mul_lo_u32 v62, v62, v208
	v_mad_u64_u32 v[214:215], null, v214, v209, v[62:63]
                                        ; kill: def $vgpr62 killed $sgpr0 killed $exec
	v_mul_f32_e32 v215, v195, v7
	v_mad_u64_u32 v[61:62], null, v218, v208, v[61:62]
	v_mul_f32_e32 v62, v195, v6
	v_mov_b32_e32 v218, 0
	v_cvt_f32_i32_e32 v214, v214
	v_cvt_f32_i32_e32 v61, v61
	v_fma_f32 v48, v215, v214, v48
	v_mov_b32_e32 v214, 0
	v_fmac_f32_e32 v47, v62, v61
	v_mov_b32_e32 v61, 0
	v_mov_b32_e32 v62, 0
	v_dot4c_i32_i8 v61, v200, v2
	v_mul_lo_u32 v2, v221, v9
	v_mov_b32_e32 v221, 0
	v_dot4c_i32_i8 v61, v201, v3
	v_dot4c_i32_i8 v61, v202, v4
	v_mov_b32_e32 v4, 0
	v_dot4c_i32_i8 v61, v203, v5
	v_dot4c_i32_i8 v4, v64, v210
	v_mul_lo_u32 v3, v61, v8
	v_dot4c_i32_i8 v4, v197, v211
	v_mov_b32_e32 v61, 0
	v_dot4c_i32_i8 v4, v198, v212
	v_dot4c_i32_i8 v4, v199, v213
	v_mad_u64_u32 v[3:4], null, v4, v9, v[3:4]
	v_mad_u64_u32 v[4:5], null, v220, v8, v[2:3]
	v_mul_f32_e32 v2, v63, v6
	v_mul_f32_e32 v5, v63, v7
	v_cvt_f32_i32_e32 v3, v3
	v_mov_b32_e32 v220, 0
	v_cvt_f32_i32_e32 v4, v4
	v_fma_f32 v50, v5, v3, v50
	v_fmac_f32_e32 v49, v2, v4
	ds_read2_b32 v[2:3], v170 offset0:128 offset1:160
	ds_read_b128 v[4:7], v168 offset:4096
	ds_read_b128 v[210:213], v168 offset:4112
	s_waitcnt lgkmcnt(1)
	v_dot4c_i32_i8 v216, v169, v4
	s_waitcnt lgkmcnt(0)
	v_dot4c_i32_i8 v61, v174, v210
	v_dot4c_i32_i8 v217, v181, v4
	;; [unrolled: 1-line block ×31, first 2 shown]
	ds_read_b128 v[4:7], v168 offset:5120
	ds_read_b128 v[210:213], v168 offset:5136
	v_mul_lo_u32 v61, v61, v206
	s_waitcnt lgkmcnt(1)
	v_dot4c_i32_i8 v62, v169, v4
	s_waitcnt lgkmcnt(0)
	v_dot4c_i32_i8 v214, v174, v210
	v_dot4c_i32_i8 v62, v171, v5
	;; [unrolled: 1-line block ×7, first 2 shown]
	v_mul_lo_u32 v62, v62, v205
	v_mad_u64_u32 v[214:215], null, v214, v206, v[62:63]
                                        ; kill: def $vgpr62 killed $sgpr0 killed $exec
	v_mul_f32_e32 v215, v177, v3
	v_mad_u64_u32 v[61:62], null, v216, v205, v[61:62]
	v_mul_f32_e32 v62, v177, v2
	v_mov_b32_e32 v216, 0
	v_cvt_f32_i32_e32 v214, v214
	v_cvt_f32_i32_e32 v61, v61
	v_fma_f32 v42, v215, v214, v42
	v_mov_b32_e32 v214, 0
	v_fmac_f32_e32 v41, v62, v61
	v_mov_b32_e32 v62, 0
	v_mul_lo_u32 v61, v218, v207
	v_dot4c_i32_i8 v214, v179, v210
	v_mov_b32_e32 v218, 0
	v_dot4c_i32_i8 v62, v181, v4
	v_dot4c_i32_i8 v214, v180, v211
	;; [unrolled: 1-line block ×7, first 2 shown]
	v_mul_lo_u32 v62, v62, v204
	v_mad_u64_u32 v[214:215], null, v214, v207, v[62:63]
                                        ; kill: def $vgpr62 killed $sgpr0 killed $exec
	v_mul_f32_e32 v215, v186, v3
	v_mad_u64_u32 v[61:62], null, v217, v204, v[61:62]
	v_mul_f32_e32 v62, v186, v2
	v_mov_b32_e32 v217, 0
	v_cvt_f32_i32_e32 v214, v214
	v_cvt_f32_i32_e32 v61, v61
	v_fma_f32 v44, v215, v214, v44
	v_mov_b32_e32 v214, 0
	v_fmac_f32_e32 v43, v62, v61
	v_mov_b32_e32 v62, 0
	v_mul_lo_u32 v61, v220, v209
	v_dot4c_i32_i8 v214, v192, v210
	v_mov_b32_e32 v220, 0
	v_dot4c_i32_i8 v62, v188, v4
	v_dot4c_i32_i8 v214, v193, v211
	v_dot4c_i32_i8 v62, v189, v5
	v_dot4c_i32_i8 v214, v194, v212
	v_dot4c_i32_i8 v62, v190, v6
	v_dot4c_i32_i8 v214, v196, v213
	v_dot4c_i32_i8 v62, v191, v7
	v_mul_lo_u32 v62, v62, v208
	v_mad_u64_u32 v[214:215], null, v214, v209, v[62:63]
                                        ; kill: def $vgpr62 killed $sgpr0 killed $exec
	v_mul_f32_e32 v215, v195, v3
	v_mad_u64_u32 v[61:62], null, v219, v208, v[61:62]
	v_mul_f32_e32 v62, v195, v2
	v_mul_f32_e32 v2, v63, v2
	;; [unrolled: 1-line block ×3, first 2 shown]
	v_cvt_f32_i32_e32 v214, v214
	v_mov_b32_e32 v219, 0
	v_cvt_f32_i32_e32 v61, v61
	v_fma_f32 v46, v215, v214, v46
	v_mov_b32_e32 v214, 0
	v_mov_b32_e32 v215, 0
	v_fmac_f32_e32 v45, v62, v61
	v_mov_b32_e32 v61, 0
	v_mov_b32_e32 v62, 0
	v_dot4c_i32_i8 v61, v200, v4
	v_mul_lo_u32 v4, v222, v9
	v_dot4c_i32_i8 v61, v201, v5
	v_dot4c_i32_i8 v61, v202, v6
	v_mov_b32_e32 v6, 0
	v_dot4c_i32_i8 v61, v203, v7
	v_dot4c_i32_i8 v6, v64, v210
	v_mul_lo_u32 v5, v61, v8
	v_dot4c_i32_i8 v6, v197, v211
	v_mov_b32_e32 v61, 0
	v_dot4c_i32_i8 v6, v198, v212
	v_dot4c_i32_i8 v6, v199, v213
	v_mad_u64_u32 v[5:6], null, v6, v9, v[5:6]
	v_mad_u64_u32 v[6:7], null, v221, v8, v[4:5]
	v_cvt_f32_i32_e32 v5, v5
	v_fma_f32 v40, v3, v5, v40
	v_cvt_f32_i32_e32 v4, v6
	v_fmac_f32_e32 v39, v2, v4
	ds_read2_b32 v[6:7], v170 offset0:192 offset1:224
	ds_read_b128 v[2:5], v168 offset:6144
	ds_read_b128 v[210:213], v168 offset:6160
	s_waitcnt lgkmcnt(1)
	v_dot4c_i32_i8 v214, v169, v2
	s_waitcnt lgkmcnt(0)
	v_dot4c_i32_i8 v215, v174, v210
	v_dot4c_i32_i8 v216, v181, v2
	;; [unrolled: 1-line block ×31, first 2 shown]
	ds_read_b128 v[210:213], v168 offset:7168
	ds_read_b128 v[2:5], v168 offset:7184
	v_add_nc_u32_e32 v168, 32, v168
	s_waitcnt lgkmcnt(1)
	v_dot4c_i32_i8 v220, v169, v210
	v_mul_lo_u32 v169, v215, v206
	v_dot4c_i32_i8 v220, v171, v211
	v_dot4c_i32_i8 v220, v172, v212
	v_mov_b32_e32 v172, 0
	v_dot4c_i32_i8 v220, v173, v213
	s_waitcnt lgkmcnt(0)
	v_dot4c_i32_i8 v172, v174, v2
	v_mul_lo_u32 v171, v220, v205
	v_dot4c_i32_i8 v172, v175, v3
	v_dot4c_i32_i8 v172, v176, v4
	;; [unrolled: 1-line block ×3, first 2 shown]
	v_mad_u64_u32 v[171:172], null, v172, v206, v[171:172]
	v_mad_u64_u32 v[172:173], null, v214, v205, v[169:170]
	v_mul_f32_e32 v173, v177, v7
	v_mul_f32_e32 v169, v177, v6
	v_cvt_f32_i32_e32 v171, v171
	v_cvt_f32_i32_e32 v172, v172
	v_fma_f32 v30, v173, v171, v30
	v_mov_b32_e32 v171, 0
	v_fmac_f32_e32 v29, v169, v172
	v_mov_b32_e32 v172, 0
	v_mul_lo_u32 v169, v217, v207
	v_dot4c_i32_i8 v171, v181, v210
	v_dot4c_i32_i8 v172, v179, v2
	;; [unrolled: 1-line block ×8, first 2 shown]
	v_mul_lo_u32 v171, v171, v204
	v_mad_u64_u32 v[171:172], null, v172, v207, v[171:172]
	v_mad_u64_u32 v[172:173], null, v216, v204, v[169:170]
	v_mul_f32_e32 v173, v186, v7
	v_mul_f32_e32 v169, v186, v6
	v_cvt_f32_i32_e32 v171, v171
	v_cvt_f32_i32_e32 v172, v172
	v_fma_f32 v32, v173, v171, v32
	v_mov_b32_e32 v171, 0
	v_fmac_f32_e32 v31, v169, v172
	v_mov_b32_e32 v172, 0
	v_mul_lo_u32 v169, v219, v209
	v_dot4c_i32_i8 v171, v188, v210
	v_dot4c_i32_i8 v172, v192, v2
	;; [unrolled: 1-line block ×8, first 2 shown]
	v_mul_lo_u32 v171, v171, v208
	v_mad_u64_u32 v[171:172], null, v172, v209, v[171:172]
	v_mad_u64_u32 v[172:173], null, v218, v208, v[169:170]
	v_mul_f32_e32 v169, v195, v6
	v_mul_f32_e32 v173, v195, v7
	v_add_nc_u32_e32 v170, 4, v170
	v_cvt_f32_i32_e32 v171, v171
	v_cvt_f32_i32_e32 v172, v172
	v_fma_f32 v34, v173, v171, v34
	v_mov_b32_e32 v171, 0
	v_fmac_f32_e32 v33, v169, v172
	v_mov_b32_e32 v169, 0
	v_dot4c_i32_i8 v171, v64, v2
	v_dot4c_i32_i8 v169, v200, v210
	;; [unrolled: 1-line block ×3, first 2 shown]
                                        ; kill: def $vgpr3 killed $sgpr0 killed $exec
	s_add_i32 s0, s0, 2
	v_dot4c_i32_i8 v169, v201, v211
	s_cmp_lt_u32 s9, 30
	v_dot4c_i32_i8 v171, v198, v4
	v_mul_lo_u32 v4, v62, v9
	v_dot4c_i32_i8 v169, v202, v212
	v_dot4c_i32_i8 v171, v199, v5
	;; [unrolled: 1-line block ×3, first 2 shown]
	v_mul_lo_u32 v2, v169, v8
	v_mad_u64_u32 v[2:3], null, v171, v9, v[2:3]
	v_mad_u64_u32 v[3:4], null, v61, v8, v[4:5]
	v_mul_f32_e32 v4, v63, v6
	v_mul_f32_e32 v5, v63, v7
	v_cvt_f32_i32_e32 v2, v2
	v_cvt_f32_i32_e32 v3, v3
	v_fma_f32 v36, v5, v2, v36
	v_fmac_f32_e32 v35, v4, v3
	s_cbranch_scc1 .LBB150_14
; %bb.15:                               ;   in Loop: Header=BB150_6 Depth=1
	s_barrier
	buffer_gl0_inv
	s_branch .LBB150_5
.LBB150_16:
	v_cvt_f16_f32_e32 v2, v11
	v_cvt_f16_f32_e32 v3, v10
	v_cvt_f16_f32_e32 v4, v56
	v_cvt_f16_f32_e32 v5, v55
	v_cvt_f16_f32_e32 v6, v58
	v_cvt_f16_f32_e32 v7, v59
	v_pack_b32_f16 v20, v3, v2
	v_cvt_f16_f32_e32 v2, v57
	v_cvt_f16_f32_e32 v3, v60
	;; [unrolled: 1-line block ×6, first 2 shown]
	v_pack_b32_f16 v19, v5, v4
	v_pack_b32_f16 v18, v2, v6
	;; [unrolled: 1-line block ×5, first 2 shown]
	v_cvt_f16_f32_e32 v2, v48
	v_cvt_f16_f32_e32 v3, v47
	;; [unrolled: 1-line block ×10, first 2 shown]
	v_pack_b32_f16 v14, v3, v2
	v_pack_b32_f16 v13, v5, v4
	;; [unrolled: 1-line block ×5, first 2 shown]
	v_cvt_f16_f32_e32 v2, v40
	v_cvt_f16_f32_e32 v3, v39
	;; [unrolled: 1-line block ×10, first 2 shown]
	v_pack_b32_f16 v9, v3, v2
	v_pack_b32_f16 v5, v5, v4
	;; [unrolled: 1-line block ×5, first 2 shown]
	v_mov_b32_e32 v6, v65
.LBB150_17:
	s_mov_b32 s0, exec_lo
	v_cmpx_gt_u32_e64 s10, v6
	s_cbranch_execz .LBB150_68
; %bb.18:
	v_add_nc_u32_e32 v0, s6, v0
	v_mul_lo_u32 v21, v6, s14
	v_cmp_gt_u32_e32 vcc_lo, s14, v0
	s_and_saveexec_b32 s1, vcc_lo
	s_cbranch_execz .LBB150_20
; %bb.19:
	v_add_nc_u32_e32 v6, v0, v21
	v_mov_b32_e32 v7, 0
	v_lshlrev_b64 v[6:7], 1, v[6:7]
	s_waitcnt lgkmcnt(0)
	v_add_co_u32 v6, s0, s12, v6
	v_add_co_ci_u32_e64 v7, null, s13, v7, s0
	global_store_short v[6:7], v20, off
.LBB150_20:
	s_or_b32 exec_lo, exec_lo, s1
	v_add_nc_u32_e32 v6, 32, v0
	v_cmp_gt_u32_e64 s0, s14, v6
	s_and_saveexec_b32 s2, s0
	s_cbranch_execz .LBB150_22
; %bb.21:
	v_add_nc_u32_e32 v7, v6, v21
	v_mov_b32_e32 v8, 0
	v_lshlrev_b64 v[7:8], 1, v[7:8]
	s_waitcnt lgkmcnt(0)
	v_add_co_u32 v7, s1, s12, v7
	v_add_co_ci_u32_e64 v8, null, s13, v8, s1
	global_store_short v[7:8], v19, off
.LBB150_22:
	s_or_b32 exec_lo, exec_lo, s2
	v_add_nc_u32_e32 v7, 64, v0
	v_cmp_gt_u32_e64 s1, s14, v7
	s_and_saveexec_b32 s3, s1
	;; [unrolled: 14-line block ×3, first 2 shown]
	s_cbranch_execz .LBB150_26
; %bb.25:
	v_add_nc_u32_e32 v21, v8, v21
	v_mov_b32_e32 v22, 0
	v_lshlrev_b64 v[21:22], 1, v[21:22]
	s_waitcnt lgkmcnt(0)
	v_add_co_u32 v21, s3, s12, v21
	v_add_co_ci_u32_e64 v22, null, s13, v22, s3
	global_store_short v[21:22], v17, off
.LBB150_26:
	s_or_b32 exec_lo, exec_lo, s4
	v_add3_u32 v21, v1, s7, 8
	v_cmp_gt_u32_e64 s3, s10, v21
	s_and_b32 exec_lo, exec_lo, s3
	s_cbranch_execz .LBB150_68
; %bb.27:
	v_mul_lo_u32 v21, v21, s14
	s_and_saveexec_b32 s4, vcc_lo
	s_cbranch_execnz .LBB150_69
; %bb.28:
	s_or_b32 exec_lo, exec_lo, s4
	s_and_saveexec_b32 s4, s0
	s_cbranch_execnz .LBB150_70
.LBB150_29:
	s_or_b32 exec_lo, exec_lo, s4
	s_and_saveexec_b32 s4, s1
	s_cbranch_execnz .LBB150_71
.LBB150_30:
	s_or_b32 exec_lo, exec_lo, s4
	s_and_saveexec_b32 s4, s2
	s_cbranch_execz .LBB150_32
.LBB150_31:
	v_add_nc_u32_e32 v18, v21, v8
	v_mov_b32_e32 v19, 0
	v_lshlrev_b64 v[18:19], 1, v[18:19]
	s_waitcnt lgkmcnt(0)
	v_add_co_u32 v18, s3, s12, v18
	v_add_co_ci_u32_e64 v19, null, s13, v19, s3
	global_store_short_d16_hi v[18:19], v17, off
.LBB150_32:
	s_or_b32 exec_lo, exec_lo, s4
	v_add3_u32 v17, v1, s7, 16
	v_cmp_gt_u32_e64 s3, s10, v17
	s_and_b32 exec_lo, exec_lo, s3
	s_cbranch_execz .LBB150_68
; %bb.33:
	v_mul_lo_u32 v17, v17, s14
	s_and_saveexec_b32 s4, vcc_lo
	s_cbranch_execnz .LBB150_72
; %bb.34:
	s_or_b32 exec_lo, exec_lo, s4
	s_and_saveexec_b32 s4, s0
	s_cbranch_execnz .LBB150_73
.LBB150_35:
	s_or_b32 exec_lo, exec_lo, s4
	s_and_saveexec_b32 s4, s1
	s_cbranch_execnz .LBB150_74
.LBB150_36:
	s_or_b32 exec_lo, exec_lo, s4
	s_and_saveexec_b32 s4, s2
	s_cbranch_execz .LBB150_38
.LBB150_37:
	v_add_nc_u32_e32 v17, v17, v8
	v_mov_b32_e32 v18, 0
	v_lshlrev_b64 v[17:18], 1, v[17:18]
	s_waitcnt lgkmcnt(0)
	v_add_co_u32 v17, s3, s12, v17
	v_add_co_ci_u32_e64 v18, null, s13, v18, s3
	global_store_short v[17:18], v13, off
.LBB150_38:
	s_or_b32 exec_lo, exec_lo, s4
	v_add3_u32 v17, v1, s7, 24
	v_cmp_gt_u32_e64 s3, s10, v17
	s_and_b32 exec_lo, exec_lo, s3
	s_cbranch_execz .LBB150_68
; %bb.39:
	v_mul_lo_u32 v17, v17, s14
	s_and_saveexec_b32 s4, vcc_lo
	s_cbranch_execnz .LBB150_75
; %bb.40:
	s_or_b32 exec_lo, exec_lo, s4
	s_and_saveexec_b32 s4, s0
	s_cbranch_execnz .LBB150_76
.LBB150_41:
	s_or_b32 exec_lo, exec_lo, s4
	s_and_saveexec_b32 s4, s1
	s_cbranch_execnz .LBB150_77
.LBB150_42:
	s_or_b32 exec_lo, exec_lo, s4
	s_and_saveexec_b32 s4, s2
	s_cbranch_execz .LBB150_44
.LBB150_43:
	v_add_nc_u32_e32 v14, v17, v8
	v_mov_b32_e32 v15, 0
	v_lshlrev_b64 v[14:15], 1, v[14:15]
	s_waitcnt lgkmcnt(0)
	v_add_co_u32 v14, s3, s12, v14
	v_add_co_ci_u32_e64 v15, null, s13, v15, s3
	global_store_short_d16_hi v[14:15], v13, off
.LBB150_44:
	s_or_b32 exec_lo, exec_lo, s4
	v_add3_u32 v13, v1, s7, 32
	v_cmp_gt_u32_e64 s3, s10, v13
	s_and_b32 exec_lo, exec_lo, s3
	s_cbranch_execz .LBB150_68
; %bb.45:
	v_mul_lo_u32 v13, v13, s14
	s_and_saveexec_b32 s4, vcc_lo
	s_cbranch_execnz .LBB150_78
; %bb.46:
	s_or_b32 exec_lo, exec_lo, s4
	s_and_saveexec_b32 s4, s0
	s_cbranch_execnz .LBB150_79
.LBB150_47:
	s_or_b32 exec_lo, exec_lo, s4
	s_and_saveexec_b32 s4, s1
	s_cbranch_execnz .LBB150_80
.LBB150_48:
	s_or_b32 exec_lo, exec_lo, s4
	s_and_saveexec_b32 s4, s2
	s_cbranch_execz .LBB150_50
.LBB150_49:
	v_add_nc_u32_e32 v13, v13, v8
	v_mov_b32_e32 v14, 0
	v_lshlrev_b64 v[13:14], 1, v[13:14]
	s_waitcnt lgkmcnt(0)
	v_add_co_u32 v13, s3, s12, v13
	v_add_co_ci_u32_e64 v14, null, s13, v14, s3
	global_store_short v[13:14], v9, off
.LBB150_50:
	s_or_b32 exec_lo, exec_lo, s4
	v_add3_u32 v13, v1, s7, 40
	v_cmp_gt_u32_e64 s3, s10, v13
	s_and_b32 exec_lo, exec_lo, s3
	s_cbranch_execz .LBB150_68
; %bb.51:
	v_mul_lo_u32 v13, v13, s14
	s_and_saveexec_b32 s4, vcc_lo
	s_cbranch_execnz .LBB150_81
; %bb.52:
	s_or_b32 exec_lo, exec_lo, s4
	s_and_saveexec_b32 s4, s0
	s_cbranch_execnz .LBB150_82
.LBB150_53:
	s_or_b32 exec_lo, exec_lo, s4
	s_and_saveexec_b32 s4, s1
	s_cbranch_execnz .LBB150_83
.LBB150_54:
	s_or_b32 exec_lo, exec_lo, s4
	s_and_saveexec_b32 s4, s2
	s_cbranch_execz .LBB150_56
.LBB150_55:
	v_add_nc_u32_e32 v10, v13, v8
	v_mov_b32_e32 v11, 0
	v_lshlrev_b64 v[10:11], 1, v[10:11]
	s_waitcnt lgkmcnt(0)
	v_add_co_u32 v10, s3, s12, v10
	v_add_co_ci_u32_e64 v11, null, s13, v11, s3
	global_store_short_d16_hi v[10:11], v9, off
.LBB150_56:
	s_or_b32 exec_lo, exec_lo, s4
	v_add3_u32 v9, v1, s7, 48
	v_cmp_gt_u32_e64 s3, s10, v9
	s_and_b32 exec_lo, exec_lo, s3
	s_cbranch_execz .LBB150_68
; %bb.57:
	v_mul_lo_u32 v9, v9, s14
	s_and_saveexec_b32 s4, vcc_lo
	s_cbranch_execnz .LBB150_84
; %bb.58:
	s_or_b32 exec_lo, exec_lo, s4
	s_and_saveexec_b32 s4, s0
	s_cbranch_execnz .LBB150_85
.LBB150_59:
	s_or_b32 exec_lo, exec_lo, s4
	s_and_saveexec_b32 s4, s1
	s_cbranch_execnz .LBB150_86
.LBB150_60:
	s_or_b32 exec_lo, exec_lo, s4
	s_and_saveexec_b32 s4, s2
	s_cbranch_execz .LBB150_62
.LBB150_61:
	v_add_nc_u32_e32 v9, v9, v8
	v_mov_b32_e32 v10, 0
	v_lshlrev_b64 v[9:10], 1, v[9:10]
	s_waitcnt lgkmcnt(0)
	v_add_co_u32 v9, s3, s12, v9
	v_add_co_ci_u32_e64 v10, null, s13, v10, s3
	global_store_short v[9:10], v2, off
.LBB150_62:
	s_or_b32 exec_lo, exec_lo, s4
	v_add3_u32 v1, v1, s7, 56
	v_cmp_gt_u32_e64 s3, s10, v1
	s_and_b32 exec_lo, exec_lo, s3
	s_cbranch_execz .LBB150_68
; %bb.63:
	v_mul_lo_u32 v1, v1, s14
	s_and_saveexec_b32 s3, vcc_lo
	s_cbranch_execnz .LBB150_87
; %bb.64:
	s_or_b32 exec_lo, exec_lo, s3
	s_and_saveexec_b32 s3, s0
	s_cbranch_execnz .LBB150_88
.LBB150_65:
	s_or_b32 exec_lo, exec_lo, s3
	s_and_saveexec_b32 s0, s1
	s_cbranch_execnz .LBB150_89
.LBB150_66:
	s_or_b32 exec_lo, exec_lo, s0
	s_and_b32 exec_lo, exec_lo, s2
	s_cbranch_execz .LBB150_68
.LBB150_67:
	v_add_nc_u32_e32 v0, v1, v8
	v_mov_b32_e32 v1, 0
	v_lshlrev_b64 v[0:1], 1, v[0:1]
	s_waitcnt lgkmcnt(0)
	v_add_co_u32 v0, vcc_lo, s12, v0
	v_add_co_ci_u32_e64 v1, null, s13, v1, vcc_lo
	global_store_short_d16_hi v[0:1], v2, off
.LBB150_68:
	s_endpgm
.LBB150_69:
	v_add_nc_u32_e32 v22, v21, v0
	v_mov_b32_e32 v23, 0
	v_lshlrev_b64 v[22:23], 1, v[22:23]
	s_waitcnt lgkmcnt(0)
	v_add_co_u32 v22, s3, s12, v22
	v_add_co_ci_u32_e64 v23, null, s13, v23, s3
	global_store_short_d16_hi v[22:23], v20, off
	s_or_b32 exec_lo, exec_lo, s4
	s_and_saveexec_b32 s4, s0
	s_cbranch_execz .LBB150_29
.LBB150_70:
	v_add_nc_u32_e32 v22, v21, v6
	v_mov_b32_e32 v23, 0
	v_lshlrev_b64 v[22:23], 1, v[22:23]
	s_waitcnt lgkmcnt(0)
	v_add_co_u32 v22, s3, s12, v22
	v_add_co_ci_u32_e64 v23, null, s13, v23, s3
	global_store_short_d16_hi v[22:23], v19, off
	s_or_b32 exec_lo, exec_lo, s4
	s_and_saveexec_b32 s4, s1
	s_cbranch_execz .LBB150_30
.LBB150_71:
	v_add_nc_u32_e32 v19, v21, v7
	v_mov_b32_e32 v20, 0
	v_lshlrev_b64 v[19:20], 1, v[19:20]
	s_waitcnt lgkmcnt(0)
	v_add_co_u32 v19, s3, s12, v19
	v_add_co_ci_u32_e64 v20, null, s13, v20, s3
	global_store_short_d16_hi v[19:20], v18, off
	s_or_b32 exec_lo, exec_lo, s4
	s_and_saveexec_b32 s4, s2
	s_cbranch_execnz .LBB150_31
	s_branch .LBB150_32
.LBB150_72:
	v_add_nc_u32_e32 v18, v17, v0
	v_mov_b32_e32 v19, 0
	v_lshlrev_b64 v[18:19], 1, v[18:19]
	s_waitcnt lgkmcnt(0)
	v_add_co_u32 v18, s3, s12, v18
	v_add_co_ci_u32_e64 v19, null, s13, v19, s3
	global_store_short v[18:19], v16, off
	s_or_b32 exec_lo, exec_lo, s4
	s_and_saveexec_b32 s4, s0
	s_cbranch_execz .LBB150_35
.LBB150_73:
	v_add_nc_u32_e32 v18, v17, v6
	v_mov_b32_e32 v19, 0
	v_lshlrev_b64 v[18:19], 1, v[18:19]
	s_waitcnt lgkmcnt(0)
	v_add_co_u32 v18, s3, s12, v18
	v_add_co_ci_u32_e64 v19, null, s13, v19, s3
	global_store_short v[18:19], v15, off
	s_or_b32 exec_lo, exec_lo, s4
	s_and_saveexec_b32 s4, s1
	s_cbranch_execz .LBB150_36
.LBB150_74:
	v_add_nc_u32_e32 v18, v17, v7
	v_mov_b32_e32 v19, 0
	v_lshlrev_b64 v[18:19], 1, v[18:19]
	s_waitcnt lgkmcnt(0)
	v_add_co_u32 v18, s3, s12, v18
	v_add_co_ci_u32_e64 v19, null, s13, v19, s3
	global_store_short v[18:19], v14, off
	s_or_b32 exec_lo, exec_lo, s4
	s_and_saveexec_b32 s4, s2
	s_cbranch_execnz .LBB150_37
	s_branch .LBB150_38
.LBB150_75:
	v_add_nc_u32_e32 v18, v17, v0
	v_mov_b32_e32 v19, 0
	v_lshlrev_b64 v[18:19], 1, v[18:19]
	s_waitcnt lgkmcnt(0)
	v_add_co_u32 v18, s3, s12, v18
	v_add_co_ci_u32_e64 v19, null, s13, v19, s3
	global_store_short_d16_hi v[18:19], v16, off
	s_or_b32 exec_lo, exec_lo, s4
	s_and_saveexec_b32 s4, s0
	s_cbranch_execz .LBB150_41
.LBB150_76:
	v_add_nc_u32_e32 v18, v17, v6
	v_mov_b32_e32 v19, 0
	v_lshlrev_b64 v[18:19], 1, v[18:19]
	s_waitcnt lgkmcnt(0)
	v_add_co_u32 v18, s3, s12, v18
	v_add_co_ci_u32_e64 v19, null, s13, v19, s3
	global_store_short_d16_hi v[18:19], v15, off
	s_or_b32 exec_lo, exec_lo, s4
	s_and_saveexec_b32 s4, s1
	s_cbranch_execz .LBB150_42
.LBB150_77:
	v_add_nc_u32_e32 v15, v17, v7
	v_mov_b32_e32 v16, 0
	v_lshlrev_b64 v[15:16], 1, v[15:16]
	s_waitcnt lgkmcnt(0)
	v_add_co_u32 v15, s3, s12, v15
	v_add_co_ci_u32_e64 v16, null, s13, v16, s3
	global_store_short_d16_hi v[15:16], v14, off
	s_or_b32 exec_lo, exec_lo, s4
	s_and_saveexec_b32 s4, s2
	s_cbranch_execnz .LBB150_43
	s_branch .LBB150_44
.LBB150_78:
	v_add_nc_u32_e32 v14, v13, v0
	v_mov_b32_e32 v15, 0
	v_lshlrev_b64 v[14:15], 1, v[14:15]
	s_waitcnt lgkmcnt(0)
	v_add_co_u32 v14, s3, s12, v14
	v_add_co_ci_u32_e64 v15, null, s13, v15, s3
	global_store_short v[14:15], v12, off
	s_or_b32 exec_lo, exec_lo, s4
	s_and_saveexec_b32 s4, s0
	s_cbranch_execz .LBB150_47
.LBB150_79:
	v_add_nc_u32_e32 v14, v13, v6
	v_mov_b32_e32 v15, 0
	v_lshlrev_b64 v[14:15], 1, v[14:15]
	s_waitcnt lgkmcnt(0)
	v_add_co_u32 v14, s3, s12, v14
	v_add_co_ci_u32_e64 v15, null, s13, v15, s3
	global_store_short v[14:15], v11, off
	s_or_b32 exec_lo, exec_lo, s4
	s_and_saveexec_b32 s4, s1
	s_cbranch_execz .LBB150_48
.LBB150_80:
	v_add_nc_u32_e32 v14, v13, v7
	v_mov_b32_e32 v15, 0
	v_lshlrev_b64 v[14:15], 1, v[14:15]
	s_waitcnt lgkmcnt(0)
	v_add_co_u32 v14, s3, s12, v14
	v_add_co_ci_u32_e64 v15, null, s13, v15, s3
	global_store_short v[14:15], v10, off
	s_or_b32 exec_lo, exec_lo, s4
	s_and_saveexec_b32 s4, s2
	s_cbranch_execnz .LBB150_49
	s_branch .LBB150_50
.LBB150_81:
	v_add_nc_u32_e32 v14, v13, v0
	v_mov_b32_e32 v15, 0
	v_lshlrev_b64 v[14:15], 1, v[14:15]
	s_waitcnt lgkmcnt(0)
	v_add_co_u32 v14, s3, s12, v14
	v_add_co_ci_u32_e64 v15, null, s13, v15, s3
	global_store_short_d16_hi v[14:15], v12, off
	s_or_b32 exec_lo, exec_lo, s4
	s_and_saveexec_b32 s4, s0
	s_cbranch_execz .LBB150_53
.LBB150_82:
	v_add_nc_u32_e32 v14, v13, v6
	v_mov_b32_e32 v15, 0
	v_lshlrev_b64 v[14:15], 1, v[14:15]
	s_waitcnt lgkmcnt(0)
	v_add_co_u32 v14, s3, s12, v14
	v_add_co_ci_u32_e64 v15, null, s13, v15, s3
	global_store_short_d16_hi v[14:15], v11, off
	s_or_b32 exec_lo, exec_lo, s4
	s_and_saveexec_b32 s4, s1
	s_cbranch_execz .LBB150_54
.LBB150_83:
	v_add_nc_u32_e32 v11, v13, v7
	v_mov_b32_e32 v12, 0
	v_lshlrev_b64 v[11:12], 1, v[11:12]
	s_waitcnt lgkmcnt(0)
	v_add_co_u32 v11, s3, s12, v11
	v_add_co_ci_u32_e64 v12, null, s13, v12, s3
	global_store_short_d16_hi v[11:12], v10, off
	s_or_b32 exec_lo, exec_lo, s4
	s_and_saveexec_b32 s4, s2
	s_cbranch_execnz .LBB150_55
	s_branch .LBB150_56
.LBB150_84:
	v_add_nc_u32_e32 v10, v9, v0
	v_mov_b32_e32 v11, 0
	v_lshlrev_b64 v[10:11], 1, v[10:11]
	s_waitcnt lgkmcnt(0)
	v_add_co_u32 v10, s3, s12, v10
	v_add_co_ci_u32_e64 v11, null, s13, v11, s3
	global_store_short v[10:11], v5, off
	s_or_b32 exec_lo, exec_lo, s4
	s_and_saveexec_b32 s4, s0
	s_cbranch_execz .LBB150_59
.LBB150_85:
	v_add_nc_u32_e32 v10, v9, v6
	v_mov_b32_e32 v11, 0
	v_lshlrev_b64 v[10:11], 1, v[10:11]
	s_waitcnt lgkmcnt(0)
	v_add_co_u32 v10, s3, s12, v10
	v_add_co_ci_u32_e64 v11, null, s13, v11, s3
	global_store_short v[10:11], v4, off
	s_or_b32 exec_lo, exec_lo, s4
	s_and_saveexec_b32 s4, s1
	s_cbranch_execz .LBB150_60
.LBB150_86:
	v_add_nc_u32_e32 v10, v9, v7
	v_mov_b32_e32 v11, 0
	v_lshlrev_b64 v[10:11], 1, v[10:11]
	s_waitcnt lgkmcnt(0)
	v_add_co_u32 v10, s3, s12, v10
	v_add_co_ci_u32_e64 v11, null, s13, v11, s3
	global_store_short v[10:11], v3, off
	s_or_b32 exec_lo, exec_lo, s4
	s_and_saveexec_b32 s4, s2
	s_cbranch_execnz .LBB150_61
	s_branch .LBB150_62
.LBB150_87:
	v_add_nc_u32_e32 v9, v1, v0
	v_mov_b32_e32 v10, 0
	v_lshlrev_b64 v[9:10], 1, v[9:10]
	s_waitcnt lgkmcnt(0)
	v_add_co_u32 v9, vcc_lo, s12, v9
	v_add_co_ci_u32_e64 v10, null, s13, v10, vcc_lo
	global_store_short_d16_hi v[9:10], v5, off
	s_or_b32 exec_lo, exec_lo, s3
	s_and_saveexec_b32 s3, s0
	s_cbranch_execz .LBB150_65
.LBB150_88:
	v_add_nc_u32_e32 v5, v1, v6
	v_mov_b32_e32 v6, 0
	v_lshlrev_b64 v[5:6], 1, v[5:6]
	s_waitcnt lgkmcnt(0)
	v_add_co_u32 v5, vcc_lo, s12, v5
	v_add_co_ci_u32_e64 v6, null, s13, v6, vcc_lo
	global_store_short_d16_hi v[5:6], v4, off
	s_or_b32 exec_lo, exec_lo, s3
	s_and_saveexec_b32 s0, s1
	s_cbranch_execz .LBB150_66
.LBB150_89:
	v_add_nc_u32_e32 v4, v1, v7
	v_mov_b32_e32 v5, 0
	v_lshlrev_b64 v[4:5], 1, v[4:5]
	s_waitcnt lgkmcnt(0)
	v_add_co_u32 v4, vcc_lo, s12, v4
	v_add_co_ci_u32_e64 v5, null, s13, v5, vcc_lo
	global_store_short_d16_hi v[4:5], v3, off
	s_or_b32 exec_lo, exec_lo, s0
	s_and_b32 exec_lo, exec_lo, s2
	s_cbranch_execnz .LBB150_67
	s_branch .LBB150_68
	.section	.rodata,"a",@progbits
	.p2align	6, 0x0
	.amdhsa_kernel _ZL12mul_mat_q3_KIN3c104HalfELb1EEvPKvS3_PT_iiiii
		.amdhsa_group_segment_fixed_size 39840
		.amdhsa_private_segment_fixed_size 0
		.amdhsa_kernarg_size 44
		.amdhsa_user_sgpr_count 6
		.amdhsa_user_sgpr_private_segment_buffer 1
		.amdhsa_user_sgpr_dispatch_ptr 0
		.amdhsa_user_sgpr_queue_ptr 0
		.amdhsa_user_sgpr_kernarg_segment_ptr 1
		.amdhsa_user_sgpr_dispatch_id 0
		.amdhsa_user_sgpr_flat_scratch_init 0
		.amdhsa_user_sgpr_private_segment_size 0
		.amdhsa_wavefront_size32 1
		.amdhsa_uses_dynamic_stack 0
		.amdhsa_system_sgpr_private_segment_wavefront_offset 0
		.amdhsa_system_sgpr_workgroup_id_x 1
		.amdhsa_system_sgpr_workgroup_id_y 1
		.amdhsa_system_sgpr_workgroup_id_z 0
		.amdhsa_system_sgpr_workgroup_info 0
		.amdhsa_system_vgpr_workitem_id 1
		.amdhsa_next_free_vgpr 226
		.amdhsa_next_free_sgpr 21
		.amdhsa_reserve_vcc 1
		.amdhsa_reserve_flat_scratch 0
		.amdhsa_float_round_mode_32 0
		.amdhsa_float_round_mode_16_64 0
		.amdhsa_float_denorm_mode_32 3
		.amdhsa_float_denorm_mode_16_64 3
		.amdhsa_dx10_clamp 1
		.amdhsa_ieee_mode 1
		.amdhsa_fp16_overflow 0
		.amdhsa_workgroup_processor_mode 1
		.amdhsa_memory_ordered 1
		.amdhsa_forward_progress 1
		.amdhsa_shared_vgpr_count 0
		.amdhsa_exception_fp_ieee_invalid_op 0
		.amdhsa_exception_fp_denorm_src 0
		.amdhsa_exception_fp_ieee_div_zero 0
		.amdhsa_exception_fp_ieee_overflow 0
		.amdhsa_exception_fp_ieee_underflow 0
		.amdhsa_exception_fp_ieee_inexact 0
		.amdhsa_exception_int_div_zero 0
	.end_amdhsa_kernel
	.section	.text._ZL12mul_mat_q3_KIN3c104HalfELb1EEvPKvS3_PT_iiiii,"axG",@progbits,_ZL12mul_mat_q3_KIN3c104HalfELb1EEvPKvS3_PT_iiiii,comdat
.Lfunc_end150:
	.size	_ZL12mul_mat_q3_KIN3c104HalfELb1EEvPKvS3_PT_iiiii, .Lfunc_end150-_ZL12mul_mat_q3_KIN3c104HalfELb1EEvPKvS3_PT_iiiii
                                        ; -- End function
	.set _ZL12mul_mat_q3_KIN3c104HalfELb1EEvPKvS3_PT_iiiii.num_vgpr, 226
	.set _ZL12mul_mat_q3_KIN3c104HalfELb1EEvPKvS3_PT_iiiii.num_agpr, 0
	.set _ZL12mul_mat_q3_KIN3c104HalfELb1EEvPKvS3_PT_iiiii.numbered_sgpr, 21
	.set _ZL12mul_mat_q3_KIN3c104HalfELb1EEvPKvS3_PT_iiiii.num_named_barrier, 0
	.set _ZL12mul_mat_q3_KIN3c104HalfELb1EEvPKvS3_PT_iiiii.private_seg_size, 0
	.set _ZL12mul_mat_q3_KIN3c104HalfELb1EEvPKvS3_PT_iiiii.uses_vcc, 1
	.set _ZL12mul_mat_q3_KIN3c104HalfELb1EEvPKvS3_PT_iiiii.uses_flat_scratch, 0
	.set _ZL12mul_mat_q3_KIN3c104HalfELb1EEvPKvS3_PT_iiiii.has_dyn_sized_stack, 0
	.set _ZL12mul_mat_q3_KIN3c104HalfELb1EEvPKvS3_PT_iiiii.has_recursion, 0
	.set _ZL12mul_mat_q3_KIN3c104HalfELb1EEvPKvS3_PT_iiiii.has_indirect_call, 0
	.section	.AMDGPU.csdata,"",@progbits
; Kernel info:
; codeLenInByte = 38712
; TotalNumSgprs: 23
; NumVgprs: 226
; ScratchSize: 0
; MemoryBound: 0
; FloatMode: 240
; IeeeMode: 1
; LDSByteSize: 39840 bytes/workgroup (compile time only)
; SGPRBlocks: 0
; VGPRBlocks: 28
; NumSGPRsForWavesPerEU: 23
; NumVGPRsForWavesPerEU: 226
; Occupancy: 4
; WaveLimiterHint : 0
; COMPUTE_PGM_RSRC2:SCRATCH_EN: 0
; COMPUTE_PGM_RSRC2:USER_SGPR: 6
; COMPUTE_PGM_RSRC2:TRAP_HANDLER: 0
; COMPUTE_PGM_RSRC2:TGID_X_EN: 1
; COMPUTE_PGM_RSRC2:TGID_Y_EN: 1
; COMPUTE_PGM_RSRC2:TGID_Z_EN: 0
; COMPUTE_PGM_RSRC2:TIDIG_COMP_CNT: 1
	.section	.text._ZL12mul_mat_q4_KIN3c104HalfELb0EEvPKvS3_PT_iiiii,"axG",@progbits,_ZL12mul_mat_q4_KIN3c104HalfELb0EEvPKvS3_PT_iiiii,comdat
	.globl	_ZL12mul_mat_q4_KIN3c104HalfELb0EEvPKvS3_PT_iiiii ; -- Begin function _ZL12mul_mat_q4_KIN3c104HalfELb0EEvPKvS3_PT_iiiii
	.p2align	8
	.type	_ZL12mul_mat_q4_KIN3c104HalfELb0EEvPKvS3_PT_iiiii,@function
_ZL12mul_mat_q4_KIN3c104HalfELb0EEvPKvS3_PT_iiiii: ; @_ZL12mul_mat_q4_KIN3c104HalfELb0EEvPKvS3_PT_iiiii
; %bb.0:
	s_mov_b64 s[22:23], s[2:3]
	s_mov_b64 s[20:21], s[0:1]
	s_add_u32 s20, s20, s8
	s_clause 0x1
	s_load_dword s14, s[4:5], 0x18
	s_load_dwordx4 s[8:11], s[4:5], 0x20
	s_addc_u32 s21, s21, 0
	s_lshl_b32 s7, s7, 6
	v_add_nc_u32_e32 v8, s7, v1
	s_waitcnt lgkmcnt(0)
	s_cmpk_gt_i32 s14, 0xff
	s_cbranch_scc1 .LBB151_2
; %bb.1:
	v_add_nc_u32_e32 v6, s7, v1
	s_mov_b32 s0, 0
	s_branch .LBB151_3
.LBB151_2:
	s_mov_b32 s0, -1
                                        ; implicit-def: $vgpr6
.LBB151_3:
	s_load_dwordx2 s[12:13], s[4:5], 0x10
	v_mov_b32_e32 v2, 0
	v_mov_b32_e32 v9, 0
	;; [unrolled: 1-line block ×16, first 2 shown]
	s_lshl_b32 s6, s6, 7
	s_andn2_b32 vcc_lo, exec_lo, s0
	s_mov_b32 s11, 0
	s_cbranch_vccnz .LBB151_11
; %bb.4:
	s_load_dwordx4 s[0:3], s[4:5], 0x0
	s_ashr_i32 s4, s14, 31
	s_ashr_i32 s5, s9, 31
	s_lshr_b32 s4, s4, 24
	s_lshr_b32 s5, s5, 27
	s_add_i32 s14, s14, s4
	s_add_i32 s5, s9, s5
	s_ashr_i32 s4, s14, 8
	s_ashr_i32 s15, s5, 5
	s_mul_i32 s9, s4, s6
	v_cvt_f64_u32_e32 v[3:4], v8
	s_mul_i32 s5, s9, 0x90
	s_mul_hi_i32 s9, s9, 0x90
	v_add_nc_u32_e32 v5, 8, v8
	v_add_nc_u32_e32 v7, 16, v8
	;; [unrolled: 1-line block ×6, first 2 shown]
	buffer_store_dword v8, off, s[20:23], 0 offset:152 ; 4-byte Folded Spill
	s_waitcnt lgkmcnt(0)
	s_add_u32 s5, s0, s5
	s_addc_u32 s9, s1, s9
	s_lshl_b32 s17, s4, 3
	s_add_i32 s18, s8, -1
	v_mad_i32_i24 v2, s4, v1, s17
	v_add_nc_u32_e32 v21, 56, v8
	v_cvt_f64_i32_e32 v[23:24], s18
	v_cvt_f64_u32_e32 v[9:10], v9
	v_cvt_f64_u32_e32 v[11:12], v11
	buffer_store_dword v2, off, s[20:23], 0 offset:28 ; 4-byte Folded Spill
	v_add_nc_u32_e32 v2, s17, v2
	v_cvt_f64_u32_e32 v[13:14], v13
	v_lshlrev_b32_e32 v17, 2, v0
	v_lshlrev_b32_e32 v85, 5, v1
	v_cvt_f64_u32_e32 v[21:22], v21
	v_add_nc_u32_e32 v6, s17, v2
	buffer_store_dword v2, off, s[20:23], 0 offset:32 ; 4-byte Folded Spill
	v_and_b32_e32 v2, 3, v0
	v_lshlrev_b32_e32 v20, 3, v1
	v_lshrrev_b32_e32 v31, 2, v0
	buffer_store_dword v6, off, s[20:23], 0 offset:36 ; 4-byte Folded Spill
	v_add_nc_u32_e32 v6, s17, v6
	v_add_nc_u32_e32 v32, v85, v0
	v_and_b32_e32 v35, 4, v17
	v_cmp_lt_u32_e32 vcc_lo, 1, v2
	v_add_nc_u32_e32 v33, v31, v20
	buffer_store_dword v6, off, s[20:23], 0 offset:40 ; 4-byte Folded Spill
	v_add_nc_u32_e32 v6, s17, v6
	v_min_f64 v[3:4], v[3:4], v[23:24]
	v_add_nc_u32_e32 v34, 0xfe, v2
	v_add_nc_u16 v20, v31, v20
	v_cndmask_b32_e32 v35, 0, v35, vcc_lo
	v_add_nc_u32_e32 v8, s17, v6
	buffer_store_dword v6, off, s[20:23], 0 offset:44 ; 4-byte Folded Spill
	v_cvt_f64_u32_e32 v[5:6], v5
	v_and_b32_e32 v34, 0xff, v34
	buffer_store_dword v35, off, s[20:23], 0 offset:68 ; 4-byte Folded Spill
	buffer_store_dword v8, off, s[20:23], 0 offset:48 ; 4-byte Folded Spill
	v_add_nc_u32_e32 v16, s17, v8
	v_cvt_f64_u32_e32 v[7:8], v7
	v_and_b32_e32 v35, 0x7f, v33
	v_cmp_gt_u32_e64 s0, 2, v2
	v_min_f64 v[9:10], v[9:10], v[23:24]
	buffer_store_dword v16, off, s[20:23], 0 offset:52 ; 4-byte Folded Spill
	v_add_nc_u32_e32 v36, s17, v16
	v_cvt_f64_u32_e32 v[15:16], v15
	v_min_f64 v[11:12], v[11:12], v[23:24]
	v_min_f64 v[13:14], v[13:14], v[23:24]
	;; [unrolled: 1-line block ×3, first 2 shown]
	v_add_nc_u32_e32 v37, s17, v36
	buffer_store_dword v36, off, s[20:23], 0 offset:56 ; 4-byte Folded Spill
	v_lshrrev_b32_e32 v36, 3, v32
	v_and_b32_e32 v32, 0x7f, v32
	v_lshlrev_b32_e32 v31, 2, v2
	buffer_store_dword v37, off, s[20:23], 0 offset:60 ; 4-byte Folded Spill
	v_add_nc_u32_e32 v37, s17, v37
	v_min_f64 v[5:6], v[5:6], v[23:24]
	v_cvt_i32_f64_e32 v3, v[3:4]
	v_add_nc_u32_e32 v26, 24, v1
	v_add_nc_u32_e32 v27, 32, v1
	buffer_store_dword v37, off, s[20:23], 0 offset:64 ; 4-byte Folded Spill
	v_min_f64 v[7:8], v[7:8], v[23:24]
	v_add_nc_u32_e32 v38, s17, v37
	v_lshrrev_b16 v37, 1, v20
	v_and_b32_e32 v20, 12, v36
	v_lshlrev_b32_e32 v36, 2, v32
	v_mul_i32_i24_e32 v32, s4, v32
	v_min_f64 v[15:16], v[15:16], v[23:24]
	buffer_store_dword v32, off, s[20:23], 0 offset:76 ; 4-byte Folded Spill
	buffer_store_dword v38, off, s[20:23], 0 offset:72 ; 4-byte Folded Spill
	v_cndmask_b32_e64 v32, v34, v2, s0
	v_xor_b32_e32 v34, 64, v35
	v_add_nc_u32_e32 v38, s17, v38
	v_add3_u32 v20, v36, v20, 0x6e40
	buffer_store_dword v20, off, s[20:23], 0 offset:84 ; 4-byte Folded Spill
	buffer_store_dword v38, off, s[20:23], 0 offset:80 ; 4-byte Folded Spill
	v_lshrrev_b32_e32 v40, 1, v34
	v_lshl_or_b32 v23, v34, 4, v31
	v_mul_i32_i24_e32 v4, s4, v34
	v_add_nc_u32_e32 v20, s17, v38
	v_cmp_ne_u32_e64 s0, 0, v2
	v_and_b32_e32 v24, 60, v40
	v_lshl_or_b32 v39, v35, 4, v31
	buffer_store_dword v4, off, s[20:23], 0 offset:112 ; 4-byte Folded Spill
	v_cvt_i32_f64_e32 v4, v[5:6]
	v_cvt_i32_f64_e32 v6, v[7:8]
	v_add3_u32 v7, v23, v24, 0x6200
	buffer_store_dword v20, off, s[20:23], 0 offset:88 ; 4-byte Folded Spill
	v_add_nc_u32_e32 v20, s17, v20
	v_and_b32_e32 v5, 63, v33
	v_and_b32_e32 v8, 31, v0
	buffer_store_dword v7, off, s[20:23], 0 offset:116 ; 4-byte Folded Spill
	v_cvt_i32_f64_e32 v7, v[9:10]
	v_cvt_i32_f64_e32 v9, v[11:12]
	;; [unrolled: 1-line block ×4, first 2 shown]
	buffer_store_dword v20, off, s[20:23], 0 offset:92 ; 4-byte Folded Spill
	v_add_nc_u32_e32 v20, s17, v20
	v_or_b32_e32 v10, s7, v5
	v_cvt_i32_f64_e32 v14, v[21:22]
	v_lshl_or_b32 v5, v5, 4, v31
	v_and_b32_e32 v37, 60, v37
	buffer_store_dword v20, off, s[20:23], 0 offset:96 ; 4-byte Folded Spill
	v_lshlrev_b32_e32 v20, 1, v32
	v_min_i32_e32 v10, s18, v10
	v_and_b32_e32 v12, 28, v17
	v_lshl_or_b32 v8, v8, 2, 0x4200
	v_add_nc_u32_e32 v86, 0x6a40, v5
	buffer_store_dword v20, off, s[20:23], 0 offset:100 ; 4-byte Folded Spill
	v_mul_i32_i24_e32 v20, s4, v35
	v_mad_u64_u32 v[15:16], null, v10, s15, v[2:3]
	v_lshlrev_b32_e32 v2, 7, v1
	v_lshlrev_b32_e32 v5, 7, v26
	v_add_nc_u32_e32 v28, 40, v1
	v_add_co_ci_u32_e64 v36, null, 0, v32, s0
	buffer_store_dword v20, off, s[20:23], 0 offset:104 ; 4-byte Folded Spill
	v_add3_u32 v20, v39, v37, 0x6200
	v_mul_lo_u32 v113, s15, v6
	v_lshlrev_b32_e32 v6, 7, v27
	v_add_co_u32 v31, s0, s2, v12
	v_add_nc_u32_e32 v12, 0x4200, v2
	v_add_nc_u32_e32 v146, v8, v2
	;; [unrolled: 1-line block ×3, first 2 shown]
	v_lshrrev_b32_e32 v41, 5, v0
	v_mul_lo_u32 v115, s15, v9
	v_mul_lo_u32 v116, s15, v11
	v_mul_lo_u32 v117, s15, v13
	v_add_nc_u32_e32 v9, 32, v0
	v_add_nc_u32_e32 v11, 64, v0
	;; [unrolled: 1-line block ×4, first 2 shown]
	buffer_store_dword v20, off, s[20:23], 0 offset:108 ; 4-byte Folded Spill
	buffer_store_dword v15, off, s[20:23], 0 offset:120 ; 4-byte Folded Spill
	;; [unrolled: 1-line block ×3, first 2 shown]
	v_mul_lo_u32 v114, s15, v7
	v_lshlrev_b32_e32 v7, 7, v28
	buffer_store_dword v2, off, s[20:23], 0 offset:8 ; 4-byte Folded Spill
	v_add_nc_u32_e32 v2, v8, v6
	v_mov_b32_e32 v18, 0
	v_add_nc_u32_e32 v19, 8, v1
	v_mul_lo_u32 v118, s15, v14
	v_lshrrev_b32_e32 v24, 3, v9
	v_lshlrev_b32_e32 v14, 2, v41
	v_lshrrev_b32_e32 v15, 3, v11
	v_lshrrev_b32_e32 v21, 3, v13
	v_add_nc_u32_e32 v25, 16, v1
	v_add_nc_u32_e32 v30, 56, v1
	v_lshlrev_b32_e32 v10, 7, v29
	buffer_store_dword v2, off, s[20:23], 0 offset:12 ; 4-byte Folded Spill
	v_add_nc_u32_e32 v2, v8, v7
	v_cndmask_b32_e64 v38, 0, 1, vcc_lo
	v_mul_lo_u32 v88, s15, v3
	v_lshlrev_b32_e32 v3, 7, v19
	v_and_b32_e32 v22, 60, v24
	v_add3_u32 v120, v17, v14, 0x6e40
	v_and_b32_e32 v14, 60, v15
	v_and_b32_e32 v23, 60, v21
	v_lshlrev_b32_e32 v124, 5, v19
	buffer_store_dword v12, off, s[20:23], 0 offset:132 ; 4-byte Folded Spill
	v_mov_b32_e32 v19, v18
	v_lshlrev_b32_e32 v12, 2, v36
	v_lshrrev_b32_e32 v20, 3, v0
	v_mul_lo_u32 v95, s15, v4
	v_lshlrev_b32_e32 v4, 7, v25
	v_lshlrev_b32_e32 v16, 7, v30
	v_lshlrev_b32_e32 v9, 2, v9
	v_lshlrev_b32_e32 v11, 2, v11
	v_lshlrev_b32_e32 v13, 2, v13
	buffer_store_dword v2, off, s[20:23], 0 offset:16 ; 4-byte Folded Spill
	v_add_nc_u32_e32 v2, v8, v10
	s_movk_i32 s1, 0x1080
	s_movk_i32 s14, 0x2100
	;; [unrolled: 1-line block ×3, first 2 shown]
	v_add3_u32 v121, v17, v22, 0x6e40
	v_add3_u32 v134, v17, v14, 0x6e40
	;; [unrolled: 1-line block ×3, first 2 shown]
	v_lshlrev_b32_e32 v125, 5, v25
	v_lshlrev_b32_e32 v126, 5, v26
	;; [unrolled: 1-line block ×7, first 2 shown]
	buffer_store_dword v24, off, s[20:23], 0 offset:128 ; 4-byte Folded Spill
	v_lshlrev_b32_e32 v137, 2, v24
	buffer_store_dword v12, off, s[20:23], 0 offset:136 ; 4-byte Folded Spill
	v_lshlrev_b32_e32 v12, 2, v38
	v_mov_b32_e32 v44, v19
	v_mov_b32_e32 v34, v19
	;; [unrolled: 1-line block ×15, first 2 shown]
	v_and_b32_e32 v89, 0x7c, v17
	v_mad_u32_u24 v90, 0x84, v1, v17
	v_mad_u32_u24 v131, 0x84, v0, s1
	;; [unrolled: 1-line block ×4, first 2 shown]
	v_add_co_ci_u32_e64 v32, null, s3, 0, s0
	v_lshlrev_b32_e32 v136, 2, v15
	v_lshlrev_b32_e32 v138, 2, v20
	v_add_nc_u32_e32 v147, v8, v3
	v_add_nc_u32_e32 v148, v8, v4
	buffer_store_dword v2, off, s[20:23], 0 offset:20 ; 4-byte Folded Spill
	v_add_nc_u32_e32 v2, v8, v16
	v_lshlrev_b32_e32 v149, 2, v9
	v_lshlrev_b32_e32 v150, 2, v11
	v_lshlrev_b32_e32 v151, 2, v13
	v_lshlrev_b32_e32 v152, 2, v17
	v_mov_b32_e32 v153, 0xffff
	v_mov_b32_e32 v43, v18
	;; [unrolled: 1-line block ×16, first 2 shown]
	buffer_store_dword v14, off, s[20:23], 0 ; 4-byte Folded Spill
	buffer_store_dword v12, off, s[20:23], 0 offset:140 ; 4-byte Folded Spill
	buffer_store_dword v2, off, s[20:23], 0 offset:24 ; 4-byte Folded Spill
	;; [unrolled: 1-line block ×5, first 2 shown]
.LBB151_5:                              ; =>This Loop Header: Depth=1
                                        ;     Child Loop BB151_6 Depth 2
                                        ;     Child Loop BB151_8 Depth 2
	s_clause 0x6
	buffer_load_dword v6, off, s[20:23], 0 offset:28
	buffer_load_dword v8, off, s[20:23], 0 offset:32
	;; [unrolled: 1-line block ×7, first 2 shown]
	s_mul_i32 s0, s11, 0x90
	v_lshrrev_b32_e32 v2, 5, v0
	s_mul_hi_u32 s1, s11, 0x90
	s_add_u32 s0, s5, s0
	s_addc_u32 s1, s9, s1
	s_waitcnt vmcnt(7)
	v_mul_i32_i24_e32 v4, s4, v1
	v_mad_u64_u32 v[2:3], null, 0x90, v2, s[0:1]
	s_lshl_b32 s14, s11, 3
	v_mad_u64_u32 v[4:5], null, 0x90, v4, v[2:3]
	v_add_co_u32 v4, vcc_lo, v4, v89
	v_add_co_ci_u32_e64 v5, null, 0, v5, vcc_lo
	s_waitcnt vmcnt(6)
	v_mad_u64_u32 v[6:7], null, 0x90, v6, v[2:3]
	s_waitcnt vmcnt(5)
	v_mad_u64_u32 v[8:9], null, 0x90, v8, v[2:3]
	s_waitcnt vmcnt(4)
	v_mad_u64_u32 v[10:11], null, 0x90, v10, v[2:3]
	s_waitcnt vmcnt(0)
	v_mad_u64_u32 v[53:54], null, 0x90, v20, v[2:3]
	buffer_load_dword v20, off, s[20:23], 0 offset:56 ; 4-byte Folded Reload
	v_mad_u64_u32 v[12:13], null, 0x90, v12, v[2:3]
	v_add_co_u32 v6, vcc_lo, v6, v89
	v_mad_u64_u32 v[14:15], null, 0x90, v14, v[2:3]
	v_add_co_ci_u32_e64 v7, null, 0, v7, vcc_lo
	v_add_co_u32 v8, vcc_lo, v8, v89
	v_mad_u64_u32 v[16:17], null, 0x90, v16, v[2:3]
	v_add_co_ci_u32_e64 v9, null, 0, v9, vcc_lo
	v_add_co_u32 v10, vcc_lo, v10, v89
	v_add_co_ci_u32_e64 v11, null, 0, v11, vcc_lo
	v_add_co_u32 v12, vcc_lo, v12, v89
	;; [unrolled: 2-line block ×5, first 2 shown]
	v_add_co_ci_u32_e64 v54, null, 0, v54, vcc_lo
	s_clause 0x7
	global_load_dword v71, v[4:5], off offset:16
	global_load_dword v72, v[6:7], off offset:16
	global_load_dword v73, v[8:9], off offset:16
	global_load_dword v74, v[10:11], off offset:16
	global_load_dword v75, v[12:13], off offset:16
	global_load_dword v76, v[14:15], off offset:16
	global_load_dword v77, v[16:17], off offset:16
	global_load_dword v78, v[53:54], off offset:16
	s_clause 0x6
	buffer_load_dword v4, off, s[20:23], 0 offset:60
	buffer_load_dword v8, off, s[20:23], 0 offset:64
	;; [unrolled: 1-line block ×7, first 2 shown]
	s_waitcnt vmcnt(15)
	v_mad_u64_u32 v[55:56], null, 0x90, v20, v[2:3]
	buffer_load_dword v20, off, s[20:23], 0 offset:92 ; 4-byte Folded Reload
	v_add_co_u32 v6, vcc_lo, v55, v89
	v_add_co_ci_u32_e64 v7, null, 0, v56, vcc_lo
	s_waitcnt vmcnt(7)
	v_mad_u64_u32 v[4:5], null, 0x90, v4, v[2:3]
	s_waitcnt vmcnt(6)
	v_mad_u64_u32 v[8:9], null, 0x90, v8, v[2:3]
	;; [unrolled: 2-line block ×5, first 2 shown]
	v_add_co_u32 v4, vcc_lo, v4, v89
	v_add_co_ci_u32_e64 v5, null, 0, v5, vcc_lo
	v_add_co_u32 v8, vcc_lo, v8, v89
	s_waitcnt vmcnt(2)
	v_mad_u64_u32 v[16:17], null, 0x90, v16, s[0:1]
	v_add_co_ci_u32_e64 v9, null, 0, v9, vcc_lo
	v_add_co_u32 v10, vcc_lo, v10, v89
	v_add_co_ci_u32_e64 v11, null, 0, v11, vcc_lo
	v_add_co_u32 v12, vcc_lo, v12, v89
	;; [unrolled: 2-line block ×3, first 2 shown]
	v_add_co_ci_u32_e64 v15, null, 0, v15, vcc_lo
	s_waitcnt vmcnt(0)
	v_mad_u64_u32 v[53:54], null, 0x90, v20, v[2:3]
	buffer_load_dword v20, off, s[20:23], 0 offset:96 ; 4-byte Folded Reload
	s_waitcnt vmcnt(0)
	v_mad_u64_u32 v[2:3], null, 0x90, v20, v[2:3]
	buffer_load_dword v20, off, s[20:23], 0 offset:112 ; 4-byte Folded Reload
	s_waitcnt vmcnt(0)
	v_mad_u64_u32 v[55:56], null, 0x90, v20, s[0:1]
	buffer_load_dword v20, off, s[20:23], 0 offset:136 ; 4-byte Folded Reload
	s_waitcnt vmcnt(0)
	v_add_co_u32 v57, vcc_lo, v16, v20
	v_add_co_ci_u32_e64 v58, null, 0, v17, vcc_lo
	v_add_co_u32 v16, vcc_lo, v16, v61
	v_add_co_ci_u32_e64 v17, null, 0, v17, vcc_lo
	;; [unrolled: 2-line block ×4, first 2 shown]
	s_clause 0x3
	global_load_dword v79, v[57:58], off offset:4
	global_load_dword v80, v[16:17], off offset:4
	;; [unrolled: 1-line block ×4, first 2 shown]
	s_clause 0x1
	buffer_load_dword v16, off, s[20:23], 0 offset:120
	buffer_load_dword v17, off, s[20:23], 0 offset:124
	v_lshrrev_b32_e32 v20, 3, v0
	v_add_nc_u32_e32 v65, s14, v20
	v_add_nc_u32_e32 v61, v65, v88
	;; [unrolled: 1-line block ×7, first 2 shown]
	v_mad_i64_i32 v[55:56], null, v55, 36, v[31:32]
	v_mad_i64_i32 v[57:58], null, v57, 36, v[31:32]
	v_add_nc_u32_e32 v69, v65, v118
	v_mad_i64_i32 v[59:60], null, v59, 36, v[31:32]
	v_mad_i64_i32 v[67:68], null, v67, 36, v[31:32]
	;; [unrolled: 1-line block ×3, first 2 shown]
	s_waitcnt vmcnt(1)
	v_add_nc_u32_e32 v154, s14, v16
	s_waitcnt vmcnt(0)
	v_mad_i64_i32 v[16:17], null, v61, 36, v[31:32]
	v_add_nc_u32_e32 v61, v65, v115
	v_mad_i64_i32 v[65:66], null, v66, 36, v[31:32]
	v_mad_u64_u32 v[63:64], null, v154, 36, s[2:3]
	v_mad_i64_i32 v[61:62], null, v61, 36, v[31:32]
	s_clause 0x8
	global_load_dword v63, v[63:64], off
	global_load_dword v64, v[16:17], off offset:4
	global_load_dword v55, v[55:56], off offset:4
	;; [unrolled: 1-line block ×8, first 2 shown]
	buffer_load_dword v20, off, s[20:23], 0 offset:76 ; 4-byte Folded Reload
	v_add_co_u32 v16, vcc_lo, v53, v89
	v_add_co_ci_u32_e64 v17, null, 0, v54, vcc_lo
	v_add_co_u32 v2, vcc_lo, v2, v89
	v_add_co_ci_u32_e64 v3, null, 0, v3, vcc_lo
	v_add_nc_u32_e32 v68, 0x39c0, v90
	v_add_nc_u32_e32 v69, 0x3de0, v90
	;; [unrolled: 1-line block ×6, first 2 shown]
	s_waitcnt vmcnt(0)
	v_mad_u64_u32 v[53:54], null, 0x90, v20, s[0:1]
	s_clause 0x8
	global_load_dword v6, v[6:7], off offset:16
	global_load_dword v4, v[4:5], off offset:16
	;; [unrolled: 1-line block ×8, first 2 shown]
	global_load_dword v3, v[53:54], off
	buffer_load_dword v20, off, s[20:23], 0 offset:68 ; 4-byte Folded Reload
	ds_write_b32 v86, v63
	v_add_nc_u32_e32 v11, 0x420, v90
	v_add_nc_u32_e32 v12, 0x840, v90
	;; [unrolled: 1-line block ×9, first 2 shown]
	s_mov_b32 s0, -1
	s_mov_b32 s1, 0
	s_waitcnt vmcnt(0)
	v_ashrrev_i32_e32 v70, v20, v79
	v_ashrrev_i32_e32 v79, v20, v81
	buffer_load_dword v20, off, s[20:23], 0 offset:100 ; 4-byte Folded Reload
	ds_write_b32 v146, v64
	ds_write_b32 v147, v55
	;; [unrolled: 1-line block ×3, first 2 shown]
	buffer_load_dword v1, off, s[20:23], 0 offset:8 ; 4-byte Folded Reload
	v_and_b32_e32 v63, 0xf0f0f0f, v70
	v_and_b32_e32 v70, 0xf0f0f0f, v79
	s_waitcnt vmcnt(1)
	v_ashrrev_i32_e32 v80, v20, v80
	v_ashrrev_i32_e32 v81, v20, v82
	s_waitcnt vmcnt(0)
	ds_write_b32 v1, v57
	buffer_load_dword v1, off, s[20:23], 0 offset:12 ; 4-byte Folded Reload
	s_waitcnt vmcnt(0)
	ds_write_b32 v1, v58
	buffer_load_dword v1, off, s[20:23], 0 offset:16 ; 4-byte Folded Reload
	;; [unrolled: 3-line block ×4, first 2 shown]
	s_waitcnt vmcnt(0)
	ds_write_b32 v1, v61
	ds_write_b32 v90, v71
	;; [unrolled: 1-line block ×17, first 2 shown]
	buffer_load_dword v2, off, s[20:23], 0 offset:84 ; 4-byte Folded Reload
	v_and_or_b32 v4, 0x30303030, v80, v63
	v_and_or_b32 v5, 0x30303030, v81, v70
	s_waitcnt vmcnt(0)
	ds_write_b32 v2, v3
	buffer_load_dword v2, off, s[20:23], 0 offset:108 ; 4-byte Folded Reload
	s_waitcnt vmcnt(0)
	ds_write_b32 v2, v4
	buffer_load_dword v2, off, s[20:23], 0 offset:116 ; 4-byte Folded Reload
	s_waitcnt vmcnt(0)
	ds_write_b32 v2, v5
	s_waitcnt lgkmcnt(0)
	s_waitcnt_vscnt null, 0x0
	s_barrier
	buffer_gl0_inv
	ds_read_b32 v2, v120
	ds_read_b32 v3, v121 offset:128
	ds_read_b32 v4, v134 offset:256
	buffer_load_dword v5, off, s[20:23], 0  ; 4-byte Folded Reload
	s_waitcnt lgkmcnt(2)
	v_cvt_f32_f16_e32 v155, v2
	v_cvt_f32_f16_sdwa v156, v2 dst_sel:DWORD dst_unused:UNUSED_PAD src0_sel:WORD_1
	s_waitcnt lgkmcnt(1)
	v_cvt_f32_f16_e32 v157, v3
	v_cvt_f32_f16_sdwa v158, v3 dst_sel:DWORD dst_unused:UNUSED_PAD src0_sel:WORD_1
	;; [unrolled: 3-line block ×3, first 2 shown]
	v_mov_b32_e32 v163, v155
	v_mov_b32_e32 v164, v156
	;; [unrolled: 1-line block ×6, first 2 shown]
	s_waitcnt vmcnt(0)
	ds_read_b32 v5, v5 offset:384
	s_waitcnt lgkmcnt(0)
	v_cvt_f32_f16_e32 v161, v5
	v_cvt_f32_f16_sdwa v162, v5 dst_sel:DWORD dst_unused:UNUSED_PAD src0_sel:WORD_1
	v_mov_b32_e32 v169, v161
	v_mov_b32_e32 v170, v162
.LBB151_6:                              ;   Parent Loop BB151_5 Depth=1
                                        ; =>  This Inner Loop Header: Depth=2
	s_lshl_b32 s15, s1, 1
	v_mul_u32_u24_e32 v2, 0x84, v0
	v_or_b32_e32 v184, s15, v85
	s_lshl_b32 s16, s1, 2
	v_mov_b32_e32 v175, 0
	v_add_nc_u32_e32 v210, s16, v131
	v_add_nc_u32_e32 v10, s16, v2
	v_lshlrev_b32_e32 v216, 2, v184
	v_add_nc_u32_e32 v11, s16, v132
	v_add_nc_u32_e32 v213, s16, v133
	ds_read2_b32 v[53:54], v210 offset0:4 offset1:5
	ds_read2_b32 v[65:66], v210 offset1:1
	v_mov_b32_e32 v176, 0
	ds_read_b128 v[6:9], v216 offset:16896
	ds_read_b128 v[2:5], v216 offset:16912
	ds_read2_b32 v[67:68], v11 offset1:1
	ds_read2_b32 v[55:56], v213 offset0:4 offset1:5
	ds_read2_b32 v[69:70], v213 offset1:1
	ds_read2_b32 v[71:72], v10 offset1:1
	ds_read2_b32 v[75:76], v210 offset0:2 offset1:3
	ds_read2_b32 v[77:78], v11 offset0:2 offset1:3
	;; [unrolled: 1-line block ×8, first 2 shown]
	v_mov_b32_e32 v173, 0
	v_mov_b32_e32 v171, 0
	v_or_b32_e32 v185, s15, v124
	v_mov_b32_e32 v182, 0
	v_mov_b32_e32 v181, 0
	;; [unrolled: 1-line block ×4, first 2 shown]
	v_lshlrev_b32_e32 v206, 2, v185
	v_or_b32_e32 v183, s15, v125
	v_mov_b32_e32 v179, 0
	s_waitcnt lgkmcnt(14)
	v_and_b32_e32 v208, 0xf0f0f0f, v65
	v_and_b32_e32 v220, 0xf0f0f0f, v66
	v_mov_b32_e32 v178, 0
	s_waitcnt lgkmcnt(11)
	v_and_b32_e32 v209, 0xf0f0f0f, v67
	s_waitcnt lgkmcnt(9)
	v_and_b32_e32 v218, 0xf0f0f0f, v69
	;; [unrolled: 2-line block ×3, first 2 shown]
	v_dot4c_i32_i8 v175, v208, v6
	v_and_b32_e32 v221, 0xf0f0f0f, v68
	v_dot4c_i32_i8 v176, v209, v6
	v_dot4c_i32_i8 v173, v218, v6
	v_dot4c_i32_i8 v171, v219, v6
	v_and_b32_e32 v222, 0xf0f0f0f, v70
	v_and_b32_e32 v223, 0xf0f0f0f, v72
	v_dot4c_i32_i8 v175, v220, v7
	v_dot4c_i32_i8 v176, v221, v7
	s_waitcnt lgkmcnt(7)
	v_and_b32_e32 v224, 0xf0f0f0f, v75
	v_dot4c_i32_i8 v173, v222, v7
	v_dot4c_i32_i8 v171, v223, v7
	s_waitcnt lgkmcnt(6)
	v_and_b32_e32 v225, 0xf0f0f0f, v77
	s_waitcnt lgkmcnt(3)
	v_and_b32_e32 v227, 0xf0f0f0f, v79
	;; [unrolled: 2-line block ×3, first 2 shown]
	v_dot4c_i32_i8 v175, v224, v8
	v_and_b32_e32 v229, 0xf0f0f0f, v76
	v_dot4c_i32_i8 v176, v225, v8
	v_dot4c_i32_i8 v173, v227, v8
	v_dot4c_i32_i8 v171, v228, v8
	v_and_b32_e32 v230, 0xf0f0f0f, v78
	v_and_b32_e32 v231, 0xf0f0f0f, v80
	;; [unrolled: 1-line block ×3, first 2 shown]
	v_dot4c_i32_i8 v175, v229, v9
	v_lshlrev_b32_e32 v217, 2, v183
	v_dot4c_i32_i8 v176, v230, v9
	v_dot4c_i32_i8 v173, v231, v9
	;; [unrolled: 1-line block ×3, first 2 shown]
	ds_read_b128 v[6:9], v206 offset:16896
	v_mov_b32_e32 v174, 0
	v_mov_b32_e32 v172, 0
	v_or_b32_e32 v195, s15, v126
	v_mov_b32_e32 v193, 0
	v_mov_b32_e32 v192, 0
	;; [unrolled: 1-line block ×4, first 2 shown]
	v_lshlrev_b32_e32 v207, 2, v195
	v_or_b32_e32 v194, s15, v127
	v_mov_b32_e32 v190, 0
	v_mov_b32_e32 v189, 0
	;; [unrolled: 1-line block ×4, first 2 shown]
	v_lshlrev_b32_e32 v233, 2, v194
	v_or_b32_e32 v205, s15, v128
	v_mov_b32_e32 v204, 0
	v_mov_b32_e32 v203, 0
	;; [unrolled: 1-line block ×4, first 2 shown]
	s_waitcnt lgkmcnt(0)
	v_dot4c_i32_i8 v182, v208, v6
	v_dot4c_i32_i8 v181, v209, v6
	;; [unrolled: 1-line block ×4, first 2 shown]
	v_lshlrev_b32_e32 v215, 2, v205
	v_dot4c_i32_i8 v182, v220, v7
	v_dot4c_i32_i8 v181, v221, v7
	;; [unrolled: 1-line block ×4, first 2 shown]
	v_or_b32_e32 v200, s15, v129
	v_dot4c_i32_i8 v182, v224, v8
	v_dot4c_i32_i8 v181, v225, v8
	;; [unrolled: 1-line block ×4, first 2 shown]
	v_lshlrev_b32_e32 v91, 2, v200
	v_dot4c_i32_i8 v182, v229, v9
	v_dot4c_i32_i8 v181, v230, v9
	v_dot4c_i32_i8 v180, v231, v9
	v_dot4c_i32_i8 v177, v232, v9
	ds_read_b128 v[10:13], v217 offset:16896
	ds_read_b128 v[6:9], v217 offset:16912
	v_mov_b32_e32 v196, 0
	v_mov_b32_e32 v197, 0
	;; [unrolled: 1-line block ×4, first 2 shown]
	v_or_b32_e32 v214, s15, v130
	v_mov_b32_e32 v212, 0
	v_mov_b32_e32 v211, 0
	v_lshrrev_b32_e32 v75, 4, v75
	v_lshrrev_b32_e32 v79, 4, v79
	v_lshlrev_b32_e32 v226, 2, v214
	v_lshrrev_b32_e32 v65, 4, v65
	v_lshrrev_b32_e32 v66, 4, v66
	;; [unrolled: 1-line block ×4, first 2 shown]
	v_and_b32_e32 v101, 0xf0f0f0f, v75
	v_and_b32_e32 v109, 0xf0f0f0f, v79
	;; [unrolled: 1-line block ×4, first 2 shown]
	s_waitcnt lgkmcnt(1)
	v_dot4c_i32_i8 v179, v208, v10
	v_dot4c_i32_i8 v178, v209, v10
	;; [unrolled: 1-line block ×4, first 2 shown]
	v_and_b32_e32 v79, 0xf0f0f0f, v67
	v_dot4c_i32_i8 v179, v220, v11
	v_dot4c_i32_i8 v178, v221, v11
	;; [unrolled: 1-line block ×4, first 2 shown]
	v_and_b32_e32 v112, 0xf0f0f0f, v68
	v_dot4c_i32_i8 v179, v224, v12
	v_dot4c_i32_i8 v178, v225, v12
	;; [unrolled: 1-line block ×4, first 2 shown]
	v_lshrrev_b32_e32 v69, 4, v69
	v_dot4c_i32_i8 v179, v229, v13
	v_dot4c_i32_i8 v178, v230, v13
	v_dot4c_i32_i8 v174, v231, v13
	v_dot4c_i32_i8 v172, v232, v13
	ds_read_b128 v[10:13], v207 offset:16896
	v_lshrrev_b32_e32 v71, 4, v71
	v_lshrrev_b32_e32 v70, 4, v70
	;; [unrolled: 1-line block ×3, first 2 shown]
	v_and_b32_e32 v254, 0xf0f0f0f, v69
	v_lshrrev_b32_e32 v77, 4, v77
	v_and_b32_e32 v20, 0xf0f0f0f, v71
	v_lshrrev_b32_e32 v73, 4, v73
	v_and_b32_e32 v255, 0xf0f0f0f, v70
	v_and_b32_e32 v87, 0xf0f0f0f, v72
	v_lshrrev_b32_e32 v76, 4, v76
	v_lshrrev_b32_e32 v78, 4, v78
	;; [unrolled: 1-line block ×4, first 2 shown]
	v_and_b32_e32 v103, 0xf0f0f0f, v77
	v_and_b32_e32 v119, 0xf0f0f0f, v73
	;; [unrolled: 1-line block ×6, first 2 shown]
	s_waitcnt lgkmcnt(0)
	v_dot4c_i32_i8 v193, v208, v10
	v_dot4c_i32_i8 v192, v209, v10
	v_dot4c_i32_i8 v191, v218, v10
	v_dot4c_i32_i8 v188, v219, v10
	v_mov_b32_e32 v80, 0
	v_dot4c_i32_i8 v193, v220, v11
	v_dot4c_i32_i8 v192, v221, v11
	v_dot4c_i32_i8 v191, v222, v11
	v_dot4c_i32_i8 v188, v223, v11
	v_mov_b32_e32 v77, 0
	;; [unrolled: 5-line block ×3, first 2 shown]
	v_dot4c_i32_i8 v193, v229, v13
	v_dot4c_i32_i8 v192, v230, v13
	;; [unrolled: 1-line block ×4, first 2 shown]
	ds_read_b128 v[14:17], v233 offset:16896
	ds_read_b128 v[10:13], v233 offset:16912
	v_mov_b32_e32 v76, 0
	v_mov_b32_e32 v74, 0
	;; [unrolled: 1-line block ×7, first 2 shown]
	s_lshr_b32 s1, s1, 2
	s_and_b32 vcc_lo, exec_lo, s0
	s_addk_i32 s1, 0x6200
	s_mov_b32 s0, 0
	s_waitcnt lgkmcnt(1)
	v_dot4c_i32_i8 v190, v208, v14
	v_dot4c_i32_i8 v189, v209, v14
	;; [unrolled: 1-line block ×16, first 2 shown]
	ds_read_b128 v[14:17], v215 offset:16896
	s_waitcnt lgkmcnt(0)
	v_dot4c_i32_i8 v204, v208, v14
	v_dot4c_i32_i8 v203, v209, v14
	v_dot4c_i32_i8 v202, v218, v14
	v_dot4c_i32_i8 v201, v219, v14
	v_dot4c_i32_i8 v204, v220, v15
	v_dot4c_i32_i8 v203, v221, v15
	v_dot4c_i32_i8 v202, v222, v15
	v_dot4c_i32_i8 v201, v223, v15
	v_dot4c_i32_i8 v204, v224, v16
	v_dot4c_i32_i8 v203, v225, v16
	v_dot4c_i32_i8 v202, v227, v16
	v_dot4c_i32_i8 v201, v228, v16
	v_dot4c_i32_i8 v204, v229, v17
	v_dot4c_i32_i8 v203, v230, v17
	v_dot4c_i32_i8 v202, v231, v17
	v_dot4c_i32_i8 v201, v232, v17
	ds_read_b128 v[234:237], v91 offset:16896
	ds_read_b128 v[14:17], v91 offset:16912
	s_waitcnt lgkmcnt(1)
	v_dot4c_i32_i8 v196, v208, v234
	v_dot4c_i32_i8 v197, v209, v234
	;; [unrolled: 1-line block ×16, first 2 shown]
	ds_read_b128 v[234:237], v226 offset:16896
	s_waitcnt lgkmcnt(0)
	v_dot4c_i32_i8 v212, v208, v234
	v_dot4c_i32_i8 v211, v209, v234
	v_mov_b32_e32 v209, 0
	v_mov_b32_e32 v208, 0
	v_dot4c_i32_i8 v212, v220, v235
	v_dot4c_i32_i8 v211, v221, v235
	v_dot4c_i32_i8 v209, v218, v234
	v_dot4c_i32_i8 v208, v219, v234
	v_mov_b32_e32 v221, 0
	v_dot4c_i32_i8 v212, v224, v236
	v_dot4c_i32_i8 v211, v225, v236
	v_dot4c_i32_i8 v209, v222, v235
	v_dot4c_i32_i8 v208, v223, v235
	;; [unrolled: 5-line block ×3, first 2 shown]
	v_mov_b32_e32 v230, 0
	v_mov_b32_e32 v229, 0
	;; [unrolled: 1-line block ×3, first 2 shown]
	v_dot4c_i32_i8 v209, v231, v237
	v_dot4c_i32_i8 v208, v232, v237
	ds_read_b128 v[65:68], v216 offset:16928
	ds_read_b128 v[234:237], v216 offset:16944
	v_mov_b32_e32 v232, 0
	v_mov_b32_e32 v231, 0
	;; [unrolled: 1-line block ×10, first 2 shown]
	s_waitcnt lgkmcnt(1)
	v_dot4c_i32_i8 v232, v75, v65
	v_dot4c_i32_i8 v231, v79, v65
	v_dot4c_i32_i8 v230, v254, v65
	v_dot4c_i32_i8 v229, v20, v65
	v_dot4c_i32_i8 v232, v111, v66
	v_dot4c_i32_i8 v231, v112, v66
	v_dot4c_i32_i8 v230, v255, v66
	v_dot4c_i32_i8 v229, v87, v66
	v_dot4c_i32_i8 v232, v101, v67
	v_dot4c_i32_i8 v231, v103, v67
	v_dot4c_i32_i8 v230, v109, v67
	v_dot4c_i32_i8 v229, v119, v67
	v_dot4c_i32_i8 v232, v102, v68
	v_dot4c_i32_i8 v231, v104, v68
	v_dot4c_i32_i8 v230, v110, v68
	v_dot4c_i32_i8 v229, v96, v68
	ds_read_b128 v[65:68], v206 offset:16928
	ds_read_b128 v[238:241], v206 offset:16912
	s_waitcnt lgkmcnt(1)
	v_dot4c_i32_i8 v228, v75, v65
	v_dot4c_i32_i8 v227, v79, v65
	;; [unrolled: 1-line block ×16, first 2 shown]
	ds_read_b128 v[65:68], v217 offset:16928
	ds_read_b128 v[242:245], v217 offset:16944
	v_mov_b32_e32 v217, 0
	s_waitcnt lgkmcnt(1)
	v_dot4c_i32_i8 v224, v75, v65
	v_dot4c_i32_i8 v222, v79, v65
	v_dot4c_i32_i8 v221, v254, v65
	v_dot4c_i32_i8 v219, v20, v65
	v_dot4c_i32_i8 v224, v111, v66
	v_dot4c_i32_i8 v222, v112, v66
	v_dot4c_i32_i8 v221, v255, v66
	v_dot4c_i32_i8 v219, v87, v66
	v_dot4c_i32_i8 v224, v101, v67
	v_dot4c_i32_i8 v222, v103, v67
	v_dot4c_i32_i8 v221, v109, v67
	v_dot4c_i32_i8 v219, v119, v67
	v_dot4c_i32_i8 v224, v102, v68
	v_dot4c_i32_i8 v222, v104, v68
	v_dot4c_i32_i8 v221, v110, v68
	v_dot4c_i32_i8 v219, v96, v68
	ds_read_b128 v[65:68], v207 offset:16928
	ds_read_b128 v[246:249], v207 offset:16912
	s_waitcnt lgkmcnt(1)
	v_dot4c_i32_i8 v220, v75, v65
	v_dot4c_i32_i8 v218, v79, v65
	v_dot4c_i32_i8 v80, v254, v65
	v_dot4c_i32_i8 v77, v20, v65
	v_dot4c_i32_i8 v220, v111, v66
	v_dot4c_i32_i8 v218, v112, v66
	v_dot4c_i32_i8 v80, v255, v66
	v_dot4c_i32_i8 v77, v87, v66
	v_dot4c_i32_i8 v220, v101, v67
	v_dot4c_i32_i8 v218, v103, v67
	v_dot4c_i32_i8 v80, v109, v67
	v_dot4c_i32_i8 v77, v119, v67
	v_dot4c_i32_i8 v220, v102, v68
	v_dot4c_i32_i8 v218, v104, v68
	v_dot4c_i32_i8 v80, v110, v68
	v_dot4c_i32_i8 v77, v96, v68
	ds_read_b128 v[65:68], v233 offset:16928
	ds_read_b128 v[250:253], v233 offset:16944
	;; [unrolled: 19-line block ×3, first 2 shown]
	ds_read_b128 v[81:84], v91 offset:16928
	ds_read_b128 v[91:94], v91 offset:16944
	s_waitcnt lgkmcnt(3)
	v_dot4c_i32_i8 v73, v75, v65
	v_dot4c_i32_i8 v71, v79, v65
	v_dot4c_i32_i8 v70, v254, v65
	v_dot4c_i32_i8 v69, v20, v65
	v_mov_b32_e32 v65, 0
	v_dot4c_i32_i8 v73, v111, v66
	v_dot4c_i32_i8 v71, v112, v66
	v_dot4c_i32_i8 v70, v255, v66
	v_dot4c_i32_i8 v69, v87, v66
	v_mov_b32_e32 v66, 0
	;; [unrolled: 5-line block ×4, first 2 shown]
	s_waitcnt lgkmcnt(1)
	v_dot4c_i32_i8 v65, v75, v81
	v_dot4c_i32_i8 v66, v79, v81
	;; [unrolled: 1-line block ×16, first 2 shown]
	ds_read_b128 v[81:84], v226 offset:16928
	ds_read_b128 v[97:100], v226 offset:16912
	s_waitcnt lgkmcnt(1)
	v_dot4c_i32_i8 v217, v75, v81
	v_dot4c_i32_i8 v216, v79, v81
	v_mov_b32_e32 v79, 0
	v_mov_b32_e32 v75, 0
	v_dot4c_i32_i8 v217, v111, v82
	v_dot4c_i32_i8 v216, v112, v82
	v_dot4c_i32_i8 v79, v254, v81
	v_dot4c_i32_i8 v75, v20, v81
	v_and_b32_e32 v20, 0xf0f0f0f, v53
	v_dot4c_i32_i8 v217, v101, v83
	v_dot4c_i32_i8 v216, v103, v83
	v_dot4c_i32_i8 v79, v255, v82
	v_dot4c_i32_i8 v75, v87, v82
	v_and_b32_e32 v87, 0xf0f0f0f, v61
	;; [unrolled: 5-line block ×4, first 2 shown]
	v_dot4c_i32_i8 v176, v83, v2
	v_and_b32_e32 v96, 0xf0f0f0f, v54
	v_and_b32_e32 v101, 0xf0f0f0f, v64
	;; [unrolled: 1-line block ×3, first 2 shown]
	v_dot4c_i32_i8 v173, v84, v2
	v_and_b32_e32 v103, 0xf0f0f0f, v62
	v_dot4c_i32_i8 v175, v96, v3
	v_dot4c_i32_i8 v176, v101, v3
	ds_read2_b32 v[81:82], v213 offset0:6 offset1:7
	v_dot4c_i32_i8 v173, v102, v3
	v_dot4c_i32_i8 v171, v103, v3
	ds_read2_b32 v[2:3], v210 offset0:6 offset1:7
	v_dot4c_i32_i8 v182, v20, v238
	v_dot4c_i32_i8 v179, v20, v6
	;; [unrolled: 1-line block ×6, first 2 shown]
	s_waitcnt lgkmcnt(2)
	v_dot4c_i32_i8 v212, v20, v97
	v_and_b32_e32 v109, 0xf0f0f0f, v57
	v_and_b32_e32 v111, 0xf0f0f0f, v59
	v_dot4c_i32_i8 v182, v96, v239
	v_dot4c_i32_i8 v179, v96, v7
	;; [unrolled: 1-line block ×7, first 2 shown]
	s_waitcnt lgkmcnt(1)
	v_and_b32_e32 v110, 0xf0f0f0f, v81
	v_dot4c_i32_i8 v176, v109, v4
	v_dot4c_i32_i8 v171, v111, v4
	s_waitcnt lgkmcnt(0)
	v_and_b32_e32 v104, 0xf0f0f0f, v2
	v_and_b32_e32 v112, 0xf0f0f0f, v58
	v_dot4c_i32_i8 v173, v110, v4
	v_and_b32_e32 v119, 0xf0f0f0f, v82
	v_and_b32_e32 v210, 0xf0f0f0f, v60
	v_dot4c_i32_i8 v175, v104, v4
	v_and_b32_e32 v4, 0xf0f0f0f, v3
	v_dot4c_i32_i8 v182, v104, v240
	v_dot4c_i32_i8 v178, v83, v6
	;; [unrolled: 1-line block ×24, first 2 shown]
	v_lshrrev_b32_e32 v4, 4, v53
	v_lshrrev_b32_e32 v5, 4, v54
	;; [unrolled: 1-line block ×4, first 2 shown]
	v_dot4c_i32_i8 v178, v109, v8
	v_dot4c_i32_i8 v174, v110, v8
	;; [unrolled: 1-line block ×3, first 2 shown]
	v_lshrrev_b32_e32 v8, 4, v55
	v_and_b32_e32 v20, 0xf0f0f0f, v4
	v_and_b32_e32 v53, 0xf0f0f0f, v5
	;; [unrolled: 1-line block ×4, first 2 shown]
	ds_read_b128 v[2:5], v206 offset:16944
	v_dot4c_i32_i8 v189, v83, v10
	v_dot4c_i32_i8 v187, v84, v10
	v_dot4c_i32_i8 v186, v87, v10
	v_dot4c_i32_i8 v197, v83, v14
	v_dot4c_i32_i8 v198, v84, v14
	v_dot4c_i32_i8 v199, v87, v14
	v_lshrrev_b32_e32 v6, 4, v63
	v_lshrrev_b32_e32 v14, 4, v61
	v_dot4c_i32_i8 v178, v112, v9
	v_dot4c_i32_i8 v174, v119, v9
	;; [unrolled: 1-line block ×9, first 2 shown]
	v_lshrrev_b32_e32 v7, 4, v64
	v_lshrrev_b32_e32 v9, 4, v56
	;; [unrolled: 1-line block ×3, first 2 shown]
	v_and_b32_e32 v6, 0xf0f0f0f, v6
	v_and_b32_e32 v8, 0xf0f0f0f, v8
	;; [unrolled: 1-line block ×3, first 2 shown]
	v_dot4c_i32_i8 v189, v109, v12
	v_dot4c_i32_i8 v187, v110, v12
	;; [unrolled: 1-line block ×6, first 2 shown]
	v_lshrrev_b32_e32 v10, 4, v81
	v_lshrrev_b32_e32 v12, 4, v57
	;; [unrolled: 1-line block ×3, first 2 shown]
	v_and_b32_e32 v7, 0xf0f0f0f, v7
	v_and_b32_e32 v9, 0xf0f0f0f, v9
	;; [unrolled: 1-line block ×3, first 2 shown]
	s_waitcnt lgkmcnt(0)
	v_dot4c_i32_i8 v228, v20, v2
	v_dot4c_i32_i8 v227, v6, v2
	;; [unrolled: 1-line block ×10, first 2 shown]
	v_lshrrev_b32_e32 v11, 4, v82
	v_lshrrev_b32_e32 v13, 4, v58
	v_lshrrev_b32_e32 v17, 4, v60
	v_and_b32_e32 v10, 0xf0f0f0f, v10
	v_and_b32_e32 v12, 0xf0f0f0f, v12
	;; [unrolled: 1-line block ×3, first 2 shown]
	v_dot4c_i32_i8 v228, v53, v3
	v_dot4c_i32_i8 v227, v7, v3
	;; [unrolled: 1-line block ×4, first 2 shown]
	v_and_b32_e32 v11, 0xf0f0f0f, v11
	v_and_b32_e32 v13, 0xf0f0f0f, v13
	;; [unrolled: 1-line block ×3, first 2 shown]
	v_dot4c_i32_i8 v228, v54, v4
	v_dot4c_i32_i8 v227, v12, v4
	;; [unrolled: 1-line block ×9, first 2 shown]
	ds_read_b128 v[2:5], v207 offset:16944
	v_dot4c_i32_i8 v231, v6, v234
	v_dot4c_i32_i8 v222, v6, v242
	;; [unrolled: 1-line block ×19, first 2 shown]
	s_waitcnt lgkmcnt(0)
	v_dot4c_i32_i8 v220, v20, v2
	v_dot4c_i32_i8 v218, v6, v2
	v_dot4c_i32_i8 v80, v8, v2
	v_dot4c_i32_i8 v77, v14, v2
	v_dot4c_i32_i8 v231, v12, v236
	v_dot4c_i32_i8 v220, v53, v3
	v_dot4c_i32_i8 v218, v7, v3
	v_dot4c_i32_i8 v80, v9, v3
	v_dot4c_i32_i8 v77, v15, v3
	v_dot4c_i32_i8 v230, v10, v236
	v_dot4c_i32_i8 v220, v54, v4
	v_dot4c_i32_i8 v218, v12, v4
	v_dot4c_i32_i8 v80, v10, v4
	v_dot4c_i32_i8 v77, v16, v4
	v_dot4c_i32_i8 v221, v10, v244
	v_dot4c_i32_i8 v220, v55, v5
	v_dot4c_i32_i8 v218, v13, v5
	v_dot4c_i32_i8 v80, v11, v5
	v_dot4c_i32_i8 v77, v17, v5
	ds_read_b128 v[2:5], v215 offset:16944
	v_dot4c_i32_i8 v74, v10, v252
	v_dot4c_i32_i8 v67, v10, v93
	;; [unrolled: 1-line block ×19, first 2 shown]
	s_waitcnt lgkmcnt(0)
	v_dot4c_i32_i8 v73, v20, v2
	v_dot4c_i32_i8 v71, v6, v2
	;; [unrolled: 1-line block ×19, first 2 shown]
	ds_read_b128 v[2:5], v226 offset:16944
	v_dot4c_i32_i8 v219, v16, v244
	v_dot4c_i32_i8 v72, v16, v252
	;; [unrolled: 1-line block ×19, first 2 shown]
	s_waitcnt lgkmcnt(0)
	v_dot4c_i32_i8 v217, v20, v2
	v_dot4c_i32_i8 v216, v6, v2
	;; [unrolled: 1-line block ×4, first 2 shown]
	v_lshrrev_b32_e32 v2, 1, v184
	v_dot4c_i32_i8 v217, v53, v3
	v_dot4c_i32_i8 v216, v7, v3
	;; [unrolled: 1-line block ×9, first 2 shown]
	v_add3_u32 v4, s1, v137, v149
	v_dot4c_i32_i8 v217, v55, v5
	v_dot4c_i32_i8 v216, v13, v5
	;; [unrolled: 1-line block ×4, first 2 shown]
	ds_read_u16 v3, v4
	v_dot4c_i32_i8 v224, v55, v245
	v_dot4c_i32_i8 v78, v55, v253
	;; [unrolled: 1-line block ×19, first 2 shown]
	s_waitcnt lgkmcnt(0)
	v_and_b32_e32 v5, 0xff, v3
	v_and_b32_sdwa v6, v153, v3 dst_sel:DWORD dst_unused:UNUSED_PAD src0_sel:DWORD src1_sel:BYTE_1
	v_dot4c_i32_i8 v177, v210, v241
	v_dot4c_i32_i8 v211, v101, v98
	;; [unrolled: 1-line block ×3, first 2 shown]
	v_mul_lo_u32 v3, v175, v5
	v_mul_lo_u32 v7, v232, v6
	v_mul_lo_u32 v62, v228, v6
	v_mul_lo_u32 v91, v224, v6
	v_dot4c_i32_i8 v208, v103, v98
	v_dot4c_i32_i8 v211, v109, v99
	;; [unrolled: 1-line block ×4, first 2 shown]
	v_cvt_f32_i32_e32 v8, v3
	ds_read_b64 v[2:3], v2 offset:27200
	v_cvt_f32_i32_e32 v7, v7
	v_cvt_f32_i32_e32 v62, v62
	;; [unrolled: 1-line block ×3, first 2 shown]
	v_dot4c_i32_i8 v208, v111, v99
	v_dot4c_i32_i8 v203, v101, v106
	v_dot4c_i32_i8 v211, v112, v100
	v_dot4c_i32_i8 v209, v119, v100
	v_dot4c_i32_i8 v192, v109, v248
	v_dot4c_i32_i8 v208, v210, v100
	v_mul_lo_u32 v100, v220, v6
	v_dot4c_i32_i8 v191, v102, v247
	v_dot4c_i32_i8 v202, v102, v106
	;; [unrolled: 1-line block ×6, first 2 shown]
	v_mul_lo_u32 v78, v78, v6
	v_cvt_f32_i32_e32 v100, v100
	v_dot4c_i32_i8 v188, v111, v248
	s_waitcnt lgkmcnt(0)
	v_fma_mix_f32 v8, v2, v8, 0 op_sel_hi:[1,0,0]
	v_dot4c_i32_i8 v191, v119, v249
	v_dot4c_i32_i8 v203, v109, v107
	;; [unrolled: 1-line block ×4, first 2 shown]
	v_fma_mix_f32 v7, v3, v7, v8 op_sel_hi:[1,0,0]
	v_add3_u32 v8, s1, v136, v150
	v_cvt_f32_i32_e32 v78, v78
	v_dot4c_i32_i8 v201, v111, v107
	v_dot4c_i32_i8 v203, v112, v108
	;; [unrolled: 1-line block ×3, first 2 shown]
	ds_read_u16 v9, v8
	v_mul_lo_u32 v73, v73, v6
	v_dot4c_i32_i8 v201, v210, v108
	v_cvt_f32_i32_e32 v73, v73
	s_waitcnt lgkmcnt(0)
	v_and_b32_e32 v10, 0xff, v9
	v_and_b32_sdwa v9, v153, v9 dst_sel:DWORD dst_unused:UNUSED_PAD src0_sel:DWORD src1_sel:BYTE_1
	v_mul_lo_u32 v11, v176, v10
	v_mul_lo_u32 v12, v231, v9
	;; [unrolled: 1-line block ×7, first 2 shown]
	v_cvt_f32_i32_e32 v11, v11
	v_cvt_f32_i32_e32 v12, v12
	;; [unrolled: 1-line block ×5, first 2 shown]
	v_fma_mix_f32 v11, v2, v11, 0 op_sel_hi:[1,0,0]
	v_cvt_f32_i32_e32 v76, v76
	v_cvt_f32_i32_e32 v71, v71
	v_fma_mix_f32 v11, v3, v12, v11 op_sel_hi:[1,0,0]
	v_add3_u32 v12, s1, v135, v151
	ds_read_u16 v13, v12
	s_waitcnt lgkmcnt(0)
	v_and_b32_e32 v14, 0xff, v13
	v_and_b32_sdwa v13, v153, v13 dst_sel:DWORD dst_unused:UNUSED_PAD src0_sel:DWORD src1_sel:BYTE_1
	v_mul_lo_u32 v15, v173, v14
	v_mul_lo_u32 v16, v230, v13
	;; [unrolled: 1-line block ×8, first 2 shown]
	v_cvt_f32_i32_e32 v15, v15
	v_cvt_f32_i32_e32 v16, v16
	v_cvt_f32_i32_e32 v81, v81
	v_cvt_f32_i32_e32 v94, v94
	v_cvt_f32_i32_e32 v80, v80
	v_fma_mix_f32 v15, v2, v15, 0 op_sel_hi:[1,0,0]
	v_cvt_f32_i32_e32 v74, v74
	v_cvt_f32_i32_e32 v70, v70
	;; [unrolled: 1-line block ×3, first 2 shown]
	v_mul_lo_u32 v79, v79, v13
	v_fma_mix_f32 v15, v3, v16, v15 op_sel_hi:[1,0,0]
	v_add3_u32 v16, s1, v138, v152
	v_mul_lo_u32 v9, v66, v9
	v_mul_lo_u32 v13, v67, v13
	s_mov_b32 s1, 8
	ds_read_u16 v17, v16
	ds_read_u16 v4, v4 offset:8
	ds_read_u16 v8, v8 offset:8
	;; [unrolled: 1-line block ×4, first 2 shown]
	v_cvt_f32_i32_e32 v79, v79
	v_cvt_f32_i32_e32 v9, v9
	s_waitcnt lgkmcnt(2)
	v_cvt_f32_ubyte0_e32 v55, v8
	v_and_b32_e32 v20, 0xff, v17
	v_and_b32_sdwa v17, v153, v17 dst_sel:DWORD dst_unused:UNUSED_PAD src0_sel:DWORD src1_sel:BYTE_1
	s_waitcnt lgkmcnt(1)
	v_cvt_f32_ubyte0_e32 v56, v12
	s_waitcnt lgkmcnt(0)
	v_cvt_f32_ubyte0_e32 v57, v16
	v_cvt_f32_ubyte1_e32 v8, v8
	v_mul_lo_u32 v53, v171, v20
	v_mul_lo_u32 v54, v229, v17
	v_cvt_f32_ubyte1_e32 v12, v12
	v_cvt_f32_ubyte1_e32 v16, v16
	v_fma_mix_f32 v59, v55, v2, 0 op_sel:[0,1,0] op_sel_hi:[0,1,0]
	v_fma_mix_f32 v60, v56, v2, 0 op_sel:[0,1,0] op_sel_hi:[0,1,0]
	v_mul_lo_u32 v82, v223, v17
	v_mul_lo_u32 v96, v219, v17
	v_cvt_f32_i32_e32 v53, v53
	v_cvt_f32_i32_e32 v54, v54
	v_fma_mix_f32 v59, v8, v3, v59 op_sel:[0,1,0] op_sel_hi:[0,1,0]
	v_fma_mix_f32 v60, v12, v3, v60 op_sel:[0,1,0] op_sel_hi:[0,1,0]
	v_mul_lo_u32 v77, v77, v17
	v_fma_mix_f32 v53, v2, v53, 0 op_sel_hi:[1,0,0]
	v_cvt_f32_i32_e32 v82, v82
	v_cvt_f32_i32_e32 v96, v96
	v_mul_lo_u32 v72, v72, v17
	v_mul_lo_u32 v69, v69, v17
	v_fma_mix_f32 v53, v3, v54, v53 op_sel_hi:[1,0,0]
	v_cvt_f32_ubyte0_e32 v54, v4
	v_cvt_f32_ubyte1_e32 v4, v4
	v_cvt_f32_i32_e32 v77, v77
	v_mul_lo_u32 v171, v217, v6
	v_mul_lo_u32 v75, v75, v17
	v_fma_mix_f32 v58, v54, v2, 0 op_sel:[0,1,0] op_sel_hi:[0,1,0]
	v_fma_mix_f32 v2, v57, v2, 0 op_sel:[0,1,0] op_sel_hi:[0,1,0]
	v_cvt_f32_i32_e32 v72, v72
	v_cvt_f32_i32_e32 v69, v69
	v_mul_lo_u32 v6, v65, v6
	v_fma_mix_f32 v58, v4, v3, v58 op_sel:[0,1,0] op_sel_hi:[0,1,0]
	v_fma_mix_f32 v61, v16, v3, v2 op_sel:[0,1,0] op_sel_hi:[0,1,0]
	v_mul_lo_u32 v3, v182, v5
	v_lshrrev_b32_e32 v2, 1, v185
	v_cvt_f32_i32_e32 v171, v171
	v_cvt_f32_i32_e32 v75, v75
	v_mul_lo_u32 v17, v68, v17
	v_cvt_f32_i32_e32 v6, v6
	v_mul_f32_e32 v61, v61, v156
	v_cvt_f32_i32_e32 v63, v3
	ds_read_b64 v[2:3], v2 offset:27200
	v_fma_f32 v53, v53, v155, -v61
	v_add_f32_e32 v18, v18, v53
	s_waitcnt lgkmcnt(0)
	v_fma_mix_f32 v63, v2, v63, 0 op_sel_hi:[1,0,0]
	v_fma_mix_f32 v83, v55, v2, 0 op_sel:[0,1,0] op_sel_hi:[0,1,0]
	v_fma_mix_f32 v84, v56, v2, 0 op_sel:[0,1,0] op_sel_hi:[0,1,0]
	v_fma_mix_f32 v62, v3, v62, v63 op_sel_hi:[1,0,0]
	v_mul_lo_u32 v63, v181, v10
	v_fma_mix_f32 v83, v8, v3, v83 op_sel:[0,1,0] op_sel_hi:[0,1,0]
	v_fma_mix_f32 v84, v12, v3, v84 op_sel:[0,1,0] op_sel_hi:[0,1,0]
	v_cvt_f32_i32_e32 v63, v63
	v_fma_mix_f32 v63, v2, v63, 0 op_sel_hi:[1,0,0]
	v_fma_mix_f32 v63, v3, v64, v63 op_sel_hi:[1,0,0]
	v_mul_lo_u32 v64, v180, v14
	v_cvt_f32_i32_e32 v64, v64
	v_fma_mix_f32 v64, v2, v64, 0 op_sel_hi:[1,0,0]
	v_fma_mix_f32 v64, v3, v81, v64 op_sel_hi:[1,0,0]
	v_mul_lo_u32 v81, v177, v20
	v_cvt_f32_i32_e32 v81, v81
	v_fma_mix_f32 v81, v2, v81, 0 op_sel_hi:[1,0,0]
	v_fma_mix_f32 v81, v3, v82, v81 op_sel_hi:[1,0,0]
	v_fma_mix_f32 v82, v54, v2, 0 op_sel:[0,1,0] op_sel_hi:[0,1,0]
	v_fma_mix_f32 v2, v57, v2, 0 op_sel:[0,1,0] op_sel_hi:[0,1,0]
	;; [unrolled: 1-line block ×4, first 2 shown]
	v_mul_lo_u32 v3, v179, v5
	v_lshrrev_b32_e32 v2, 1, v183
	v_mul_f32_e32 v61, v87, v164
	v_cvt_f32_i32_e32 v92, v3
	ds_read_b64 v[2:3], v2 offset:27200
	v_fma_f32 v61, v81, v163, -v61
	v_add_f32_e32 v19, v19, v61
	s_waitcnt lgkmcnt(0)
	v_fma_mix_f32 v92, v92, v2, 0 op_sel_hi:[0,1,0]
	v_fma_mix_f32 v97, v55, v2, 0 op_sel:[0,1,0] op_sel_hi:[0,1,0]
	v_fma_mix_f32 v98, v56, v2, 0 op_sel:[0,1,0] op_sel_hi:[0,1,0]
	v_fma_mix_f32 v91, v91, v3, v92 op_sel_hi:[0,1,0]
	v_mul_lo_u32 v92, v178, v10
	v_fma_mix_f32 v97, v8, v3, v97 op_sel:[0,1,0] op_sel_hi:[0,1,0]
	v_fma_mix_f32 v98, v12, v3, v98 op_sel:[0,1,0] op_sel_hi:[0,1,0]
	v_cvt_f32_i32_e32 v92, v92
	v_fma_mix_f32 v92, v92, v2, 0 op_sel_hi:[0,1,0]
	v_fma_mix_f32 v92, v93, v3, v92 op_sel_hi:[0,1,0]
	v_mul_lo_u32 v93, v174, v14
	v_cvt_f32_i32_e32 v93, v93
	v_fma_mix_f32 v93, v93, v2, 0 op_sel_hi:[0,1,0]
	v_fma_mix_f32 v93, v94, v3, v93 op_sel_hi:[0,1,0]
	v_mul_lo_u32 v94, v172, v20
	v_cvt_f32_i32_e32 v94, v94
	v_fma_mix_f32 v94, v94, v2, 0 op_sel_hi:[0,1,0]
	v_fma_mix_f32 v94, v96, v3, v94 op_sel_hi:[0,1,0]
	v_fma_mix_f32 v96, v54, v2, 0 op_sel:[0,1,0] op_sel_hi:[0,1,0]
	v_fma_mix_f32 v2, v57, v2, 0 op_sel:[0,1,0] op_sel_hi:[0,1,0]
	;; [unrolled: 1-line block ×4, first 2 shown]
	v_mul_lo_u32 v3, v193, v5
	v_lshrrev_b32_e32 v2, 1, v195
	v_cvt_f32_i32_e32 v101, v3
	ds_read_b64 v[2:3], v2 offset:27200
	s_waitcnt lgkmcnt(0)
	v_fma_mix_f32 v101, v101, v2, 0 op_sel_hi:[0,1,0]
	v_fma_mix_f32 v103, v55, v2, 0 op_sel:[0,1,0] op_sel_hi:[0,1,0]
	v_fma_mix_f32 v104, v56, v2, 0 op_sel:[0,1,0] op_sel_hi:[0,1,0]
	v_fma_mix_f32 v100, v100, v3, v101 op_sel_hi:[0,1,0]
	v_mul_lo_u32 v101, v192, v10
	v_fma_mix_f32 v103, v8, v3, v103 op_sel:[0,1,0] op_sel_hi:[0,1,0]
	v_fma_mix_f32 v104, v12, v3, v104 op_sel:[0,1,0] op_sel_hi:[0,1,0]
	v_cvt_f32_i32_e32 v101, v101
	v_fma_mix_f32 v101, v101, v2, 0 op_sel_hi:[0,1,0]
	v_fma_mix_f32 v101, v102, v3, v101 op_sel_hi:[0,1,0]
	v_mul_lo_u32 v102, v191, v14
	v_cvt_f32_i32_e32 v102, v102
	v_fma_mix_f32 v102, v102, v2, 0 op_sel_hi:[0,1,0]
	v_fma_mix_f32 v80, v80, v3, v102 op_sel_hi:[0,1,0]
	v_mul_lo_u32 v102, v188, v20
	v_cvt_f32_i32_e32 v102, v102
	v_fma_mix_f32 v102, v102, v2, 0 op_sel_hi:[0,1,0]
	v_fma_mix_f32 v77, v77, v3, v102 op_sel_hi:[0,1,0]
	v_fma_mix_f32 v102, v54, v2, 0 op_sel:[0,1,0] op_sel_hi:[0,1,0]
	v_fma_mix_f32 v2, v57, v2, 0 op_sel:[0,1,0] op_sel_hi:[0,1,0]
	v_fma_mix_f32 v102, v4, v3, v102 op_sel:[0,1,0] op_sel_hi:[0,1,0]
	v_fma_mix_f32 v105, v16, v3, v2 op_sel:[0,1,0] op_sel_hi:[0,1,0]
	v_mul_lo_u32 v3, v190, v5
	v_lshrrev_b32_e32 v2, 1, v194
	v_mul_f32_e32 v65, v105, v164
	v_cvt_f32_i32_e32 v106, v3
	ds_read_b64 v[2:3], v2 offset:27200
	v_fma_f32 v65, v77, v163, -v65
	v_add_f32_e32 v44, v44, v65
	s_waitcnt lgkmcnt(0)
	v_fma_mix_f32 v106, v106, v2, 0 op_sel_hi:[0,1,0]
	v_fma_mix_f32 v107, v55, v2, 0 op_sel:[0,1,0] op_sel_hi:[0,1,0]
	v_fma_mix_f32 v108, v56, v2, 0 op_sel:[0,1,0] op_sel_hi:[0,1,0]
	v_fma_mix_f32 v78, v78, v3, v106 op_sel_hi:[0,1,0]
	v_mul_lo_u32 v106, v189, v10
	v_fma_mix_f32 v107, v8, v3, v107 op_sel:[0,1,0] op_sel_hi:[0,1,0]
	v_fma_mix_f32 v108, v12, v3, v108 op_sel:[0,1,0] op_sel_hi:[0,1,0]
	v_cvt_f32_i32_e32 v106, v106
	v_fma_mix_f32 v106, v106, v2, 0 op_sel_hi:[0,1,0]
	v_fma_mix_f32 v76, v76, v3, v106 op_sel_hi:[0,1,0]
	v_mul_lo_u32 v106, v187, v14
	v_cvt_f32_i32_e32 v106, v106
	v_fma_mix_f32 v106, v106, v2, 0 op_sel_hi:[0,1,0]
	v_fma_mix_f32 v74, v74, v3, v106 op_sel_hi:[0,1,0]
	v_mul_lo_u32 v106, v186, v20
	v_cvt_f32_i32_e32 v106, v106
	v_fma_mix_f32 v106, v106, v2, 0 op_sel_hi:[0,1,0]
	v_fma_mix_f32 v72, v72, v3, v106 op_sel_hi:[0,1,0]
	v_fma_mix_f32 v106, v54, v2, 0 op_sel:[0,1,0] op_sel_hi:[0,1,0]
	v_fma_mix_f32 v2, v57, v2, 0 op_sel:[0,1,0] op_sel_hi:[0,1,0]
	;; [unrolled: 1-line block ×4, first 2 shown]
	v_mul_lo_u32 v3, v204, v5
	v_lshrrev_b32_e32 v2, 1, v205
	v_mul_f32_e32 v66, v109, v156
	v_cvt_f32_i32_e32 v110, v3
	ds_read_b64 v[2:3], v2 offset:27200
	v_fma_f32 v66, v72, v155, -v66
	v_add_f32_e32 v33, v33, v66
	s_waitcnt lgkmcnt(0)
	v_fma_mix_f32 v110, v110, v2, 0 op_sel_hi:[0,1,0]
	v_fma_mix_f32 v111, v55, v2, 0 op_sel:[0,1,0] op_sel_hi:[0,1,0]
	v_fma_mix_f32 v112, v56, v2, 0 op_sel:[0,1,0] op_sel_hi:[0,1,0]
	v_fma_mix_f32 v73, v73, v3, v110 op_sel_hi:[0,1,0]
	v_mul_lo_u32 v110, v203, v10
	v_fma_mix_f32 v111, v8, v3, v111 op_sel:[0,1,0] op_sel_hi:[0,1,0]
	v_fma_mix_f32 v112, v12, v3, v112 op_sel:[0,1,0] op_sel_hi:[0,1,0]
	v_cvt_f32_i32_e32 v110, v110
	v_fma_mix_f32 v110, v110, v2, 0 op_sel_hi:[0,1,0]
	v_fma_mix_f32 v71, v71, v3, v110 op_sel_hi:[0,1,0]
	v_mul_lo_u32 v110, v202, v14
	v_cvt_f32_i32_e32 v110, v110
	v_fma_mix_f32 v110, v110, v2, 0 op_sel_hi:[0,1,0]
	v_fma_mix_f32 v70, v70, v3, v110 op_sel_hi:[0,1,0]
	v_mul_lo_u32 v110, v201, v20
	v_cvt_f32_i32_e32 v110, v110
	v_fma_mix_f32 v110, v110, v2, 0 op_sel_hi:[0,1,0]
	v_fma_mix_f32 v69, v69, v3, v110 op_sel_hi:[0,1,0]
	v_fma_mix_f32 v110, v54, v2, 0 op_sel:[0,1,0] op_sel_hi:[0,1,0]
	v_fma_mix_f32 v2, v57, v2, 0 op_sel:[0,1,0] op_sel_hi:[0,1,0]
	;; [unrolled: 1-line block ×4, first 2 shown]
	v_mul_lo_u32 v3, v212, v5
	v_lshrrev_b32_e32 v2, 1, v214
	v_mul_lo_u32 v5, v196, v5
	v_mul_f32_e32 v67, v119, v164
	v_cvt_f32_i32_e32 v172, v3
	ds_read_b64 v[2:3], v2 offset:27200
	v_cvt_f32_i32_e32 v5, v5
	v_fma_f32 v67, v69, v163, -v67
	v_add_f32_e32 v34, v34, v67
	s_waitcnt lgkmcnt(0)
	v_fma_mix_f32 v172, v172, v2, 0 op_sel_hi:[0,1,0]
	v_fma_mix_f32 v174, v55, v2, 0 op_sel:[0,1,0] op_sel_hi:[0,1,0]
	v_fma_mix_f32 v175, v56, v2, 0 op_sel:[0,1,0] op_sel_hi:[0,1,0]
	v_fma_mix_f32 v171, v171, v3, v172 op_sel_hi:[0,1,0]
	v_mul_lo_u32 v172, v211, v10
	v_fma_mix_f32 v174, v8, v3, v174 op_sel:[0,1,0] op_sel_hi:[0,1,0]
	v_fma_mix_f32 v175, v12, v3, v175 op_sel:[0,1,0] op_sel_hi:[0,1,0]
	v_mul_lo_u32 v10, v197, v10
	v_cvt_f32_i32_e32 v172, v172
	v_fma_mix_f32 v172, v172, v2, 0 op_sel_hi:[0,1,0]
	v_fma_mix_f32 v172, v173, v3, v172 op_sel_hi:[0,1,0]
	v_mul_lo_u32 v173, v209, v14
	v_mul_lo_u32 v14, v198, v14
	v_cvt_f32_i32_e32 v173, v173
	v_fma_mix_f32 v173, v173, v2, 0 op_sel_hi:[0,1,0]
	v_fma_mix_f32 v79, v79, v3, v173 op_sel_hi:[0,1,0]
	v_mul_lo_u32 v173, v208, v20
	v_mul_lo_u32 v20, v199, v20
	v_cvt_f32_i32_e32 v173, v173
	v_fma_mix_f32 v173, v173, v2, 0 op_sel_hi:[0,1,0]
	v_fma_mix_f32 v75, v75, v3, v173 op_sel_hi:[0,1,0]
	v_fma_mix_f32 v173, v54, v2, 0 op_sel:[0,1,0] op_sel_hi:[0,1,0]
	v_fma_mix_f32 v2, v57, v2, 0 op_sel:[0,1,0] op_sel_hi:[0,1,0]
	;; [unrolled: 1-line block ×4, first 2 shown]
	v_lshrrev_b32_e32 v2, 1, v200
	ds_read_b64 v[2:3], v2 offset:27200
	s_waitcnt lgkmcnt(0)
	v_fma_mix_f32 v5, v5, v2, 0 op_sel_hi:[0,1,0]
	v_fma_mix_f32 v54, v54, v2, 0 op_sel:[0,1,0] op_sel_hi:[0,1,0]
	v_fma_mix_f32 v5, v6, v3, v5 op_sel_hi:[0,1,0]
	v_cvt_f32_i32_e32 v6, v10
	v_fma_mix_f32 v4, v4, v3, v54 op_sel:[0,1,0] op_sel_hi:[0,1,0]
	v_fma_mix_f32 v54, v55, v2, 0 op_sel:[0,1,0] op_sel_hi:[0,1,0]
	v_cvt_f32_i32_e32 v10, v13
	v_mul_f32_e32 v13, v60, v162
	v_fma_mix_f32 v6, v6, v2, 0 op_sel_hi:[0,1,0]
	v_mul_f32_e32 v4, v4, v158
	v_fma_mix_f32 v8, v8, v3, v54 op_sel:[0,1,0] op_sel_hi:[0,1,0]
	v_fma_mix_f32 v54, v56, v2, 0 op_sel:[0,1,0] op_sel_hi:[0,1,0]
	v_fma_f32 v13, v15, v161, -v13
	v_fma_mix_f32 v6, v9, v3, v6 op_sel_hi:[0,1,0]
	v_cvt_f32_i32_e32 v9, v14
	v_mul_f32_e32 v14, v84, v170
	v_fma_mix_f32 v12, v12, v3, v54 op_sel:[0,1,0] op_sel_hi:[0,1,0]
	v_fma_mix_f32 v54, v57, v2, 0 op_sel:[0,1,0] op_sel_hi:[0,1,0]
	v_mul_f32_e32 v8, v8, v160
	v_fma_mix_f32 v9, v9, v2, 0 op_sel_hi:[0,1,0]
	v_fma_f32 v14, v64, v169, -v14
	v_mul_f32_e32 v12, v12, v162
	v_fma_mix_f32 v16, v16, v3, v54 op_sel:[0,1,0] op_sel_hi:[0,1,0]
	v_mul_f32_e32 v15, v96, v158
	v_fma_mix_f32 v9, v10, v3, v9 op_sel_hi:[0,1,0]
	v_cvt_f32_i32_e32 v10, v20
	v_mul_f32_e32 v20, v97, v160
	v_mul_f32_e32 v16, v16, v156
	;; [unrolled: 1-line block ×4, first 2 shown]
	v_fma_mix_f32 v2, v10, v2, 0 op_sel_hi:[0,1,0]
	v_cvt_f32_i32_e32 v10, v17
	v_mul_f32_e32 v17, v102, v166
	v_mul_f32_e32 v56, v104, v170
	;; [unrolled: 1-line block ×4, first 2 shown]
	v_fma_mix_f32 v2, v10, v3, v2 op_sel_hi:[0,1,0]
	v_mul_f32_e32 v3, v58, v158
	v_mul_f32_e32 v10, v59, v160
	;; [unrolled: 1-line block ×4, first 2 shown]
	v_fma_f32 v4, v5, v157, -v4
	v_fma_f32 v3, v7, v157, -v3
	v_mul_f32_e32 v7, v82, v166
	v_fma_f32 v10, v11, v159, -v10
	v_mul_f32_e32 v11, v83, v168
	v_mul_f32_e32 v5, v173, v166
	v_fma_f32 v6, v6, v159, -v8
	v_fma_f32 v7, v62, v165, -v7
	v_mul_f32_e32 v62, v108, v162
	v_fma_f32 v11, v63, v167, -v11
	v_mul_f32_e32 v63, v112, v170
	v_mul_f32_e32 v8, v174, v168
	v_fma_f32 v9, v9, v161, -v12
	v_mul_f32_e32 v12, v175, v170
	;; [unrolled: 3-line block ×3, first 2 shown]
	v_fma_f32 v15, v91, v157, -v15
	v_fma_f32 v17, v100, v165, -v17
	;; [unrolled: 1-line block ×17, first 2 shown]
	v_add_f32_e32 v48, v48, v7
	v_add_f32_e32 v47, v47, v3
	;; [unrolled: 1-line block ×27, first 2 shown]
	s_cbranch_vccnz .LBB151_6
; %bb.7:                                ;   in Loop: Header=BB151_5 Depth=1
	buffer_load_dword v2, off, s[20:23], 0 offset:128 ; 4-byte Folded Reload
	v_add_nc_u32_e32 v12, 4, v154
	s_waitcnt vmcnt(0)
	s_barrier
	buffer_gl0_inv
	v_mov_b32_e32 v1, v113
	v_mad_u64_u32 v[12:13], null, v12, 36, s[2:3]
	v_mov_b32_e32 v141, v114
	v_mov_b32_e32 v142, v115
	;; [unrolled: 1-line block ×9, first 2 shown]
	v_mad_u32_u24 v75, 0x84, v0, 64
	s_mov_b32 s0, 16
	s_mov_b32 s1, 0
	v_add_nc_u32_e32 v14, s14, v2
	s_mov_b32 s14, 0
	v_add_nc_u32_e32 v2, v14, v88
	v_add_nc_u32_e32 v4, v14, v95
	;; [unrolled: 1-line block ×5, first 2 shown]
	v_mad_i64_i32 v[2:3], null, v2, 36, v[31:32]
	v_add_nc_u32_e32 v15, v14, v116
	v_mad_i64_i32 v[4:5], null, v4, 36, v[31:32]
	v_add_nc_u32_e32 v16, v14, v117
	;; [unrolled: 2-line block ×3, first 2 shown]
	v_mad_i64_i32 v[8:9], null, v8, 36, v[31:32]
	v_mad_i64_i32 v[10:11], null, v10, 36, v[31:32]
	;; [unrolled: 1-line block ×5, first 2 shown]
	s_clause 0x8
	global_load_dword v12, v[12:13], off
	global_load_dword v2, v[2:3], off offset:4
	global_load_dword v3, v[4:5], off offset:4
	;; [unrolled: 1-line block ×8, first 2 shown]
	s_waitcnt vmcnt(8)
	ds_write_b32 v86, v12
	s_waitcnt vmcnt(7)
	ds_write_b32 v146, v2
	buffer_load_dword v2, off, s[20:23], 0 offset:8 ; 4-byte Folded Reload
	s_waitcnt vmcnt(7)
	ds_write_b32 v147, v3
	s_waitcnt vmcnt(6)
	ds_write_b32 v148, v4
	v_mov_b32_e32 v146, v120
	v_mov_b32_e32 v147, v121
	;; [unrolled: 1-line block ×3, first 2 shown]
	s_waitcnt vmcnt(0)
	ds_write_b32 v2, v5
	buffer_load_dword v2, off, s[20:23], 0 offset:12 ; 4-byte Folded Reload
	s_waitcnt vmcnt(0)
	ds_write_b32 v2, v6
	buffer_load_dword v2, off, s[20:23], 0 offset:16 ; 4-byte Folded Reload
	;; [unrolled: 3-line block ×4, first 2 shown]
	s_waitcnt vmcnt(0)
	ds_write_b32 v2, v9
	s_waitcnt lgkmcnt(0)
	s_barrier
	buffer_gl0_inv
	s_clause 0x2
	buffer_load_dword v5, off, s[20:23], 0
	buffer_load_dword v6, off, s[20:23], 0 offset:4
	buffer_load_dword v57, off, s[20:23], 0 offset:132
	ds_read_b32 v2, v120
	ds_read_b32 v3, v121 offset:128
	ds_read_b32 v4, v134 offset:256
	s_waitcnt lgkmcnt(1)
	v_cvt_f32_f16_e32 v61, v3
	v_cvt_f32_f16_sdwa v62, v3 dst_sel:DWORD dst_unused:UNUSED_PAD src0_sel:WORD_1
	s_waitcnt lgkmcnt(0)
	v_cvt_f32_f16_e32 v63, v4
	v_cvt_f32_f16_sdwa v64, v4 dst_sel:DWORD dst_unused:UNUSED_PAD src0_sel:WORD_1
	v_mov_b32_e32 v69, v61
	v_mov_b32_e32 v70, v62
	;; [unrolled: 1-line block ×4, first 2 shown]
	s_waitcnt vmcnt(2)
	ds_read_b32 v5, v5 offset:384
	v_cvt_f32_f16_e32 v59, v2
	v_cvt_f32_f16_sdwa v60, v2 dst_sel:DWORD dst_unused:UNUSED_PAD src0_sel:WORD_1
	s_waitcnt vmcnt(1)
	v_lshl_add_u32 v58, v6, 4, 0x6a40
	v_mov_b32_e32 v67, v59
	v_mov_b32_e32 v68, v60
	s_waitcnt lgkmcnt(0)
	v_cvt_f32_f16_e32 v65, v5
	v_cvt_f32_f16_sdwa v66, v5 dst_sel:DWORD dst_unused:UNUSED_PAD src0_sel:WORD_1
	v_mov_b32_e32 v73, v65
	v_mov_b32_e32 v74, v66
.LBB151_8:                              ;   Parent Loop BB151_5 Depth=1
                                        ; =>  This Inner Loop Header: Depth=2
	v_lshlrev_b32_e32 v12, 4, v0
	s_lshr_b32 s15, s0, 2
	ds_read2_b32 v[6:7], v75 offset1:1
	s_waitcnt vmcnt(0)
	ds_read_b128 v[76:79], v57
	s_and_b32 s15, s15, 0x3ffffffc
	ds_read2_b32 v[101:102], v75 offset0:2 offset1:3
	ds_read2_b32 v[10:11], v75 offset0:4 offset1:5
	;; [unrolled: 1-line block ×3, first 2 shown]
	ds_read_b128 v[2:5], v57 offset:16
	v_add_nc_u32_e32 v160, s1, v12
	v_add_nc_u32_e32 v12, 0x1080, v75
	;; [unrolled: 1-line block ×4, first 2 shown]
	v_mov_b32_e32 v170, 0
	v_add3_u32 v173, v135, s15, v160
	ds_read2_b32 v[103:104], v12 offset1:1
	v_add3_u32 v179, v137, s15, v160
	v_mov_b32_e32 v171, 0
	v_mov_b32_e32 v165, 0
	ds_read_u16 v159, v173 offset:26632
	v_add_nc_u32_e32 v12, 0x3180, v75
	ds_read_u16 v157, v179 offset:25608
	v_mov_b32_e32 v164, 0
	v_add_nc_u32_e32 v53, 0x1098, v75
	v_add_nc_u32_e32 v54, 0x3190, v75
	ds_read2_b32 v[109:110], v12 offset1:1
	v_add_nc_u32_e32 v12, 0x2110, v75
	s_waitcnt lgkmcnt(9)
	v_and_b32_e32 v20, 0xf0f0f0f, v6
	v_and_b32_e32 v80, 0xf0f0f0f, v7
	ds_read2_b32 v[12:13], v12 offset1:1
	ds_read2_b32 v[111:112], v14 offset1:1
	v_add_nc_u32_e32 v14, 0x1088, v75
	s_waitcnt lgkmcnt(10)
	v_dot4c_i32_i8 v170, v20, v76
	ds_read2_b32 v[190:191], v14 offset1:1
	ds_read2_b32 v[16:17], v15 offset1:1
	;; [unrolled: 1-line block ×3, first 2 shown]
	s_waitcnt lgkmcnt(8)
	v_and_b32_e32 v87, 0xf0f0f0f, v103
	v_add_nc_u32_e32 v53, 0x3188, v75
	v_and_b32_e32 v196, 0xf0f0f0f, v104
	v_dot4c_i32_i8 v170, v80, v77
	v_and_b32_e32 v119, 0xf0f0f0f, v101
	v_dot4c_i32_i8 v171, v87, v76
	v_and_b32_e32 v199, 0xf0f0f0f, v102
	s_waitcnt lgkmcnt(5)
	v_and_b32_e32 v96, 0xf0f0f0f, v109
	v_and_b32_e32 v197, 0xf0f0f0f, v110
	v_dot4c_i32_i8 v170, v119, v78
	v_dot4c_i32_i8 v171, v196, v77
	v_mov_b32_e32 v185, 0
	v_dot4c_i32_i8 v165, v96, v76
	s_waitcnt lgkmcnt(3)
	v_and_b32_e32 v198, 0xf0f0f0f, v111
	v_and_b32_e32 v202, 0xf0f0f0f, v112
	v_dot4c_i32_i8 v170, v199, v79
	v_mov_b32_e32 v184, 0
	v_dot4c_i32_i8 v165, v197, v77
	v_dot4c_i32_i8 v164, v198, v76
	v_add_nc_u32_e32 v76, 0x3198, v75
	ds_read2_b32 v[192:193], v53 offset1:1
	ds_read2_b32 v[55:56], v54 offset1:1
	;; [unrolled: 1-line block ×3, first 2 shown]
	v_add_nc_u32_e32 v76, 0x2108, v75
	s_waitcnt lgkmcnt(5)
	v_and_b32_e32 v200, 0xf0f0f0f, v190
	v_dot4c_i32_i8 v164, v202, v77
	v_and_b32_e32 v203, 0xf0f0f0f, v191
	v_mov_b32_e32 v183, 0
	ds_read2_b32 v[194:195], v76 offset1:1
	v_dot4c_i32_i8 v171, v200, v78
	v_mov_b32_e32 v181, 0
	v_mov_b32_e32 v174, 0
	;; [unrolled: 1-line block ×4, first 2 shown]
	v_dot4c_i32_i8 v171, v203, v79
	v_mov_b32_e32 v162, 0
	v_mov_b32_e32 v182, 0
	v_mov_b32_e32 v180, 0
	v_mov_b32_e32 v177, 0
	v_mov_b32_e32 v175, 0
	s_waitcnt lgkmcnt(3)
	v_and_b32_e32 v201, 0xf0f0f0f, v192
	v_and_b32_e32 v204, 0xf0f0f0f, v193
	v_mov_b32_e32 v167, 0
	v_mov_b32_e32 v163, 0
	;; [unrolled: 1-line block ×3, first 2 shown]
	v_dot4c_i32_i8 v165, v201, v78
	v_mov_b32_e32 v158, 0
	v_mov_b32_e32 v178, 0
	s_waitcnt lgkmcnt(0)
	v_and_b32_e32 v205, 0xf0f0f0f, v194
	v_and_b32_e32 v206, 0xf0f0f0f, v195
	v_dot4c_i32_i8 v165, v204, v79
	v_mov_b32_e32 v176, 0
	v_mov_b32_e32 v169, 0
	v_dot4c_i32_i8 v164, v205, v78
	v_mov_b32_e32 v168, 0
	v_mov_b32_e32 v154, 0
	;; [unrolled: 1-line block ×4, first 2 shown]
	v_dot4c_i32_i8 v164, v206, v79
	ds_read_b128 v[76:79], v57 offset:1024
	ds_read_b128 v[81:84], v57 offset:1040
	v_lshrrev_b32_e32 v6, 4, v6
	v_lshrrev_b32_e32 v109, 4, v109
	;; [unrolled: 1-line block ×6, first 2 shown]
	v_and_b32_e32 v88, 0xf0f0f0f, v6
	v_mov_b32_e32 v209, 0
	v_and_b32_e32 v115, 0xf0f0f0f, v109
	v_mov_b32_e32 v210, 0
	v_and_b32_e32 v120, 0xf0f0f0f, v111
	v_and_b32_e32 v95, 0xf0f0f0f, v7
	;; [unrolled: 1-line block ×4, first 2 shown]
	v_mov_b32_e32 v215, 0
	v_mov_b32_e32 v214, 0
	;; [unrolled: 1-line block ×4, first 2 shown]
	s_waitcnt lgkmcnt(1)
	v_dot4c_i32_i8 v185, v20, v76
	v_dot4c_i32_i8 v184, v87, v76
	v_dot4c_i32_i8 v183, v96, v76
	v_dot4c_i32_i8 v181, v198, v76
	v_mov_b32_e32 v212, 0
	v_dot4c_i32_i8 v185, v80, v77
	v_dot4c_i32_i8 v184, v196, v77
	v_dot4c_i32_i8 v183, v197, v77
	v_dot4c_i32_i8 v181, v202, v77
	v_mov_b32_e32 v208, 0
	;; [unrolled: 5-line block ×3, first 2 shown]
	v_dot4c_i32_i8 v185, v199, v79
	v_dot4c_i32_i8 v184, v203, v79
	;; [unrolled: 1-line block ×4, first 2 shown]
	ds_read_b128 v[76:79], v57 offset:2048
	ds_read_b128 v[91:94], v57 offset:2064
	v_mov_b32_e32 v7, 0
	v_mov_b32_e32 v6, 0
	s_add_i32 s0, s0, 8
	s_add_i32 s1, s1, 2
	s_waitcnt lgkmcnt(1)
	v_dot4c_i32_i8 v174, v20, v76
	v_dot4c_i32_i8 v172, v87, v76
	v_dot4c_i32_i8 v166, v96, v76
	v_dot4c_i32_i8 v162, v198, v76
	v_dot4c_i32_i8 v174, v80, v77
	v_dot4c_i32_i8 v172, v196, v77
	v_dot4c_i32_i8 v166, v197, v77
	v_dot4c_i32_i8 v162, v202, v77
	v_dot4c_i32_i8 v174, v119, v78
	v_dot4c_i32_i8 v172, v200, v78
	v_dot4c_i32_i8 v166, v201, v78
	v_dot4c_i32_i8 v162, v205, v78
	v_dot4c_i32_i8 v174, v199, v79
	v_dot4c_i32_i8 v172, v203, v79
	v_dot4c_i32_i8 v166, v204, v79
	v_dot4c_i32_i8 v162, v206, v79
	ds_read_b128 v[76:79], v57 offset:3072
	ds_read_b128 v[97:100], v57 offset:3088
	s_waitcnt lgkmcnt(1)
	v_dot4c_i32_i8 v182, v20, v76
	v_dot4c_i32_i8 v180, v87, v76
	v_dot4c_i32_i8 v177, v96, v76
	v_dot4c_i32_i8 v175, v198, v76
	v_dot4c_i32_i8 v182, v80, v77
	v_dot4c_i32_i8 v180, v196, v77
	v_dot4c_i32_i8 v177, v197, v77
	v_dot4c_i32_i8 v175, v202, v77
	v_dot4c_i32_i8 v182, v119, v78
	v_dot4c_i32_i8 v180, v200, v78
	v_dot4c_i32_i8 v177, v201, v78
	v_dot4c_i32_i8 v175, v205, v78
	v_dot4c_i32_i8 v182, v199, v79
	v_dot4c_i32_i8 v180, v203, v79
	v_dot4c_i32_i8 v177, v204, v79
	v_dot4c_i32_i8 v175, v206, v79
	ds_read_b128 v[76:79], v57 offset:4096
	ds_read_b128 v[105:108], v57 offset:4112
	;; [unrolled: 19-line block ×3, first 2 shown]
	ds_read_b128 v[186:189], v57 offset:6144
	ds_read_b128 v[220:223], v57 offset:6160
	s_waitcnt lgkmcnt(3)
	v_dot4c_i32_i8 v178, v20, v76
	v_dot4c_i32_i8 v176, v87, v76
	v_dot4c_i32_i8 v169, v96, v76
	v_dot4c_i32_i8 v168, v198, v76
	v_mov_b32_e32 v76, 0
	v_dot4c_i32_i8 v178, v80, v77
	v_dot4c_i32_i8 v176, v196, v77
	v_dot4c_i32_i8 v169, v197, v77
	v_dot4c_i32_i8 v168, v202, v77
	v_mov_b32_e32 v77, 0
	;; [unrolled: 5-line block ×4, first 2 shown]
	s_waitcnt lgkmcnt(1)
	v_dot4c_i32_i8 v77, v20, v186
	v_dot4c_i32_i8 v78, v87, v186
	;; [unrolled: 1-line block ×16, first 2 shown]
	ds_read_b128 v[186:189], v57 offset:7168
	ds_read_b128 v[224:227], v57 offset:7184
	s_waitcnt lgkmcnt(1)
	v_dot4c_i32_i8 v154, v20, v186
	v_dot4c_i32_i8 v155, v87, v186
	;; [unrolled: 1-line block ×3, first 2 shown]
	v_lshrrev_b32_e32 v96, 4, v103
	v_lshrrev_b32_e32 v20, 4, v101
	v_dot4c_i32_i8 v154, v80, v187
	v_mov_b32_e32 v80, 0
	v_dot4c_i32_i8 v155, v196, v187
	v_dot4c_i32_i8 v156, v197, v187
	v_lshrrev_b32_e32 v101, 4, v104
	v_dot4c_i32_i8 v154, v119, v188
	v_dot4c_i32_i8 v80, v198, v186
	;; [unrolled: 1-line block ×4, first 2 shown]
	v_and_b32_e32 v96, 0xf0f0f0f, v96
	v_dot4c_i32_i8 v154, v199, v189
	v_dot4c_i32_i8 v80, v202, v187
	;; [unrolled: 1-line block ×4, first 2 shown]
	v_mov_b32_e32 v201, 0
	v_lshrrev_b32_e32 v87, 4, v102
	v_dot4c_i32_i8 v80, v205, v188
	v_lshrrev_b32_e32 v102, 4, v190
	v_lshrrev_b32_e32 v104, 4, v194
	;; [unrolled: 1-line block ×3, first 2 shown]
	v_and_b32_e32 v86, 0xf0f0f0f, v101
	v_dot4c_i32_i8 v80, v206, v189
	ds_read_b128 v[186:189], v57 offset:32
	ds_read_b128 v[228:231], v57 offset:48
	v_mov_b32_e32 v206, 0
	v_lshrrev_b32_e32 v103, 4, v191
	v_lshrrev_b32_e32 v119, 4, v195
	;; [unrolled: 1-line block ×3, first 2 shown]
	v_and_b32_e32 v20, 0xf0f0f0f, v20
	v_and_b32_e32 v134, 0xf0f0f0f, v102
	;; [unrolled: 1-line block ×8, first 2 shown]
	v_mov_b32_e32 v202, 0
	v_mov_b32_e32 v200, 0
	;; [unrolled: 1-line block ×6, first 2 shown]
	s_waitcnt lgkmcnt(1)
	v_dot4c_i32_i8 v209, v88, v186
	v_dot4c_i32_i8 v210, v96, v186
	v_dot4c_i32_i8 v206, v115, v186
	v_dot4c_i32_i8 v201, v120, v186
	v_mov_b32_e32 v197, 0
	v_dot4c_i32_i8 v209, v95, v187
	v_dot4c_i32_i8 v210, v86, v187
	v_dot4c_i32_i8 v206, v116, v187
	v_dot4c_i32_i8 v201, v121, v187
	v_mov_b32_e32 v195, 0
	;; [unrolled: 5-line block ×3, first 2 shown]
	v_dot4c_i32_i8 v209, v87, v189
	v_dot4c_i32_i8 v210, v113, v189
	;; [unrolled: 1-line block ×4, first 2 shown]
	ds_read_b128 v[186:189], v57 offset:1056
	ds_read_b128 v[232:235], v57 offset:1072
	v_mov_b32_e32 v192, 0
	v_mov_b32_e32 v204, 0
	;; [unrolled: 1-line block ×4, first 2 shown]
	s_waitcnt lgkmcnt(1)
	v_dot4c_i32_i8 v215, v88, v186
	v_dot4c_i32_i8 v214, v96, v186
	v_dot4c_i32_i8 v213, v115, v186
	v_dot4c_i32_i8 v211, v120, v186
	v_dot4c_i32_i8 v215, v95, v187
	v_dot4c_i32_i8 v214, v86, v187
	v_dot4c_i32_i8 v213, v116, v187
	v_dot4c_i32_i8 v211, v121, v187
	v_dot4c_i32_i8 v215, v20, v188
	v_dot4c_i32_i8 v214, v134, v188
	v_dot4c_i32_i8 v213, v117, v188
	v_dot4c_i32_i8 v211, v114, v188
	v_dot4c_i32_i8 v215, v87, v189
	v_dot4c_i32_i8 v214, v113, v189
	v_dot4c_i32_i8 v213, v118, v189
	v_dot4c_i32_i8 v211, v119, v189
	ds_read_b128 v[186:189], v57 offset:2080
	ds_read_b128 v[236:239], v57 offset:2096
	s_waitcnt lgkmcnt(1)
	v_dot4c_i32_i8 v202, v88, v186
	v_dot4c_i32_i8 v200, v96, v186
	v_dot4c_i32_i8 v196, v115, v186
	v_dot4c_i32_i8 v194, v120, v186
	v_dot4c_i32_i8 v202, v95, v187
	v_dot4c_i32_i8 v200, v86, v187
	v_dot4c_i32_i8 v196, v116, v187
	v_dot4c_i32_i8 v194, v121, v187
	v_dot4c_i32_i8 v202, v20, v188
	v_dot4c_i32_i8 v200, v134, v188
	v_dot4c_i32_i8 v196, v117, v188
	v_dot4c_i32_i8 v194, v114, v188
	v_dot4c_i32_i8 v202, v87, v189
	v_dot4c_i32_i8 v200, v113, v189
	v_dot4c_i32_i8 v196, v118, v189
	v_dot4c_i32_i8 v194, v119, v189
	ds_read_b128 v[186:189], v57 offset:3104
	ds_read_b128 v[240:243], v57 offset:3120
	;; [unrolled: 19-line block ×4, first 2 shown]
	s_waitcnt lgkmcnt(1)
	v_dot4c_i32_i8 v207, v88, v186
	v_dot4c_i32_i8 v204, v96, v186
	;; [unrolled: 1-line block ×4, first 2 shown]
	v_mov_b32_e32 v186, 0
	v_dot4c_i32_i8 v207, v95, v187
	v_dot4c_i32_i8 v204, v86, v187
	;; [unrolled: 1-line block ×4, first 2 shown]
	v_mov_b32_e32 v187, 0
	v_dot4c_i32_i8 v207, v20, v188
	v_dot4c_i32_i8 v204, v134, v188
	;; [unrolled: 1-line block ×8, first 2 shown]
	ds_read_b128 v[188:191], v57 offset:6176
	ds_read_b128 v[252:255], v57 offset:6192
	;; [unrolled: 1-line block ×4, first 2 shown]
	v_add_nc_u32_e32 v57, 64, v57
	s_waitcnt lgkmcnt(3)
	v_dot4c_i32_i8 v187, v88, v188
	v_dot4c_i32_i8 v7, v96, v188
	v_dot4c_i32_i8 v186, v115, v188
	v_dot4c_i32_i8 v6, v120, v188
	v_mov_b32_e32 v188, 0
	v_dot4c_i32_i8 v187, v95, v189
	v_dot4c_i32_i8 v7, v86, v189
	v_dot4c_i32_i8 v186, v116, v189
	v_dot4c_i32_i8 v6, v121, v189
	v_mov_b32_e32 v189, 0
	;; [unrolled: 5-line block ×4, first 2 shown]
	s_waitcnt lgkmcnt(1)
	v_dot4c_i32_i8 v189, v96, v101
	v_dot4c_i32_i8 v190, v115, v101
	;; [unrolled: 1-line block ×3, first 2 shown]
	v_and_b32_e32 v96, 0xf0f0f0f, v17
	v_dot4c_i32_i8 v191, v88, v101
	v_dot4c_i32_i8 v189, v86, v102
	;; [unrolled: 1-line block ×4, first 2 shown]
	v_and_b32_e32 v88, 0xf0f0f0f, v55
	v_dot4c_i32_i8 v191, v95, v102
	v_and_b32_e32 v102, 0xf0f0f0f, v12
	v_and_b32_e32 v86, 0xf0f0f0f, v11
	v_dot4c_i32_i8 v188, v114, v103
	v_dot4c_i32_i8 v165, v88, v2
	;; [unrolled: 1-line block ×3, first 2 shown]
	v_and_b32_e32 v20, 0xf0f0f0f, v10
	v_and_b32_e32 v101, 0xf0f0f0f, v56
	v_dot4c_i32_i8 v164, v102, v2
	v_and_b32_e32 v114, 0xf0f0f0f, v13
	v_dot4c_i32_i8 v191, v87, v104
	;; [unrolled: 2-line block ×3, first 2 shown]
	v_dot4c_i32_i8 v165, v101, v3
	v_dot4c_i32_i8 v164, v114, v3
	;; [unrolled: 1-line block ×4, first 2 shown]
	v_add_nc_u32_e32 v2, 0x2118, v75
	v_dot4c_i32_i8 v170, v86, v3
	v_dot4c_i32_i8 v190, v117, v103
	;; [unrolled: 1-line block ×4, first 2 shown]
	ds_read2_b32 v[2:3], v2 offset1:1
	v_dot4c_i32_i8 v162, v102, v91
	v_dot4c_i32_i8 v175, v102, v97
	;; [unrolled: 1-line block ×6, first 2 shown]
	v_lshrrev_b32_e32 v12, 4, v12
	v_dot4c_i32_i8 v189, v113, v104
	v_dot4c_i32_i8 v190, v118, v104
	;; [unrolled: 1-line block ×3, first 2 shown]
	v_and_b32_e32 v95, 0xf0f0f0f, v8
	v_and_b32_e32 v104, 0xf0f0f0f, v14
	;; [unrolled: 1-line block ×3, first 2 shown]
	v_dot4c_i32_i8 v181, v114, v82
	v_dot4c_i32_i8 v162, v114, v92
	;; [unrolled: 1-line block ×6, first 2 shown]
	s_waitcnt lgkmcnt(0)
	v_and_b32_e32 v117, 0xf0f0f0f, v2
	v_dot4c_i32_i8 v80, v114, v225
	v_lshrrev_b32_e32 v13, 4, v13
	v_and_b32_e32 v12, 0xf0f0f0f, v12
	v_dot4c_i32_i8 v170, v95, v4
	v_dot4c_i32_i8 v171, v104, v4
	;; [unrolled: 1-line block ×4, first 2 shown]
	v_and_b32_e32 v4, 0xf0f0f0f, v3
	v_dot4c_i32_i8 v181, v117, v83
	v_dot4c_i32_i8 v162, v117, v93
	;; [unrolled: 1-line block ×7, first 2 shown]
	v_lshrrev_b32_e32 v2, 4, v2
	v_and_b32_e32 v13, 0xf0f0f0f, v13
	v_dot4c_i32_i8 v201, v12, v228
	v_dot4c_i32_i8 v211, v12, v232
	;; [unrolled: 1-line block ×16, first 2 shown]
	v_lshrrev_b32_e32 v4, 4, v10
	v_lshrrev_b32_e32 v3, 4, v3
	v_and_b32_e32 v2, 0xf0f0f0f, v2
	v_dot4c_i32_i8 v201, v13, v229
	v_dot4c_i32_i8 v211, v13, v233
	;; [unrolled: 1-line block ×8, first 2 shown]
	v_and_b32_e32 v103, 0xf0f0f0f, v9
	v_and_b32_e32 v115, 0xf0f0f0f, v15
	;; [unrolled: 1-line block ×5, first 2 shown]
	v_dot4c_i32_i8 v201, v2, v230
	v_dot4c_i32_i8 v211, v2, v234
	;; [unrolled: 1-line block ×8, first 2 shown]
	v_add3_u32 v2, v138, s15, v160
	v_dot4c_i32_i8 v170, v103, v5
	v_dot4c_i32_i8 v171, v115, v5
	;; [unrolled: 1-line block ×3, first 2 shown]
	v_lshrrev_b32_e32 v5, 4, v11
	v_dot4c_i32_i8 v209, v4, v228
	v_dot4c_i32_i8 v201, v3, v231
	;; [unrolled: 1-line block ×16, first 2 shown]
	ds_read_u16 v3, v2 offset:25088
	ds_read_u16 v4, v2 offset:25096
	;; [unrolled: 1-line block ×3, first 2 shown]
	v_lshrrev_b32_e32 v8, 4, v8
	v_lshrrev_b32_e32 v10, 4, v16
	v_and_b32_e32 v5, 0xf0f0f0f, v5
	v_dot4c_i32_i8 v185, v20, v81
	v_lshrrev_b32_e32 v9, 4, v9
	v_lshrrev_b32_e32 v11, 4, v17
	v_and_b32_e32 v8, 0xf0f0f0f, v8
	v_and_b32_e32 v10, 0xf0f0f0f, v10
	v_dot4c_i32_i8 v209, v5, v229
	v_dot4c_i32_i8 v215, v5, v233
	;; [unrolled: 1-line block ×9, first 2 shown]
	v_lshrrev_b32_e32 v16, 4, v55
	v_and_b32_e32 v9, 0xf0f0f0f, v9
	v_and_b32_e32 v11, 0xf0f0f0f, v11
	v_dot4c_i32_i8 v210, v10, v228
	v_dot4c_i32_i8 v209, v8, v230
	;; [unrolled: 1-line block ×17, first 2 shown]
	v_lshrrev_b32_e32 v17, 4, v56
	v_and_b32_e32 v16, 0xf0f0f0f, v16
	v_dot4c_i32_i8 v210, v11, v229
	v_dot4c_i32_i8 v209, v9, v231
	;; [unrolled: 1-line block ×16, first 2 shown]
	ds_read2_b64 v[8:11], v58 offset1:16
	v_dot4c_i32_i8 v185, v103, v84
	v_and_b32_e32 v17, 0xf0f0f0f, v17
	v_dot4c_i32_i8 v206, v16, v228
	v_dot4c_i32_i8 v213, v16, v232
	;; [unrolled: 1-line block ×8, first 2 shown]
	s_waitcnt lgkmcnt(3)
	v_and_b32_e32 v16, 0xff, v3
	v_dot4c_i32_i8 v206, v17, v229
	v_dot4c_i32_i8 v213, v17, v233
	;; [unrolled: 1-line block ×8, first 2 shown]
	v_and_b32_sdwa v17, v153, v3 dst_sel:DWORD dst_unused:UNUSED_PAD src0_sel:DWORD src1_sel:BYTE_1
	v_mul_lo_u32 v3, v185, v16
	v_dot4c_i32_i8 v174, v20, v91
	v_dot4c_i32_i8 v182, v20, v97
	;; [unrolled: 1-line block ×3, first 2 shown]
	v_mul_lo_u32 v5, v215, v17
	v_dot4c_i32_i8 v178, v20, v216
	v_dot4c_i32_i8 v77, v20, v220
	;; [unrolled: 1-line block ×3, first 2 shown]
	v_lshrrev_b32_e32 v20, 4, v53
	v_cvt_f32_i32_e32 v3, v3
	v_dot4c_i32_i8 v184, v87, v81
	v_lshrrev_b32_e32 v14, 4, v14
	v_cvt_f32_i32_e32 v5, v5
	v_and_b32_e32 v20, 0xf0f0f0f, v20
	s_waitcnt lgkmcnt(0)
	v_fma_mix_f32 v3, v10, v3, 0 op_sel_hi:[1,0,0]
	v_dot4c_i32_i8 v184, v96, v82
	v_lshrrev_b32_e32 v15, 4, v15
	v_and_b32_e32 v14, 0xf0f0f0f, v14
	v_dot4c_i32_i8 v206, v20, v230
	v_dot4c_i32_i8 v213, v20, v234
	;; [unrolled: 1-line block ×8, first 2 shown]
	v_fma_mix_f32 v20, v11, v5, v3 op_sel_hi:[1,0,0]
	v_mul_lo_u32 v3, v170, v16
	v_dot4c_i32_i8 v184, v104, v83
	v_mul_lo_u32 v5, v209, v17
	v_lshrrev_b32_e32 v53, 4, v54
	v_and_b32_e32 v15, 0xf0f0f0f, v15
	v_dot4c_i32_i8 v214, v14, v234
	v_dot4c_i32_i8 v184, v115, v84
	v_and_b32_e32 v54, 0xff, v2
	v_cvt_f32_i32_e32 v3, v3
	v_and_b32_e32 v53, 0xf0f0f0f, v53
	v_dot4c_i32_i8 v214, v15, v235
	v_cvt_f32_i32_e32 v5, v5
	v_and_b32_sdwa v55, v153, v2 dst_sel:DWORD dst_unused:UNUSED_PAD src0_sel:DWORD src1_sel:BYTE_1
	v_fma_mix_f32 v3, v8, v3, 0 op_sel_hi:[1,0,0]
	v_mul_lo_u32 v2, v184, v54
	v_dot4c_i32_i8 v206, v53, v231
	v_dot4c_i32_i8 v213, v53, v235
	;; [unrolled: 1-line block ×8, first 2 shown]
	v_fma_mix_f32 v53, v9, v5, v3 op_sel_hi:[1,0,0]
	v_mul_lo_u32 v3, v214, v55
	v_cvt_f32_i32_e32 v2, v2
	v_dot4c_i32_i8 v210, v14, v230
	v_dot4c_i32_i8 v183, v88, v81
	v_add3_u32 v5, v136, s15, v160
	v_dot4c_i32_i8 v174, v86, v92
	v_fma_mix_f32 v2, v10, v2, 0 op_sel_hi:[1,0,0]
	v_dot4c_i32_i8 v210, v15, v231
	v_cvt_f32_i32_e32 v3, v3
	v_dot4c_i32_i8 v183, v101, v82
	v_dot4c_i32_i8 v182, v86, v98
	;; [unrolled: 1-line block ×4, first 2 shown]
	v_fma_mix_f32 v56, v11, v3, v2 op_sel_hi:[1,0,0]
	v_mul_lo_u32 v2, v171, v54
	v_mul_lo_u32 v3, v210, v55
	v_dot4c_i32_i8 v183, v113, v83
	v_dot4c_i32_i8 v77, v86, v221
	;; [unrolled: 1-line block ×6, first 2 shown]
	v_cvt_f32_i32_e32 v2, v2
	v_cvt_f32_i32_e32 v3, v3
	v_dot4c_i32_i8 v163, v87, v105
	v_dot4c_i32_i8 v176, v87, v216
	;; [unrolled: 1-line block ×3, first 2 shown]
	v_fma_mix_f32 v2, v8, v2, 0 op_sel_hi:[1,0,0]
	v_dot4c_i32_i8 v155, v87, v224
	v_dot4c_i32_i8 v166, v88, v91
	;; [unrolled: 1-line block ×4, first 2 shown]
	v_fma_mix_f32 v81, v9, v3, v2 op_sel_hi:[1,0,0]
	ds_read_u16 v2, v173 offset:26624
	v_dot4c_i32_i8 v169, v88, v216
	v_dot4c_i32_i8 v79, v88, v220
	;; [unrolled: 1-line block ×3, first 2 shown]
	v_cvt_f32_ubyte0_e32 v91, v4
	v_dot4c_i32_i8 v172, v96, v92
	v_dot4c_i32_i8 v166, v101, v92
	;; [unrolled: 1-line block ×4, first 2 shown]
	v_cvt_f32_ubyte1_e32 v92, v4
	v_fma_mix_f32 v4, v91, v8, 0 op_sel:[0,1,0] op_sel_hi:[0,1,0]
	v_dot4c_i32_i8 v174, v95, v93
	v_dot4c_i32_i8 v172, v104, v93
	;; [unrolled: 1-line block ×6, first 2 shown]
	v_cvt_f32_ubyte0_e32 v93, v157
	v_fma_mix_f32 v99, v92, v9, v4 op_sel:[0,1,0] op_sel_hi:[0,1,0]
	v_fma_mix_f32 v4, v91, v10, 0 op_sel:[0,1,0] op_sel_hi:[0,1,0]
	s_waitcnt lgkmcnt(0)
	v_and_b32_e32 v82, 0xff, v2
	v_and_b32_sdwa v83, v153, v2 dst_sel:DWORD dst_unused:UNUSED_PAD src0_sel:DWORD src1_sel:BYTE_1
	v_dot4c_i32_i8 v174, v103, v94
	v_dot4c_i32_i8 v172, v115, v94
	;; [unrolled: 1-line block ×3, first 2 shown]
	v_mul_lo_u32 v2, v183, v82
	v_mul_lo_u32 v3, v213, v83
	v_dot4c_i32_i8 v182, v103, v100
	v_dot4c_i32_i8 v180, v115, v100
	;; [unrolled: 1-line block ×3, first 2 shown]
	v_cvt_f32_ubyte1_e32 v94, v157
	v_fma_mix_f32 v100, v92, v11, v4 op_sel:[0,1,0] op_sel_hi:[0,1,0]
	v_fma_mix_f32 v4, v93, v8, 0 op_sel:[0,1,0] op_sel_hi:[0,1,0]
	v_cvt_f32_i32_e32 v2, v2
	v_cvt_f32_i32_e32 v3, v3
	v_dot4c_i32_i8 v161, v101, v106
	v_dot4c_i32_i8 v167, v95, v107
	;; [unrolled: 1-line block ×3, first 2 shown]
	v_fma_mix_f32 v2, v10, v2, 0 op_sel_hi:[1,0,0]
	v_dot4c_i32_i8 v178, v95, v218
	v_dot4c_i32_i8 v79, v101, v221
	;; [unrolled: 1-line block ×4, first 2 shown]
	v_fma_mix_f32 v84, v11, v3, v2 op_sel_hi:[1,0,0]
	v_mul_lo_u32 v2, v165, v82
	v_mul_lo_u32 v3, v206, v83
	v_dot4c_i32_i8 v154, v95, v226
	v_cvt_f32_ubyte0_e32 v97, v159
	v_fma_mix_f32 v101, v94, v9, v4 op_sel:[0,1,0] op_sel_hi:[0,1,0]
	v_fma_mix_f32 v4, v93, v10, 0 op_sel:[0,1,0] op_sel_hi:[0,1,0]
	v_dot4c_i32_i8 v200, v14, v238
	v_dot4c_i32_i8 v208, v14, v242
	v_cvt_f32_i32_e32 v2, v2
	v_cvt_f32_i32_e32 v3, v3
	v_dot4c_i32_i8 v195, v14, v246
	v_dot4c_i32_i8 v204, v14, v250
	;; [unrolled: 1-line block ×3, first 2 shown]
	v_fma_mix_f32 v2, v8, v2, 0 op_sel_hi:[1,0,0]
	v_dot4c_i32_i8 v189, v14, v111
	v_cvt_f32_ubyte1_e32 v98, v159
	v_fma_mix_f32 v102, v94, v11, v4 op_sel:[0,1,0] op_sel_hi:[0,1,0]
	v_dot4c_i32_i8 v200, v15, v239
	v_fma_mix_f32 v86, v9, v3, v2 op_sel_hi:[1,0,0]
	ds_read_u16 v2, v5 offset:26112
	ds_read_u16 v5, v5 offset:26120
	v_dot4c_i32_i8 v208, v15, v243
	v_dot4c_i32_i8 v195, v15, v247
	;; [unrolled: 1-line block ×18, first 2 shown]
	s_waitcnt lgkmcnt(1)
	v_and_b32_e32 v87, 0xff, v2
	v_and_b32_sdwa v88, v153, v2 dst_sel:DWORD dst_unused:UNUSED_PAD src0_sel:DWORD src1_sel:BYTE_1
	s_waitcnt lgkmcnt(0)
	v_cvt_f32_ubyte0_e32 v95, v5
	v_cvt_f32_ubyte1_e32 v96, v5
	v_dot4c_i32_i8 v163, v115, v108
	v_mul_lo_u32 v2, v181, v87
	v_mul_lo_u32 v3, v211, v88
	;; [unrolled: 1-line block ×3, first 2 shown]
	v_fma_mix_f32 v4, v95, v8, 0 op_sel:[0,1,0] op_sel_hi:[0,1,0]
	v_dot4c_i32_i8 v161, v116, v108
	v_fma_mix_f32 v5, v95, v10, 0 op_sel:[0,1,0] op_sel_hi:[0,1,0]
	v_dot4c_i32_i8 v169, v113, v218
	v_dot4c_i32_i8 v79, v113, v222
	v_cvt_f32_i32_e32 v2, v2
	v_cvt_f32_i32_e32 v3, v3
	;; [unrolled: 1-line block ×3, first 2 shown]
	v_fma_mix_f32 v4, v96, v9, v4 op_sel:[0,1,0] op_sel_hi:[0,1,0]
	v_dot4c_i32_i8 v156, v113, v226
	v_fma_mix_f32 v2, v10, v2, 0 op_sel_hi:[1,0,0]
	v_dot4c_i32_i8 v176, v115, v219
	v_dot4c_i32_i8 v78, v115, v223
	;; [unrolled: 1-line block ×4, first 2 shown]
	v_fma_mix_f32 v2, v11, v3, v2 op_sel_hi:[1,0,0]
	v_mul_lo_u32 v3, v164, v87
	v_dot4c_i32_i8 v79, v116, v223
	v_dot4c_i32_i8 v156, v116, v227
	v_fma_mix_f32 v5, v96, v11, v5 op_sel:[0,1,0] op_sel_hi:[0,1,0]
	v_mul_lo_u32 v117, v207, v17
	v_mul_lo_u32 v119, v197, v17
	;; [unrolled: 1-line block ×4, first 2 shown]
	v_cvt_f32_i32_e32 v3, v3
	v_mul_lo_u32 v134, v199, v83
	v_mul_lo_u32 v157, v193, v83
	;; [unrolled: 1-line block ×3, first 2 shown]
	v_cvt_f32_i32_e32 v117, v117
	v_fma_mix_f32 v3, v8, v3, 0 op_sel_hi:[1,0,0]
	v_fma_mix_f32 v8, v97, v8, 0 op_sel:[0,1,0] op_sel_hi:[0,1,0]
	v_cvt_f32_i32_e32 v119, v119
	v_cvt_f32_i32_e32 v120, v120
	;; [unrolled: 1-line block ×3, first 2 shown]
	v_fma_mix_f32 v3, v9, v12, v3 op_sel_hi:[1,0,0]
	ds_read2_b64 v[12:15], v58 offset0:32 offset1:48
	v_fma_mix_f32 v103, v98, v9, v8 op_sel:[0,1,0] op_sel_hi:[0,1,0]
	v_fma_mix_f32 v8, v97, v10, 0 op_sel:[0,1,0] op_sel_hi:[0,1,0]
	v_mul_lo_u32 v9, v212, v17
	v_mul_lo_u32 v10, v194, v88
	v_cvt_f32_i32_e32 v134, v134
	v_cvt_f32_i32_e32 v157, v157
	v_fma_mix_f32 v104, v98, v11, v8 op_sel:[0,1,0] op_sel_hi:[0,1,0]
	v_mul_lo_u32 v8, v182, v16
	v_cvt_f32_i32_e32 v159, v159
	v_mul_lo_u32 v158, v158, v87
	v_cvt_f32_i32_e32 v9, v9
	v_cvt_f32_i32_e32 v10, v10
	v_mul_lo_u32 v78, v78, v54
	v_mul_lo_u32 v7, v7, v55
	;; [unrolled: 1-line block ×3, first 2 shown]
	v_cvt_f32_i32_e32 v8, v8
	v_mul_lo_u32 v77, v77, v16
	v_cvt_f32_i32_e32 v158, v158
	v_mul_lo_u32 v80, v80, v87
	s_waitcnt lgkmcnt(0)
	v_fma_mix_f32 v11, v95, v14, 0 op_sel:[0,1,0] op_sel_hi:[0,1,0]
	v_fma_mix_f32 v8, v8, v14, 0 op_sel_hi:[0,1,0]
	v_cvt_f32_i32_e32 v78, v78
	v_cvt_f32_i32_e32 v7, v7
	v_mul_lo_u32 v76, v76, v87
	v_fma_mix_f32 v11, v96, v15, v11 op_sel:[0,1,0] op_sel_hi:[0,1,0]
	v_fma_mix_f32 v105, v9, v15, v8 op_sel_hi:[0,1,0]
	v_mul_lo_u32 v8, v174, v16
	v_mul_lo_u32 v9, v202, v17
	v_cvt_f32_i32_e32 v77, v77
	v_mul_lo_u32 v6, v6, v88
	v_mul_f32_e32 v4, v4, v64
	v_mul_f32_e32 v5, v5, v72
	;; [unrolled: 1-line block ×3, first 2 shown]
	v_add_nc_u32_e32 v75, 32, v75
	v_cvt_f32_i32_e32 v8, v8
	v_cvt_f32_i32_e32 v9, v9
	v_fma_f32 v3, v3, v63, -v4
	v_cvt_f32_i32_e32 v6, v6
	v_fma_f32 v2, v2, v71, -v5
	v_fma_mix_f32 v8, v8, v12, 0 op_sel_hi:[0,1,0]
	s_add_i32 s15, s14, 8
	v_add_f32_e32 v49, v49, v3
	s_add_i32 s14, s14, 16
	v_add_f32_e32 v50, v50, v2
	v_fma_mix_f32 v106, v9, v13, v8 op_sel_hi:[0,1,0]
	v_mul_lo_u32 v8, v180, v54
	v_mul_lo_u32 v9, v208, v55
	s_cmp_lt_u32 s14, 24
	s_mov_b32 s14, s15
	v_cvt_f32_i32_e32 v8, v8
	v_cvt_f32_i32_e32 v9, v9
	v_fma_mix_f32 v8, v8, v14, 0 op_sel_hi:[0,1,0]
	v_fma_mix_f32 v107, v9, v15, v8 op_sel_hi:[0,1,0]
	v_mul_lo_u32 v8, v172, v54
	v_mul_lo_u32 v9, v200, v55
	v_cvt_f32_i32_e32 v8, v8
	v_cvt_f32_i32_e32 v9, v9
	v_fma_mix_f32 v8, v8, v12, 0 op_sel_hi:[0,1,0]
	v_fma_mix_f32 v108, v9, v13, v8 op_sel_hi:[0,1,0]
	v_mul_lo_u32 v8, v177, v82
	v_mul_lo_u32 v9, v205, v83
	;; [unrolled: 6-line block ×4, first 2 shown]
	v_cvt_f32_i32_e32 v8, v8
	v_cvt_f32_i32_e32 v9, v9
	v_fma_mix_f32 v8, v8, v14, 0 op_sel_hi:[0,1,0]
	v_fma_mix_f32 v8, v9, v15, v8 op_sel_hi:[0,1,0]
	v_mul_lo_u32 v9, v162, v87
	v_fma_f32 v5, v8, v71, -v11
	v_cvt_f32_i32_e32 v9, v9
	v_add_f32_e32 v40, v40, v5
	v_fma_mix_f32 v9, v9, v12, 0 op_sel_hi:[0,1,0]
	v_fma_mix_f32 v9, v10, v13, v9 op_sel_hi:[0,1,0]
	v_fma_mix_f32 v10, v91, v12, 0 op_sel:[0,1,0] op_sel_hi:[0,1,0]
	v_fma_mix_f32 v111, v92, v13, v10 op_sel:[0,1,0] op_sel_hi:[0,1,0]
	;; [unrolled: 1-line block ×13, first 2 shown]
	v_mul_f32_e32 v10, v10, v64
	v_fma_mix_f32 v116, v98, v15, v12 op_sel:[0,1,0] op_sel_hi:[0,1,0]
	v_mul_lo_u32 v12, v178, v16
	v_fma_f32 v4, v9, v63, -v10
	v_add_f32_e32 v39, v39, v4
	v_cvt_f32_i32_e32 v118, v12
	ds_read2_b64 v[12:15], v58 offset0:64 offset1:80
	s_waitcnt lgkmcnt(0)
	v_fma_mix_f32 v118, v118, v14, 0 op_sel_hi:[0,1,0]
	v_fma_mix_f32 v158, v158, v12, 0 op_sel_hi:[0,1,0]
	v_fma_mix_f32 v160, v91, v14, 0 op_sel:[0,1,0] op_sel_hi:[0,1,0]
	v_fma_mix_f32 v162, v93, v14, 0 op_sel:[0,1,0] op_sel_hi:[0,1,0]
	;; [unrolled: 1-line block ×3, first 2 shown]
	v_fma_mix_f32 v117, v117, v15, v118 op_sel_hi:[0,1,0]
	v_mul_lo_u32 v118, v167, v16
	v_fma_mix_f32 v160, v92, v15, v160 op_sel:[0,1,0] op_sel_hi:[0,1,0]
	v_fma_mix_f32 v162, v94, v15, v162 op_sel:[0,1,0] op_sel_hi:[0,1,0]
	;; [unrolled: 1-line block ×3, first 2 shown]
	v_mul_lo_u32 v16, v154, v16
	v_mul_lo_u32 v154, v189, v55
	v_mul_lo_u32 v55, v190, v83
	v_mul_lo_u32 v83, v186, v83
	v_cvt_f32_i32_e32 v118, v118
	v_cvt_f32_i32_e32 v16, v16
	v_fma_mix_f32 v118, v118, v12, 0 op_sel_hi:[0,1,0]
	v_cvt_f32_i32_e32 v55, v55
	v_fma_mix_f32 v118, v119, v13, v118 op_sel_hi:[0,1,0]
	v_mul_lo_u32 v119, v176, v54
	v_cvt_f32_i32_e32 v119, v119
	v_fma_mix_f32 v119, v119, v14, 0 op_sel_hi:[0,1,0]
	v_fma_mix_f32 v119, v120, v15, v119 op_sel_hi:[0,1,0]
	v_mul_lo_u32 v120, v163, v54
	v_fma_mix_f32 v163, v95, v12, 0 op_sel:[0,1,0] op_sel_hi:[0,1,0]
	v_mul_lo_u32 v54, v155, v54
	v_fma_mix_f32 v163, v96, v13, v163 op_sel:[0,1,0] op_sel_hi:[0,1,0]
	v_cvt_f32_i32_e32 v120, v120
	v_cvt_f32_i32_e32 v54, v54
	v_fma_mix_f32 v120, v120, v12, 0 op_sel_hi:[0,1,0]
	v_fma_mix_f32 v120, v121, v13, v120 op_sel_hi:[0,1,0]
	v_mul_lo_u32 v121, v169, v82
	v_cvt_f32_i32_e32 v121, v121
	v_fma_mix_f32 v121, v121, v14, 0 op_sel_hi:[0,1,0]
	v_fma_mix_f32 v121, v134, v15, v121 op_sel_hi:[0,1,0]
	v_mul_lo_u32 v134, v161, v82
	v_fma_mix_f32 v161, v93, v12, 0 op_sel:[0,1,0] op_sel_hi:[0,1,0]
	v_mul_lo_u32 v82, v156, v82
	v_fma_mix_f32 v161, v94, v13, v161 op_sel:[0,1,0] op_sel_hi:[0,1,0]
	v_cvt_f32_i32_e32 v134, v134
	v_fma_mix_f32 v134, v134, v12, 0 op_sel_hi:[0,1,0]
	v_fma_mix_f32 v134, v157, v13, v134 op_sel_hi:[0,1,0]
	v_mul_lo_u32 v157, v168, v87
	v_cvt_f32_i32_e32 v157, v157
	v_fma_mix_f32 v157, v157, v14, 0 op_sel_hi:[0,1,0]
	v_fma_mix_f32 v157, v159, v15, v157 op_sel_hi:[0,1,0]
	v_mul_lo_u32 v159, v192, v88
	v_cvt_f32_i32_e32 v159, v159
	v_fma_mix_f32 v158, v159, v13, v158 op_sel_hi:[0,1,0]
	v_fma_mix_f32 v159, v91, v12, 0 op_sel:[0,1,0] op_sel_hi:[0,1,0]
	v_fma_mix_f32 v12, v97, v12, 0 op_sel:[0,1,0] op_sel_hi:[0,1,0]
	;; [unrolled: 1-line block ×6, first 2 shown]
	ds_read2_b64 v[12:15], v58 offset0:96 offset1:112
	v_add_nc_u32_e32 v58, 8, v58
	s_waitcnt lgkmcnt(0)
	v_fma_mix_f32 v167, v91, v12, 0 op_sel:[0,1,0] op_sel_hi:[0,1,0]
	v_fma_mix_f32 v91, v91, v14, 0 op_sel:[0,1,0] op_sel_hi:[0,1,0]
	v_fma_mix_f32 v78, v78, v12, 0 op_sel_hi:[0,1,0]
	v_fma_mix_f32 v77, v77, v12, 0 op_sel_hi:[0,1,0]
	;; [unrolled: 1-line block ×3, first 2 shown]
	v_fma_mix_f32 v167, v92, v13, v167 op_sel:[0,1,0] op_sel_hi:[0,1,0]
	v_fma_mix_f32 v91, v92, v15, v91 op_sel:[0,1,0] op_sel_hi:[0,1,0]
	;; [unrolled: 1-line block ×4, first 2 shown]
	v_fma_mix_f32 v7, v7, v13, v78 op_sel_hi:[0,1,0]
	v_cvt_f32_i32_e32 v78, v82
	v_fma_mix_f32 v54, v54, v14, 0 op_sel_hi:[0,1,0]
	v_fma_mix_f32 v92, v94, v13, v92 op_sel:[0,1,0] op_sel_hi:[0,1,0]
	v_fma_mix_f32 v93, v94, v15, v93 op_sel:[0,1,0] op_sel_hi:[0,1,0]
	;; [unrolled: 1-line block ×4, first 2 shown]
	v_fma_mix_f32 v78, v78, v14, 0 op_sel_hi:[0,1,0]
	v_mul_f32_e32 v82, v166, v74
	v_fma_mix_f32 v94, v96, v13, v94 op_sel:[0,1,0] op_sel_hi:[0,1,0]
	v_fma_mix_f32 v95, v96, v15, v95 op_sel:[0,1,0] op_sel_hi:[0,1,0]
	;; [unrolled: 1-line block ×4, first 2 shown]
	v_fma_mix_f32 v55, v55, v15, v78 op_sel_hi:[0,1,0]
	v_cvt_f32_i32_e32 v78, v79
	v_cvt_f32_i32_e32 v79, v83
	v_fma_mix_f32 v96, v98, v13, v96 op_sel:[0,1,0] op_sel_hi:[0,1,0]
	v_fma_mix_f32 v97, v98, v15, v97 op_sel:[0,1,0] op_sel_hi:[0,1,0]
	v_mul_lo_u32 v98, v191, v17
	v_mul_lo_u32 v17, v187, v17
	v_fma_mix_f32 v78, v78, v12, 0 op_sel_hi:[0,1,0]
	v_fma_f32 v82, v121, v73, -v82
	v_fma_mix_f32 v78, v79, v13, v78 op_sel_hi:[0,1,0]
	v_cvt_f32_i32_e32 v87, v98
	v_cvt_f32_i32_e32 v17, v17
	;; [unrolled: 1-line block ×3, first 2 shown]
	v_mul_f32_e32 v80, v116, v74
	v_add_f32_e32 v30, v30, v82
	v_fma_mix_f32 v16, v87, v15, v16 op_sel_hi:[0,1,0]
	v_fma_mix_f32 v17, v17, v13, v77 op_sel_hi:[0,1,0]
	v_mul_lo_u32 v77, v188, v88
	v_cvt_f32_i32_e32 v87, v154
	v_fma_mix_f32 v14, v79, v14, 0 op_sel_hi:[0,1,0]
	v_mul_f32_e32 v79, v115, v66
	v_fma_f32 v80, v109, v73, -v80
	v_fma_mix_f32 v54, v87, v15, v54 op_sel_hi:[0,1,0]
	v_cvt_f32_i32_e32 v77, v77
	v_fma_f32 v79, v110, v65, -v79
	v_add_f32_e32 v42, v42, v80
	v_fma_mix_f32 v14, v77, v15, v14 op_sel_hi:[0,1,0]
	v_cvt_f32_i32_e32 v15, v76
	v_mul_f32_e32 v77, v167, v60
	v_mul_f32_e32 v76, v160, v68
	v_add_f32_e32 v41, v41, v79
	v_fma_mix_f32 v12, v15, v12, 0 op_sel_hi:[0,1,0]
	v_fma_f32 v17, v17, v59, -v77
	v_mul_f32_e32 v77, v91, v68
	v_mul_f32_e32 v15, v111, v60
	v_fma_f32 v76, v117, v67, -v76
	v_fma_mix_f32 v6, v6, v13, v12 op_sel_hi:[0,1,0]
	v_mul_f32_e32 v12, v99, v60
	v_mul_f32_e32 v13, v100, v68
	v_fma_f32 v16, v16, v67, -v77
	v_fma_f32 v15, v106, v59, -v15
	v_mul_f32_e32 v77, v104, v74
	v_fma_f32 v12, v53, v59, -v12
	v_fma_f32 v13, v20, v67, -v13
	v_add_f32_e32 v22, v22, v16
	v_mul_f32_e32 v16, v92, v62
	v_mul_f32_e32 v20, v112, v68
	;; [unrolled: 1-line block ×3, first 2 shown]
	v_add_f32_e32 v19, v19, v13
	v_add_f32_e32 v18, v18, v12
	v_mul_f32_e32 v12, v101, v62
	v_mul_f32_e32 v13, v102, v70
	v_add_f32_e32 v43, v43, v15
	v_mul_f32_e32 v15, v113, v62
	v_fma_f32 v7, v7, v61, -v16
	v_mul_f32_e32 v16, v93, v70
	v_fma_f32 v20, v105, v67, -v20
	v_fma_f32 v53, v118, v59, -v53
	;; [unrolled: 1-line block ×6, first 2 shown]
	v_mul_f32_e32 v56, v103, v66
	v_add_f32_e32 v44, v44, v20
	v_mul_f32_e32 v20, v114, v70
	v_add_f32_e32 v34, v34, v76
	v_add_f32_e32 v33, v33, v53
	v_mul_f32_e32 v53, v161, v62
	v_mul_f32_e32 v76, v162, v70
	;; [unrolled: 1-line block ×3, first 2 shown]
	v_add_f32_e32 v21, v21, v17
	v_mul_f32_e32 v17, v96, v66
	v_mul_f32_e32 v54, v97, v74
	v_add_f32_e32 v48, v48, v13
	v_add_f32_e32 v47, v47, v12
	;; [unrolled: 1-line block ×4, first 2 shown]
	v_mul_f32_e32 v12, v163, v64
	v_mul_f32_e32 v13, v164, v72
	;; [unrolled: 1-line block ×4, first 2 shown]
	v_fma_f32 v56, v86, v65, -v56
	v_fma_f32 v77, v84, v73, -v77
	;; [unrolled: 1-line block ×8, first 2 shown]
	v_add_f32_e32 v23, v23, v7
	v_fma_f32 v7, v158, v63, -v12
	v_fma_f32 v8, v157, v71, -v13
	;; [unrolled: 1-line block ×4, first 2 shown]
	v_add_f32_e32 v52, v52, v77
	v_add_f32_e32 v51, v51, v56
	;; [unrolled: 1-line block ×12, first 2 shown]
	s_cbranch_scc1 .LBB151_8
; %bb.9:                                ;   in Loop: Header=BB151_5 Depth=1
	s_barrier
	buffer_gl0_inv
	s_clause 0x1
	buffer_load_dword v88, off, s[20:23], 0 offset:144
	buffer_load_dword v95, off, s[20:23], 0 offset:148
	v_mov_b32_e32 v113, v1
	buffer_load_dword v1, off, s[20:23], 0 offset:4 ; 4-byte Folded Reload
	v_mov_b32_e32 v86, v122
	v_mov_b32_e32 v114, v141
	;; [unrolled: 1-line block ×12, first 2 shown]
	s_add_i32 s11, s11, 1
	s_cmp_eq_u32 s11, s4
	s_cbranch_scc0 .LBB151_5
; %bb.10:
	v_cvt_f16_f32_e32 v2, v19
	v_cvt_f16_f32_e32 v3, v18
	;; [unrolled: 1-line block ×6, first 2 shown]
	v_pack_b32_f16 v20, v3, v2
	v_cvt_f16_f32_e32 v2, v49
	v_cvt_f16_f32_e32 v3, v52
	v_pack_b32_f16 v19, v5, v4
	v_cvt_f16_f32_e32 v4, v42
	v_cvt_f16_f32_e32 v5, v41
	v_pack_b32_f16 v18, v2, v6
	v_pack_b32_f16 v17, v7, v3
	v_cvt_f16_f32_e32 v6, v34
	v_cvt_f16_f32_e32 v7, v33
	v_pack_b32_f16 v13, v5, v4
	v_cvt_f16_f32_e32 v4, v22
	v_cvt_f16_f32_e32 v5, v21
	;; [unrolled: 1-line block ×3, first 2 shown]
	v_pack_b32_f16 v12, v7, v6
	v_cvt_f16_f32_e32 v6, v24
	v_cvt_f16_f32_e32 v7, v23
	v_pack_b32_f16 v5, v5, v4
	v_cvt_f16_f32_e32 v9, v43
	v_cvt_f16_f32_e32 v10, v46
	;; [unrolled: 1-line block ×3, first 2 shown]
	v_pack_b32_f16 v4, v7, v6
	buffer_load_dword v6, off, s[20:23], 0 offset:152 ; 4-byte Folded Reload
	v_pack_b32_f16 v16, v9, v8
	v_cvt_f16_f32_e32 v2, v40
	v_cvt_f16_f32_e32 v3, v39
	;; [unrolled: 1-line block ×4, first 2 shown]
	v_pack_b32_f16 v15, v11, v10
	v_cvt_f16_f32_e32 v10, v38
	v_cvt_f16_f32_e32 v31, v37
	v_pack_b32_f16 v14, v3, v2
	v_pack_b32_f16 v11, v9, v8
	v_cvt_f16_f32_e32 v2, v30
	v_cvt_f16_f32_e32 v3, v29
	;; [unrolled: 1-line block ×6, first 2 shown]
	v_pack_b32_f16 v10, v31, v10
	v_pack_b32_f16 v9, v3, v2
	;; [unrolled: 1-line block ×4, first 2 shown]
.LBB151_11:
	s_mov_b32 s0, exec_lo
	s_waitcnt vmcnt(0)
	v_cmpx_gt_u32_e64 s8, v6
	s_cbranch_execz .LBB151_62
; %bb.12:
	v_add_nc_u32_e32 v0, s6, v0
	v_mul_lo_u32 v21, v6, s10
	v_cmp_gt_u32_e32 vcc_lo, s10, v0
	s_and_saveexec_b32 s1, vcc_lo
	s_cbranch_execz .LBB151_14
; %bb.13:
	v_add_nc_u32_e32 v6, v0, v21
	v_mov_b32_e32 v7, 0
	v_lshlrev_b64 v[6:7], 1, v[6:7]
	s_waitcnt lgkmcnt(0)
	v_add_co_u32 v6, s0, s12, v6
	v_add_co_ci_u32_e64 v7, null, s13, v7, s0
	global_store_short v[6:7], v20, off
.LBB151_14:
	s_or_b32 exec_lo, exec_lo, s1
	v_add_nc_u32_e32 v6, 32, v0
	v_cmp_gt_u32_e64 s0, s10, v6
	s_and_saveexec_b32 s2, s0
	s_cbranch_execz .LBB151_16
; %bb.15:
	v_add_nc_u32_e32 v7, v6, v21
	v_mov_b32_e32 v8, 0
	v_lshlrev_b64 v[7:8], 1, v[7:8]
	s_waitcnt lgkmcnt(0)
	v_add_co_u32 v7, s1, s12, v7
	v_add_co_ci_u32_e64 v8, null, s13, v8, s1
	global_store_short v[7:8], v19, off
.LBB151_16:
	s_or_b32 exec_lo, exec_lo, s2
	v_add_nc_u32_e32 v7, 64, v0
	v_cmp_gt_u32_e64 s1, s10, v7
	s_and_saveexec_b32 s3, s1
	;; [unrolled: 14-line block ×3, first 2 shown]
	s_cbranch_execz .LBB151_20
; %bb.19:
	v_add_nc_u32_e32 v21, v8, v21
	v_mov_b32_e32 v22, 0
	v_lshlrev_b64 v[21:22], 1, v[21:22]
	s_waitcnt lgkmcnt(0)
	v_add_co_u32 v21, s3, s12, v21
	v_add_co_ci_u32_e64 v22, null, s13, v22, s3
	global_store_short v[21:22], v17, off
.LBB151_20:
	s_or_b32 exec_lo, exec_lo, s4
	v_add3_u32 v21, v1, s7, 8
	v_cmp_gt_u32_e64 s3, s8, v21
	s_and_b32 exec_lo, exec_lo, s3
	s_cbranch_execz .LBB151_62
; %bb.21:
	v_mul_lo_u32 v21, v21, s10
	s_and_saveexec_b32 s4, vcc_lo
	s_cbranch_execnz .LBB151_63
; %bb.22:
	s_or_b32 exec_lo, exec_lo, s4
	s_and_saveexec_b32 s4, s0
	s_cbranch_execnz .LBB151_64
.LBB151_23:
	s_or_b32 exec_lo, exec_lo, s4
	s_and_saveexec_b32 s4, s1
	s_cbranch_execnz .LBB151_65
.LBB151_24:
	s_or_b32 exec_lo, exec_lo, s4
	s_and_saveexec_b32 s4, s2
	s_cbranch_execz .LBB151_26
.LBB151_25:
	v_add_nc_u32_e32 v18, v21, v8
	v_mov_b32_e32 v19, 0
	v_lshlrev_b64 v[18:19], 1, v[18:19]
	s_waitcnt lgkmcnt(0)
	v_add_co_u32 v18, s3, s12, v18
	v_add_co_ci_u32_e64 v19, null, s13, v19, s3
	global_store_short_d16_hi v[18:19], v17, off
.LBB151_26:
	s_or_b32 exec_lo, exec_lo, s4
	v_add3_u32 v17, v1, s7, 16
	v_cmp_gt_u32_e64 s3, s8, v17
	s_and_b32 exec_lo, exec_lo, s3
	s_cbranch_execz .LBB151_62
; %bb.27:
	v_mul_lo_u32 v17, v17, s10
	s_and_saveexec_b32 s4, vcc_lo
	s_cbranch_execnz .LBB151_66
; %bb.28:
	s_or_b32 exec_lo, exec_lo, s4
	s_and_saveexec_b32 s4, s0
	s_cbranch_execnz .LBB151_67
.LBB151_29:
	s_or_b32 exec_lo, exec_lo, s4
	s_and_saveexec_b32 s4, s1
	s_cbranch_execnz .LBB151_68
.LBB151_30:
	s_or_b32 exec_lo, exec_lo, s4
	s_and_saveexec_b32 s4, s2
	s_cbranch_execz .LBB151_32
.LBB151_31:
	v_add_nc_u32_e32 v17, v17, v8
	v_mov_b32_e32 v18, 0
	v_lshlrev_b64 v[17:18], 1, v[17:18]
	s_waitcnt lgkmcnt(0)
	v_add_co_u32 v17, s3, s12, v17
	v_add_co_ci_u32_e64 v18, null, s13, v18, s3
	global_store_short v[17:18], v13, off
.LBB151_32:
	s_or_b32 exec_lo, exec_lo, s4
	v_add3_u32 v17, v1, s7, 24
	v_cmp_gt_u32_e64 s3, s8, v17
	s_and_b32 exec_lo, exec_lo, s3
	s_cbranch_execz .LBB151_62
; %bb.33:
	v_mul_lo_u32 v17, v17, s10
	s_and_saveexec_b32 s4, vcc_lo
	s_cbranch_execnz .LBB151_69
; %bb.34:
	s_or_b32 exec_lo, exec_lo, s4
	s_and_saveexec_b32 s4, s0
	s_cbranch_execnz .LBB151_70
.LBB151_35:
	s_or_b32 exec_lo, exec_lo, s4
	s_and_saveexec_b32 s4, s1
	s_cbranch_execnz .LBB151_71
.LBB151_36:
	s_or_b32 exec_lo, exec_lo, s4
	s_and_saveexec_b32 s4, s2
	s_cbranch_execz .LBB151_38
.LBB151_37:
	v_add_nc_u32_e32 v14, v17, v8
	v_mov_b32_e32 v15, 0
	v_lshlrev_b64 v[14:15], 1, v[14:15]
	s_waitcnt lgkmcnt(0)
	v_add_co_u32 v14, s3, s12, v14
	v_add_co_ci_u32_e64 v15, null, s13, v15, s3
	global_store_short_d16_hi v[14:15], v13, off
.LBB151_38:
	s_or_b32 exec_lo, exec_lo, s4
	v_add3_u32 v13, v1, s7, 32
	v_cmp_gt_u32_e64 s3, s8, v13
	s_and_b32 exec_lo, exec_lo, s3
	s_cbranch_execz .LBB151_62
; %bb.39:
	v_mul_lo_u32 v13, v13, s10
	s_and_saveexec_b32 s4, vcc_lo
	s_cbranch_execnz .LBB151_72
; %bb.40:
	s_or_b32 exec_lo, exec_lo, s4
	s_and_saveexec_b32 s4, s0
	s_cbranch_execnz .LBB151_73
.LBB151_41:
	s_or_b32 exec_lo, exec_lo, s4
	s_and_saveexec_b32 s4, s1
	s_cbranch_execnz .LBB151_74
.LBB151_42:
	s_or_b32 exec_lo, exec_lo, s4
	s_and_saveexec_b32 s4, s2
	s_cbranch_execz .LBB151_44
.LBB151_43:
	v_add_nc_u32_e32 v13, v13, v8
	v_mov_b32_e32 v14, 0
	v_lshlrev_b64 v[13:14], 1, v[13:14]
	s_waitcnt lgkmcnt(0)
	v_add_co_u32 v13, s3, s12, v13
	v_add_co_ci_u32_e64 v14, null, s13, v14, s3
	global_store_short v[13:14], v9, off
.LBB151_44:
	s_or_b32 exec_lo, exec_lo, s4
	v_add3_u32 v13, v1, s7, 40
	v_cmp_gt_u32_e64 s3, s8, v13
	s_and_b32 exec_lo, exec_lo, s3
	s_cbranch_execz .LBB151_62
; %bb.45:
	v_mul_lo_u32 v13, v13, s10
	s_and_saveexec_b32 s4, vcc_lo
	s_cbranch_execnz .LBB151_75
; %bb.46:
	s_or_b32 exec_lo, exec_lo, s4
	s_and_saveexec_b32 s4, s0
	s_cbranch_execnz .LBB151_76
.LBB151_47:
	s_or_b32 exec_lo, exec_lo, s4
	s_and_saveexec_b32 s4, s1
	s_cbranch_execnz .LBB151_77
.LBB151_48:
	s_or_b32 exec_lo, exec_lo, s4
	s_and_saveexec_b32 s4, s2
	s_cbranch_execz .LBB151_50
.LBB151_49:
	v_add_nc_u32_e32 v10, v13, v8
	v_mov_b32_e32 v11, 0
	v_lshlrev_b64 v[10:11], 1, v[10:11]
	s_waitcnt lgkmcnt(0)
	v_add_co_u32 v10, s3, s12, v10
	v_add_co_ci_u32_e64 v11, null, s13, v11, s3
	global_store_short_d16_hi v[10:11], v9, off
.LBB151_50:
	s_or_b32 exec_lo, exec_lo, s4
	v_add3_u32 v9, v1, s7, 48
	v_cmp_gt_u32_e64 s3, s8, v9
	s_and_b32 exec_lo, exec_lo, s3
	s_cbranch_execz .LBB151_62
; %bb.51:
	v_mul_lo_u32 v9, v9, s10
	s_and_saveexec_b32 s4, vcc_lo
	s_cbranch_execnz .LBB151_78
; %bb.52:
	s_or_b32 exec_lo, exec_lo, s4
	s_and_saveexec_b32 s4, s0
	s_cbranch_execnz .LBB151_79
.LBB151_53:
	s_or_b32 exec_lo, exec_lo, s4
	s_and_saveexec_b32 s4, s1
	s_cbranch_execnz .LBB151_80
.LBB151_54:
	s_or_b32 exec_lo, exec_lo, s4
	s_and_saveexec_b32 s4, s2
	s_cbranch_execz .LBB151_56
.LBB151_55:
	v_add_nc_u32_e32 v9, v9, v8
	v_mov_b32_e32 v10, 0
	v_lshlrev_b64 v[9:10], 1, v[9:10]
	s_waitcnt lgkmcnt(0)
	v_add_co_u32 v9, s3, s12, v9
	v_add_co_ci_u32_e64 v10, null, s13, v10, s3
	global_store_short v[9:10], v2, off
.LBB151_56:
	s_or_b32 exec_lo, exec_lo, s4
	v_add3_u32 v1, v1, s7, 56
	v_cmp_gt_u32_e64 s3, s8, v1
	s_and_b32 exec_lo, exec_lo, s3
	s_cbranch_execz .LBB151_62
; %bb.57:
	v_mul_lo_u32 v1, v1, s10
	s_and_saveexec_b32 s3, vcc_lo
	s_cbranch_execnz .LBB151_81
; %bb.58:
	s_or_b32 exec_lo, exec_lo, s3
	s_and_saveexec_b32 s3, s0
	s_cbranch_execnz .LBB151_82
.LBB151_59:
	s_or_b32 exec_lo, exec_lo, s3
	s_and_saveexec_b32 s0, s1
	s_cbranch_execnz .LBB151_83
.LBB151_60:
	s_or_b32 exec_lo, exec_lo, s0
	s_and_b32 exec_lo, exec_lo, s2
	s_cbranch_execz .LBB151_62
.LBB151_61:
	v_add_nc_u32_e32 v0, v1, v8
	v_mov_b32_e32 v1, 0
	v_lshlrev_b64 v[0:1], 1, v[0:1]
	s_waitcnt lgkmcnt(0)
	v_add_co_u32 v0, vcc_lo, s12, v0
	v_add_co_ci_u32_e64 v1, null, s13, v1, vcc_lo
	global_store_short_d16_hi v[0:1], v2, off
.LBB151_62:
	s_endpgm
.LBB151_63:
	v_add_nc_u32_e32 v22, v21, v0
	v_mov_b32_e32 v23, 0
	v_lshlrev_b64 v[22:23], 1, v[22:23]
	s_waitcnt lgkmcnt(0)
	v_add_co_u32 v22, s3, s12, v22
	v_add_co_ci_u32_e64 v23, null, s13, v23, s3
	global_store_short_d16_hi v[22:23], v20, off
	s_or_b32 exec_lo, exec_lo, s4
	s_and_saveexec_b32 s4, s0
	s_cbranch_execz .LBB151_23
.LBB151_64:
	v_add_nc_u32_e32 v22, v21, v6
	v_mov_b32_e32 v23, 0
	v_lshlrev_b64 v[22:23], 1, v[22:23]
	s_waitcnt lgkmcnt(0)
	v_add_co_u32 v22, s3, s12, v22
	v_add_co_ci_u32_e64 v23, null, s13, v23, s3
	global_store_short_d16_hi v[22:23], v19, off
	s_or_b32 exec_lo, exec_lo, s4
	s_and_saveexec_b32 s4, s1
	s_cbranch_execz .LBB151_24
.LBB151_65:
	v_add_nc_u32_e32 v19, v21, v7
	v_mov_b32_e32 v20, 0
	v_lshlrev_b64 v[19:20], 1, v[19:20]
	s_waitcnt lgkmcnt(0)
	v_add_co_u32 v19, s3, s12, v19
	v_add_co_ci_u32_e64 v20, null, s13, v20, s3
	global_store_short_d16_hi v[19:20], v18, off
	s_or_b32 exec_lo, exec_lo, s4
	s_and_saveexec_b32 s4, s2
	s_cbranch_execnz .LBB151_25
	s_branch .LBB151_26
.LBB151_66:
	v_add_nc_u32_e32 v18, v17, v0
	v_mov_b32_e32 v19, 0
	v_lshlrev_b64 v[18:19], 1, v[18:19]
	s_waitcnt lgkmcnt(0)
	v_add_co_u32 v18, s3, s12, v18
	v_add_co_ci_u32_e64 v19, null, s13, v19, s3
	global_store_short v[18:19], v16, off
	s_or_b32 exec_lo, exec_lo, s4
	s_and_saveexec_b32 s4, s0
	s_cbranch_execz .LBB151_29
.LBB151_67:
	v_add_nc_u32_e32 v18, v17, v6
	v_mov_b32_e32 v19, 0
	v_lshlrev_b64 v[18:19], 1, v[18:19]
	s_waitcnt lgkmcnt(0)
	v_add_co_u32 v18, s3, s12, v18
	v_add_co_ci_u32_e64 v19, null, s13, v19, s3
	global_store_short v[18:19], v15, off
	s_or_b32 exec_lo, exec_lo, s4
	s_and_saveexec_b32 s4, s1
	s_cbranch_execz .LBB151_30
.LBB151_68:
	v_add_nc_u32_e32 v18, v17, v7
	v_mov_b32_e32 v19, 0
	v_lshlrev_b64 v[18:19], 1, v[18:19]
	s_waitcnt lgkmcnt(0)
	v_add_co_u32 v18, s3, s12, v18
	v_add_co_ci_u32_e64 v19, null, s13, v19, s3
	global_store_short v[18:19], v14, off
	s_or_b32 exec_lo, exec_lo, s4
	s_and_saveexec_b32 s4, s2
	s_cbranch_execnz .LBB151_31
	s_branch .LBB151_32
.LBB151_69:
	v_add_nc_u32_e32 v18, v17, v0
	v_mov_b32_e32 v19, 0
	v_lshlrev_b64 v[18:19], 1, v[18:19]
	s_waitcnt lgkmcnt(0)
	v_add_co_u32 v18, s3, s12, v18
	v_add_co_ci_u32_e64 v19, null, s13, v19, s3
	global_store_short_d16_hi v[18:19], v16, off
	s_or_b32 exec_lo, exec_lo, s4
	s_and_saveexec_b32 s4, s0
	s_cbranch_execz .LBB151_35
.LBB151_70:
	v_add_nc_u32_e32 v18, v17, v6
	v_mov_b32_e32 v19, 0
	v_lshlrev_b64 v[18:19], 1, v[18:19]
	s_waitcnt lgkmcnt(0)
	v_add_co_u32 v18, s3, s12, v18
	v_add_co_ci_u32_e64 v19, null, s13, v19, s3
	global_store_short_d16_hi v[18:19], v15, off
	s_or_b32 exec_lo, exec_lo, s4
	s_and_saveexec_b32 s4, s1
	s_cbranch_execz .LBB151_36
.LBB151_71:
	v_add_nc_u32_e32 v15, v17, v7
	v_mov_b32_e32 v16, 0
	v_lshlrev_b64 v[15:16], 1, v[15:16]
	s_waitcnt lgkmcnt(0)
	v_add_co_u32 v15, s3, s12, v15
	v_add_co_ci_u32_e64 v16, null, s13, v16, s3
	global_store_short_d16_hi v[15:16], v14, off
	s_or_b32 exec_lo, exec_lo, s4
	s_and_saveexec_b32 s4, s2
	s_cbranch_execnz .LBB151_37
	s_branch .LBB151_38
.LBB151_72:
	v_add_nc_u32_e32 v14, v13, v0
	v_mov_b32_e32 v15, 0
	v_lshlrev_b64 v[14:15], 1, v[14:15]
	s_waitcnt lgkmcnt(0)
	v_add_co_u32 v14, s3, s12, v14
	v_add_co_ci_u32_e64 v15, null, s13, v15, s3
	global_store_short v[14:15], v12, off
	s_or_b32 exec_lo, exec_lo, s4
	s_and_saveexec_b32 s4, s0
	s_cbranch_execz .LBB151_41
.LBB151_73:
	v_add_nc_u32_e32 v14, v13, v6
	v_mov_b32_e32 v15, 0
	v_lshlrev_b64 v[14:15], 1, v[14:15]
	s_waitcnt lgkmcnt(0)
	v_add_co_u32 v14, s3, s12, v14
	v_add_co_ci_u32_e64 v15, null, s13, v15, s3
	global_store_short v[14:15], v11, off
	s_or_b32 exec_lo, exec_lo, s4
	s_and_saveexec_b32 s4, s1
	s_cbranch_execz .LBB151_42
.LBB151_74:
	v_add_nc_u32_e32 v14, v13, v7
	v_mov_b32_e32 v15, 0
	v_lshlrev_b64 v[14:15], 1, v[14:15]
	s_waitcnt lgkmcnt(0)
	v_add_co_u32 v14, s3, s12, v14
	v_add_co_ci_u32_e64 v15, null, s13, v15, s3
	global_store_short v[14:15], v10, off
	s_or_b32 exec_lo, exec_lo, s4
	s_and_saveexec_b32 s4, s2
	s_cbranch_execnz .LBB151_43
	s_branch .LBB151_44
.LBB151_75:
	v_add_nc_u32_e32 v14, v13, v0
	v_mov_b32_e32 v15, 0
	v_lshlrev_b64 v[14:15], 1, v[14:15]
	s_waitcnt lgkmcnt(0)
	v_add_co_u32 v14, s3, s12, v14
	v_add_co_ci_u32_e64 v15, null, s13, v15, s3
	global_store_short_d16_hi v[14:15], v12, off
	s_or_b32 exec_lo, exec_lo, s4
	s_and_saveexec_b32 s4, s0
	s_cbranch_execz .LBB151_47
.LBB151_76:
	v_add_nc_u32_e32 v14, v13, v6
	v_mov_b32_e32 v15, 0
	v_lshlrev_b64 v[14:15], 1, v[14:15]
	s_waitcnt lgkmcnt(0)
	v_add_co_u32 v14, s3, s12, v14
	v_add_co_ci_u32_e64 v15, null, s13, v15, s3
	global_store_short_d16_hi v[14:15], v11, off
	s_or_b32 exec_lo, exec_lo, s4
	s_and_saveexec_b32 s4, s1
	s_cbranch_execz .LBB151_48
.LBB151_77:
	v_add_nc_u32_e32 v11, v13, v7
	v_mov_b32_e32 v12, 0
	v_lshlrev_b64 v[11:12], 1, v[11:12]
	s_waitcnt lgkmcnt(0)
	v_add_co_u32 v11, s3, s12, v11
	v_add_co_ci_u32_e64 v12, null, s13, v12, s3
	global_store_short_d16_hi v[11:12], v10, off
	s_or_b32 exec_lo, exec_lo, s4
	s_and_saveexec_b32 s4, s2
	s_cbranch_execnz .LBB151_49
	s_branch .LBB151_50
.LBB151_78:
	v_add_nc_u32_e32 v10, v9, v0
	v_mov_b32_e32 v11, 0
	v_lshlrev_b64 v[10:11], 1, v[10:11]
	s_waitcnt lgkmcnt(0)
	v_add_co_u32 v10, s3, s12, v10
	v_add_co_ci_u32_e64 v11, null, s13, v11, s3
	global_store_short v[10:11], v5, off
	s_or_b32 exec_lo, exec_lo, s4
	s_and_saveexec_b32 s4, s0
	s_cbranch_execz .LBB151_53
.LBB151_79:
	v_add_nc_u32_e32 v10, v9, v6
	v_mov_b32_e32 v11, 0
	v_lshlrev_b64 v[10:11], 1, v[10:11]
	s_waitcnt lgkmcnt(0)
	v_add_co_u32 v10, s3, s12, v10
	v_add_co_ci_u32_e64 v11, null, s13, v11, s3
	global_store_short v[10:11], v4, off
	s_or_b32 exec_lo, exec_lo, s4
	s_and_saveexec_b32 s4, s1
	s_cbranch_execz .LBB151_54
.LBB151_80:
	v_add_nc_u32_e32 v10, v9, v7
	v_mov_b32_e32 v11, 0
	v_lshlrev_b64 v[10:11], 1, v[10:11]
	s_waitcnt lgkmcnt(0)
	v_add_co_u32 v10, s3, s12, v10
	v_add_co_ci_u32_e64 v11, null, s13, v11, s3
	global_store_short v[10:11], v3, off
	s_or_b32 exec_lo, exec_lo, s4
	s_and_saveexec_b32 s4, s2
	s_cbranch_execnz .LBB151_55
	s_branch .LBB151_56
.LBB151_81:
	v_add_nc_u32_e32 v9, v1, v0
	v_mov_b32_e32 v10, 0
	v_lshlrev_b64 v[9:10], 1, v[9:10]
	s_waitcnt lgkmcnt(0)
	v_add_co_u32 v9, vcc_lo, s12, v9
	v_add_co_ci_u32_e64 v10, null, s13, v10, vcc_lo
	global_store_short_d16_hi v[9:10], v5, off
	s_or_b32 exec_lo, exec_lo, s3
	s_and_saveexec_b32 s3, s0
	s_cbranch_execz .LBB151_59
.LBB151_82:
	v_add_nc_u32_e32 v5, v1, v6
	v_mov_b32_e32 v6, 0
	v_lshlrev_b64 v[5:6], 1, v[5:6]
	s_waitcnt lgkmcnt(0)
	v_add_co_u32 v5, vcc_lo, s12, v5
	v_add_co_ci_u32_e64 v6, null, s13, v6, vcc_lo
	global_store_short_d16_hi v[5:6], v4, off
	s_or_b32 exec_lo, exec_lo, s3
	s_and_saveexec_b32 s0, s1
	s_cbranch_execz .LBB151_60
.LBB151_83:
	v_add_nc_u32_e32 v4, v1, v7
	v_mov_b32_e32 v5, 0
	v_lshlrev_b64 v[4:5], 1, v[4:5]
	s_waitcnt lgkmcnt(0)
	v_add_co_u32 v4, vcc_lo, s12, v4
	v_add_co_ci_u32_e64 v5, null, s13, v5, vcc_lo
	global_store_short_d16_hi v[4:5], v3, off
	s_or_b32 exec_lo, exec_lo, s0
	s_and_b32 exec_lo, exec_lo, s2
	s_cbranch_execnz .LBB151_61
	s_branch .LBB151_62
	.section	.rodata,"a",@progbits
	.p2align	6, 0x0
	.amdhsa_kernel _ZL12mul_mat_q4_KIN3c104HalfELb0EEvPKvS3_PT_iiiii
		.amdhsa_group_segment_fixed_size 28752
		.amdhsa_private_segment_fixed_size 160
		.amdhsa_kernarg_size 44
		.amdhsa_user_sgpr_count 6
		.amdhsa_user_sgpr_private_segment_buffer 1
		.amdhsa_user_sgpr_dispatch_ptr 0
		.amdhsa_user_sgpr_queue_ptr 0
		.amdhsa_user_sgpr_kernarg_segment_ptr 1
		.amdhsa_user_sgpr_dispatch_id 0
		.amdhsa_user_sgpr_flat_scratch_init 0
		.amdhsa_user_sgpr_private_segment_size 0
		.amdhsa_wavefront_size32 1
		.amdhsa_uses_dynamic_stack 0
		.amdhsa_system_sgpr_private_segment_wavefront_offset 1
		.amdhsa_system_sgpr_workgroup_id_x 1
		.amdhsa_system_sgpr_workgroup_id_y 1
		.amdhsa_system_sgpr_workgroup_id_z 0
		.amdhsa_system_sgpr_workgroup_info 0
		.amdhsa_system_vgpr_workitem_id 1
		.amdhsa_next_free_vgpr 256
		.amdhsa_next_free_sgpr 24
		.amdhsa_reserve_vcc 1
		.amdhsa_reserve_flat_scratch 0
		.amdhsa_float_round_mode_32 0
		.amdhsa_float_round_mode_16_64 0
		.amdhsa_float_denorm_mode_32 3
		.amdhsa_float_denorm_mode_16_64 3
		.amdhsa_dx10_clamp 1
		.amdhsa_ieee_mode 1
		.amdhsa_fp16_overflow 0
		.amdhsa_workgroup_processor_mode 1
		.amdhsa_memory_ordered 1
		.amdhsa_forward_progress 1
		.amdhsa_shared_vgpr_count 0
		.amdhsa_exception_fp_ieee_invalid_op 0
		.amdhsa_exception_fp_denorm_src 0
		.amdhsa_exception_fp_ieee_div_zero 0
		.amdhsa_exception_fp_ieee_overflow 0
		.amdhsa_exception_fp_ieee_underflow 0
		.amdhsa_exception_fp_ieee_inexact 0
		.amdhsa_exception_int_div_zero 0
	.end_amdhsa_kernel
	.section	.text._ZL12mul_mat_q4_KIN3c104HalfELb0EEvPKvS3_PT_iiiii,"axG",@progbits,_ZL12mul_mat_q4_KIN3c104HalfELb0EEvPKvS3_PT_iiiii,comdat
.Lfunc_end151:
	.size	_ZL12mul_mat_q4_KIN3c104HalfELb0EEvPKvS3_PT_iiiii, .Lfunc_end151-_ZL12mul_mat_q4_KIN3c104HalfELb0EEvPKvS3_PT_iiiii
                                        ; -- End function
	.set _ZL12mul_mat_q4_KIN3c104HalfELb0EEvPKvS3_PT_iiiii.num_vgpr, 256
	.set _ZL12mul_mat_q4_KIN3c104HalfELb0EEvPKvS3_PT_iiiii.num_agpr, 0
	.set _ZL12mul_mat_q4_KIN3c104HalfELb0EEvPKvS3_PT_iiiii.numbered_sgpr, 24
	.set _ZL12mul_mat_q4_KIN3c104HalfELb0EEvPKvS3_PT_iiiii.num_named_barrier, 0
	.set _ZL12mul_mat_q4_KIN3c104HalfELb0EEvPKvS3_PT_iiiii.private_seg_size, 160
	.set _ZL12mul_mat_q4_KIN3c104HalfELb0EEvPKvS3_PT_iiiii.uses_vcc, 1
	.set _ZL12mul_mat_q4_KIN3c104HalfELb0EEvPKvS3_PT_iiiii.uses_flat_scratch, 0
	.set _ZL12mul_mat_q4_KIN3c104HalfELb0EEvPKvS3_PT_iiiii.has_dyn_sized_stack, 0
	.set _ZL12mul_mat_q4_KIN3c104HalfELb0EEvPKvS3_PT_iiiii.has_recursion, 0
	.set _ZL12mul_mat_q4_KIN3c104HalfELb0EEvPKvS3_PT_iiiii.has_indirect_call, 0
	.section	.AMDGPU.csdata,"",@progbits
; Kernel info:
; codeLenInByte = 19268
; TotalNumSgprs: 26
; NumVgprs: 256
; ScratchSize: 160
; MemoryBound: 0
; FloatMode: 240
; IeeeMode: 1
; LDSByteSize: 28752 bytes/workgroup (compile time only)
; SGPRBlocks: 0
; VGPRBlocks: 31
; NumSGPRsForWavesPerEU: 26
; NumVGPRsForWavesPerEU: 256
; Occupancy: 4
; WaveLimiterHint : 0
; COMPUTE_PGM_RSRC2:SCRATCH_EN: 1
; COMPUTE_PGM_RSRC2:USER_SGPR: 6
; COMPUTE_PGM_RSRC2:TRAP_HANDLER: 0
; COMPUTE_PGM_RSRC2:TGID_X_EN: 1
; COMPUTE_PGM_RSRC2:TGID_Y_EN: 1
; COMPUTE_PGM_RSRC2:TGID_Z_EN: 0
; COMPUTE_PGM_RSRC2:TIDIG_COMP_CNT: 1
	.section	.text._ZL12mul_mat_q4_KIN3c104HalfELb1EEvPKvS3_PT_iiiii,"axG",@progbits,_ZL12mul_mat_q4_KIN3c104HalfELb1EEvPKvS3_PT_iiiii,comdat
	.globl	_ZL12mul_mat_q4_KIN3c104HalfELb1EEvPKvS3_PT_iiiii ; -- Begin function _ZL12mul_mat_q4_KIN3c104HalfELb1EEvPKvS3_PT_iiiii
	.p2align	8
	.type	_ZL12mul_mat_q4_KIN3c104HalfELb1EEvPKvS3_PT_iiiii,@function
_ZL12mul_mat_q4_KIN3c104HalfELb1EEvPKvS3_PT_iiiii: ; @_ZL12mul_mat_q4_KIN3c104HalfELb1EEvPKvS3_PT_iiiii
; %bb.0:
	s_mov_b64 s[22:23], s[2:3]
	s_mov_b64 s[20:21], s[0:1]
	s_add_u32 s20, s20, s8
	s_clause 0x1
	s_load_dwordx4 s[8:11], s[4:5], 0x18
	s_load_dword s14, s[4:5], 0x28
	s_addc_u32 s21, s21, 0
	s_lshl_b32 s7, s7, 6
	v_add_nc_u32_e32 v24, s7, v1
	s_waitcnt lgkmcnt(0)
	s_cmpk_gt_i32 s8, 0xff
	s_cbranch_scc1 .LBB152_2
; %bb.1:
	v_add_nc_u32_e32 v6, s7, v1
	s_mov_b32 s0, 0
	s_branch .LBB152_3
.LBB152_2:
	s_mov_b32 s0, -1
                                        ; implicit-def: $vgpr6
.LBB152_3:
	s_load_dwordx2 s[12:13], s[4:5], 0x10
	v_mov_b32_e32 v2, 0
	v_mov_b32_e32 v9, 0
	;; [unrolled: 1-line block ×16, first 2 shown]
	s_lshl_b32 s6, s6, 7
	s_andn2_b32 vcc_lo, exec_lo, s0
	s_mov_b32 s15, 0
	s_cbranch_vccnz .LBB152_11
; %bb.4:
	s_load_dwordx4 s[0:3], s[4:5], 0x0
	s_ashr_i32 s4, s8, 31
	s_ashr_i32 s5, s11, 31
	s_lshr_b32 s4, s4, 24
	s_lshr_b32 s5, s5, 27
	s_add_i32 s4, s8, s4
	s_add_i32 s5, s11, s5
	s_ashr_i32 s4, s4, 8
	s_ashr_i32 s11, s5, 5
	s_mul_i32 s8, s4, s6
	v_add_nc_u32_e32 v17, 8, v1
	s_mul_i32 s5, s8, 0x90
	s_mul_hi_i32 s8, s8, 0x90
	v_lshlrev_b32_e32 v20, 2, v0
	v_add_nc_u32_e32 v19, 16, v1
	v_add_nc_u32_e32 v25, 24, v1
	v_add_nc_u32_e32 v26, 32, v1
	v_add_nc_u32_e32 v27, 40, v1
	v_add_nc_u32_e32 v28, 48, v1
	v_add_nc_u32_e32 v29, 56, v1
	s_waitcnt lgkmcnt(0)
	s_add_u32 s5, s0, s5
	s_addc_u32 s8, s1, s8
	s_not_b32 s0, s6
	v_lshlrev_b32_e32 v109, 5, v1
	s_add_i32 s0, s9, s0
	v_add_nc_u32_e32 v11, 24, v24
	v_min_i32_e32 v2, s0, v1
	v_min_i32_e32 v3, s0, v17
	;; [unrolled: 1-line block ×3, first 2 shown]
	v_add_nc_u32_e32 v13, 32, v24
	v_add_nc_u32_e32 v15, 40, v24
	v_mul_lo_u32 v5, v2, s4
	v_add_nc_u32_e32 v22, 48, v24
	s_add_i32 s1, s10, -1
	v_cvt_f64_u32_e32 v[11:12], v11
	v_cvt_f64_u32_e32 v[13:14], v13
	;; [unrolled: 1-line block ×3, first 2 shown]
	v_and_b32_e32 v37, 4, v20
	v_lshrrev_b32_e32 v40, 5, v0
	buffer_store_dword v5, off, s[20:23], 0 offset:28 ; 4-byte Folded Spill
	v_mad_u64_u32 v[5:6], null, 0x84, v2, v[20:21]
	v_mul_lo_u32 v2, v3, s4
	v_mov_b32_e32 v18, 0
	v_lshlrev_b32_e32 v140, 5, v19
	v_and_b32_e32 v100, 0x7c, v20
	buffer_store_dword v5, off, s[20:23], 0 offset:32 ; 4-byte Folded Spill
	buffer_store_dword v6, off, s[20:23], 0 offset:36 ; 4-byte Folded Spill
	v_lshlrev_b32_e32 v139, 5, v17
	buffer_store_dword v2, off, s[20:23], 0 offset:40 ; 4-byte Folded Spill
	v_mad_u64_u32 v[2:3], null, 0x84, v3, v[20:21]
	v_lshlrev_b32_e32 v141, 5, v25
	buffer_store_dword v2, off, s[20:23], 0 offset:44 ; 4-byte Folded Spill
	buffer_store_dword v3, off, s[20:23], 0 offset:48 ; 4-byte Folded Spill
	v_mul_lo_u32 v2, v4, s4
	v_mad_u64_u32 v[3:4], null, 0x84, v4, v[20:21]
	v_lshlrev_b32_e32 v142, 5, v26
	v_lshlrev_b32_e32 v143, 5, v27
	v_lshlrev_b32_e32 v144, 5, v28
	v_lshlrev_b32_e32 v145, 5, v29
	v_mov_b32_e32 v169, 0xffff
	buffer_store_dword v2, off, s[20:23], 0 offset:52 ; 4-byte Folded Spill
	v_min_i32_e32 v2, s0, v25
	buffer_store_dword v3, off, s[20:23], 0 offset:56 ; 4-byte Folded Spill
	buffer_store_dword v4, off, s[20:23], 0 offset:60 ; 4-byte Folded Spill
	v_min_i32_e32 v3, s0, v26
	v_mul_lo_u32 v4, v2, s4
	buffer_store_dword v4, off, s[20:23], 0 offset:64 ; 4-byte Folded Spill
	v_mad_u64_u32 v[4:5], null, 0x84, v2, v[20:21]
	v_mul_lo_u32 v2, v3, s4
	buffer_store_dword v4, off, s[20:23], 0 offset:68 ; 4-byte Folded Spill
	buffer_store_dword v5, off, s[20:23], 0 offset:72 ; 4-byte Folded Spill
	v_mad_u64_u32 v[3:4], null, 0x84, v3, v[20:21]
	buffer_store_dword v2, off, s[20:23], 0 offset:76 ; 4-byte Folded Spill
	v_min_i32_e32 v2, s0, v27
	buffer_store_dword v3, off, s[20:23], 0 offset:80 ; 4-byte Folded Spill
	buffer_store_dword v4, off, s[20:23], 0 offset:84 ; 4-byte Folded Spill
	v_mul_lo_u32 v3, v2, s4
	v_mad_u64_u32 v[4:5], null, 0x84, v2, v[20:21]
	v_min_i32_e32 v2, s0, v29
	buffer_store_dword v3, off, s[20:23], 0 offset:88 ; 4-byte Folded Spill
	v_min_i32_e32 v3, s0, v28
	buffer_store_dword v4, off, s[20:23], 0 offset:92 ; 4-byte Folded Spill
	buffer_store_dword v5, off, s[20:23], 0 offset:96 ; 4-byte Folded Spill
	v_add_nc_u32_e32 v4, 64, v1
	v_mul_lo_u32 v5, v3, s4
	buffer_store_dword v5, off, s[20:23], 0 offset:100 ; 4-byte Folded Spill
	v_mad_u64_u32 v[5:6], null, 0x84, v3, v[20:21]
	v_mul_lo_u32 v3, v2, s4
	buffer_store_dword v5, off, s[20:23], 0 offset:104 ; 4-byte Folded Spill
	buffer_store_dword v6, off, s[20:23], 0 offset:108 ; 4-byte Folded Spill
	v_mad_u64_u32 v[5:6], null, 0x84, v2, v[20:21]
	buffer_store_dword v3, off, s[20:23], 0 offset:112 ; 4-byte Folded Spill
	v_min_i32_e32 v3, s0, v4
	v_add_nc_u32_e32 v4, 0x48, v1
	buffer_store_dword v5, off, s[20:23], 0 offset:116 ; 4-byte Folded Spill
	buffer_store_dword v6, off, s[20:23], 0 offset:120 ; 4-byte Folded Spill
	v_mul_lo_u32 v2, v3, s4
	v_mad_u64_u32 v[6:7], null, 0x84, v3, v[20:21]
	v_add_nc_u32_e32 v5, v109, v0
	buffer_store_dword v2, off, s[20:23], 0 offset:124 ; 4-byte Folded Spill
	v_min_i32_e32 v2, s0, v4
	v_add_nc_u32_e32 v4, 0x50, v1
	buffer_store_dword v6, off, s[20:23], 0 offset:128 ; 4-byte Folded Spill
	buffer_store_dword v7, off, s[20:23], 0 offset:132 ; 4-byte Folded Spill
	v_and_b32_e32 v5, 0x7f, v5
	v_mul_lo_u32 v3, v2, s4
	v_mad_u64_u32 v[6:7], null, 0x84, v2, v[20:21]
	v_min_i32_e32 v5, s0, v5
	buffer_store_dword v3, off, s[20:23], 0 offset:136 ; 4-byte Folded Spill
	v_min_i32_e32 v3, s0, v4
	v_add_nc_u32_e32 v4, 0x58, v1
	buffer_store_dword v6, off, s[20:23], 0 offset:140 ; 4-byte Folded Spill
	buffer_store_dword v7, off, s[20:23], 0 offset:144 ; 4-byte Folded Spill
	v_mul_lo_u32 v2, v3, s4
	v_mad_u64_u32 v[6:7], null, 0x84, v3, v[20:21]
	buffer_store_dword v2, off, s[20:23], 0 offset:148 ; 4-byte Folded Spill
	v_min_i32_e32 v2, s0, v4
	v_add_nc_u32_e32 v4, 0x60, v1
	buffer_store_dword v6, off, s[20:23], 0 offset:152 ; 4-byte Folded Spill
	buffer_store_dword v7, off, s[20:23], 0 offset:156 ; 4-byte Folded Spill
	v_ashrrev_i32_e32 v6, 31, v5
	v_mul_lo_u32 v3, v2, s4
	v_mad_u64_u32 v[7:8], null, 0x84, v2, v[20:21]
	v_lshrrev_b32_e32 v6, 27, v6
	buffer_store_dword v3, off, s[20:23], 0 offset:160 ; 4-byte Folded Spill
	v_min_i32_e32 v3, s0, v4
	v_add_nc_u32_e32 v4, 0x68, v1
	buffer_store_dword v7, off, s[20:23], 0 offset:164 ; 4-byte Folded Spill
	buffer_store_dword v8, off, s[20:23], 0 offset:168 ; 4-byte Folded Spill
	v_add_nc_u32_e32 v6, v5, v6
	v_mul_lo_u32 v2, v3, s4
	v_mad_u64_u32 v[7:8], null, 0x84, v3, v[20:21]
	v_ashrrev_i32_e32 v6, 5, v6
	buffer_store_dword v2, off, s[20:23], 0 offset:172 ; 4-byte Folded Spill
	v_min_i32_e32 v2, s0, v4
	v_add_nc_u32_e32 v4, 0x70, v1
	buffer_store_dword v7, off, s[20:23], 0 offset:176 ; 4-byte Folded Spill
	buffer_store_dword v8, off, s[20:23], 0 offset:180 ; 4-byte Folded Spill
	v_lshrrev_b32_e32 v7, 2, v0
	v_lshlrev_b32_e32 v6, 2, v6
	v_mul_lo_u32 v3, v2, s4
	v_mad_u64_u32 v[8:9], null, 0x84, v2, v[20:21]
	v_lshl_add_u32 v30, v1, 3, v7
	buffer_store_dword v3, off, s[20:23], 0 offset:184 ; 4-byte Folded Spill
	v_min_i32_e32 v3, s0, v4
	v_add_nc_u32_e32 v4, 0x78, v1
	buffer_store_dword v8, off, s[20:23], 0 offset:188 ; 4-byte Folded Spill
	buffer_store_dword v9, off, s[20:23], 0 offset:192 ; 4-byte Folded Spill
	v_mul_lo_u32 v2, v3, s4
	v_min_i32_e32 v4, s0, v4
	v_mul_lo_u32 v7, v4, s4
	v_mad_u64_u32 v[9:10], null, 0x84, v4, v[20:21]
	buffer_store_dword v2, off, s[20:23], 0 offset:196 ; 4-byte Folded Spill
	v_mad_u64_u32 v[2:3], null, 0x84, v3, v[20:21]
	buffer_store_dword v2, off, s[20:23], 0 offset:200 ; 4-byte Folded Spill
	buffer_store_dword v3, off, s[20:23], 0 offset:204 ; 4-byte Folded Spill
	v_and_b32_e32 v2, 3, v0
	v_and_b32_e32 v3, 0x7f, v30
	v_mul_lo_u32 v4, v5, s4
	buffer_store_dword v7, off, s[20:23], 0 offset:208 ; 4-byte Folded Spill
	v_lshlrev_b32_e32 v7, 2, v5
	v_add_nc_u32_e32 v8, 0xfe, v2
	v_min_i32_e32 v31, s0, v3
	buffer_store_dword v9, off, s[20:23], 0 offset:212 ; 4-byte Folded Spill
	buffer_store_dword v10, off, s[20:23], 0 offset:216 ; 4-byte Folded Spill
	v_xor_b32_e32 v9, 64, v3
	v_add_nc_u32_e32 v10, 16, v24
	buffer_store_dword v4, off, s[20:23], 0 offset:220 ; 4-byte Folded Spill
	v_add3_u32 v4, v6, v7, 0x6e40
	v_and_b32_e32 v21, 0xff, v8
	v_ashrrev_i32_e32 v23, 31, v31
	v_add_nc_u32_e32 v7, 8, v24
	v_cvt_f64_u32_e32 v[5:6], v24
	buffer_store_dword v24, off, s[20:23], 0 offset:276 ; 4-byte Folded Spill
	v_add_nc_u32_e32 v24, 56, v24
	v_cmp_gt_u32_e32 vcc_lo, 2, v2
	buffer_store_dword v4, off, s[20:23], 0 offset:224 ; 4-byte Folded Spill
	v_cvt_f64_i32_e32 v[3:4], s1
	v_cvt_f64_u32_e32 v[7:8], v7
	v_min_i32_e32 v32, s0, v9
	v_cvt_f64_u32_e32 v[9:10], v10
	v_cndmask_b32_e32 v33, v21, v2, vcc_lo
	v_cvt_f64_u32_e32 v[21:22], v22
	v_lshrrev_b32_e32 v34, 29, v23
	v_cvt_f64_u32_e32 v[23:24], v24
	v_ashrrev_i32_e32 v35, 31, v32
	v_cmp_ne_u32_e32 vcc_lo, 0, v2
	v_lshlrev_b32_e32 v39, 2, v2
	v_add_nc_u32_e32 v34, v31, v34
	s_movk_i32 s0, 0x1080
	v_lshrrev_b32_e32 v35, 29, v35
	v_add_co_ci_u32_e64 v36, null, 0, v33, vcc_lo
	v_lshlrev_b32_e32 v33, 1, v33
	v_cmp_lt_u32_e32 vcc_lo, 1, v2
	v_add_nc_u32_e32 v35, v32, v35
	v_ashrrev_i32_e32 v34, 3, v34
	v_mad_u32_u24 v146, 0x84, v0, s0
	buffer_store_dword v33, off, s[20:23], 0 offset:232 ; 4-byte Folded Spill
	v_min_f64 v[5:6], v[5:6], v[3:4]
	v_min_f64 v[7:8], v[7:8], v[3:4]
	;; [unrolled: 1-line block ×8, first 2 shown]
	v_mul_lo_u32 v23, v31, s4
	v_ashrrev_i32_e32 v35, 3, v35
	v_mul_lo_u32 v33, v32, s4
	v_cndmask_b32_e32 v37, 0, v37, vcc_lo
	v_lshlrev_b32_e32 v34, 2, v34
	v_cndmask_b32_e64 v38, 0, 1, vcc_lo
	v_lshlrev_b32_e32 v31, 4, v31
	s_movk_i32 s0, 0x2100
	buffer_store_dword v23, off, s[20:23], 0 offset:236 ; 4-byte Folded Spill
	v_lshlrev_b32_e32 v23, 2, v35
	buffer_store_dword v37, off, s[20:23], 0 offset:228 ; 4-byte Folded Spill
	buffer_store_dword v33, off, s[20:23], 0 offset:240 ; 4-byte Folded Spill
	v_add3_u32 v24, v34, v39, 0x6200
	v_lshrrev_b32_e32 v33, 3, v0
	v_cvt_i32_f64_e32 v5, v[5:6]
	v_cvt_i32_f64_e32 v7, v[7:8]
	v_and_b32_e32 v8, 63, v30
	v_add3_u32 v6, v23, v39, 0x6200
	v_cvt_i32_f64_e32 v13, v[13:14]
	v_cvt_i32_f64_e32 v15, v[15:16]
	;; [unrolled: 1-line block ×4, first 2 shown]
	v_or_b32_e32 v14, s7, v8
	v_cvt_i32_f64_e32 v11, v[11:12]
	v_cvt_i32_f64_e32 v9, v[9:10]
	v_lshlrev_b32_e32 v10, 4, v32
	v_and_b32_e32 v12, 31, v0
	v_min_i32_e32 v14, s1, v14
	v_lshl_or_b32 v8, v8, 4, v39
	v_and_b32_e32 v16, 28, v20
	v_lshlrev_b32_e32 v4, 7, v17
	v_lshl_or_b32 v12, v12, 2, 0x4200
	s_movk_i32 s1, 0x3180
	v_add_nc_u32_e32 v37, 0x6a40, v8
	v_lshlrev_b32_e32 v8, 7, v26
	v_mad_u32_u24 v147, 0x84, v0, s0
	v_mul_lo_u32 v98, s11, v5
	v_lshlrev_b32_e32 v5, 7, v19
	v_mul_lo_u32 v126, s11, v7
	v_lshlrev_b32_e32 v7, 7, v25
	v_mov_b32_e32 v19, v18
	v_mul_lo_u32 v130, s11, v15
	v_mul_lo_u32 v131, s11, v21
	v_mad_u64_u32 v[22:23], null, v14, s11, v[2:3]
	v_add_nc_u32_e32 v14, 64, v0
	v_mul_lo_u32 v132, s11, v3
	v_add_nc_u32_e32 v3, 0x60, v0
	v_lshlrev_b32_e32 v15, 2, v40
	buffer_store_dword v22, off, s[20:23], 0 offset:244 ; 4-byte Folded Spill
	buffer_store_dword v23, off, s[20:23], 0 offset:248 ; 4-byte Folded Spill
	v_lshrrev_b32_e32 v21, 3, v14
	v_lshrrev_b32_e32 v23, 3, v3
	v_add3_u32 v133, v20, v15, 0x6e40
	v_lshlrev_b32_e32 v2, 7, v1
	v_mul_lo_u32 v128, s11, v11
	v_and_b32_e32 v15, 60, v21
	v_and_b32_e32 v32, 60, v23
	v_add_nc_u32_e32 v11, 32, v0
	v_add_nc_u32_e32 v161, v12, v2
	v_mul_lo_u32 v127, s11, v9
	v_add3_u32 v15, v20, v15, 0x6e40
	v_lshlrev_b32_e32 v9, 7, v27
	v_lshrrev_b32_e32 v34, 3, v11
	v_mul_lo_u32 v129, s11, v13
	v_lshlrev_b32_e32 v13, 7, v28
	buffer_store_dword v15, off, s[20:23], 0 ; 4-byte Folded Spill
	v_add3_u32 v15, v20, v32, 0x6e40
	v_lshlrev_b32_e32 v22, 7, v29
	v_and_b32_e32 v30, 60, v34
	v_lshlrev_b32_e32 v11, 2, v11
	v_lshlrev_b32_e32 v14, 2, v14
	buffer_store_dword v15, off, s[20:23], 0 offset:4 ; 4-byte Folded Spill
	v_add_nc_u32_e32 v15, 0x4200, v2
	v_add_nc_u32_e32 v2, v12, v5
	v_lshlrev_b32_e32 v3, 2, v3
	v_add_co_u32 v46, s0, s2, v16
	buffer_store_dword v15, off, s[20:23], 0 offset:256 ; 4-byte Folded Spill
	buffer_store_dword v2, off, s[20:23], 0 offset:8 ; 4-byte Folded Spill
	v_add_nc_u32_e32 v2, v12, v7
	v_lshlrev_b32_e32 v15, 2, v36
	v_mov_b32_e32 v61, v19
	v_mov_b32_e32 v51, v19
	;; [unrolled: 1-line block ×3, first 2 shown]
	buffer_store_dword v2, off, s[20:23], 0 offset:12 ; 4-byte Folded Spill
	v_add_nc_u32_e32 v2, v12, v8
	buffer_store_dword v15, off, s[20:23], 0 offset:260 ; 4-byte Folded Spill
	v_lshlrev_b32_e32 v15, 2, v38
	v_mov_b32_e32 v39, v19
	v_mov_b32_e32 v63, v19
	buffer_store_dword v2, off, s[20:23], 0 offset:16 ; 4-byte Folded Spill
	v_add_nc_u32_e32 v2, v12, v9
	v_mov_b32_e32 v53, v19
	v_mov_b32_e32 v41, v19
	;; [unrolled: 1-line block ×10, first 2 shown]
	v_add3_u32 v156, v20, v30, 0x6e40
	v_mad_u32_u24 v148, 0x84, v0, s1
	v_add_co_ci_u32_e64 v47, null, s3, 0, s0
	v_lshlrev_b32_e32 v150, 2, v23
	v_lshlrev_b32_e32 v151, 2, v21
	;; [unrolled: 1-line block ×4, first 2 shown]
	buffer_store_dword v15, off, s[20:23], 0 offset:264 ; 4-byte Folded Spill
	v_add_nc_u32_e32 v15, v24, v31
	v_add_nc_u32_e32 v6, v6, v10
	;; [unrolled: 1-line block ×3, first 2 shown]
	buffer_store_dword v2, off, s[20:23], 0 offset:20 ; 4-byte Folded Spill
	v_add_nc_u32_e32 v2, v12, v13
	v_add_nc_u32_e32 v165, v12, v22
	v_lshlrev_b32_e32 v166, 2, v11
	v_lshlrev_b32_e32 v167, 2, v14
	;; [unrolled: 1-line block ×3, first 2 shown]
	v_mov_b32_e32 v60, v18
	v_mov_b32_e32 v50, v18
	;; [unrolled: 1-line block ×15, first 2 shown]
	buffer_store_dword v34, off, s[20:23], 0 offset:252 ; 4-byte Folded Spill
	buffer_store_dword v15, off, s[20:23], 0 offset:268 ; 4-byte Folded Spill
	;; [unrolled: 1-line block ×4, first 2 shown]
.LBB152_5:                              ; =>This Loop Header: Depth=1
                                        ;     Child Loop BB152_6 Depth 2
                                        ;     Child Loop BB152_8 Depth 2
	s_clause 0x8
	buffer_load_dword v4, off, s[20:23], 0 offset:28
	buffer_load_dword v6, off, s[20:23], 0 offset:40
	;; [unrolled: 1-line block ×9, first 2 shown]
	s_mul_i32 s0, s15, 0x90
	v_lshrrev_b32_e32 v2, 5, v0
	s_mul_hi_u32 s1, s15, 0x90
	s_add_u32 s0, s5, s0
	s_addc_u32 s1, s8, s1
	v_lshrrev_b32_e32 v29, 3, v0
	v_mad_u64_u32 v[2:3], null, 0x90, v2, s[0:1]
	s_lshl_b32 s9, s15, 3
	v_add_nc_u32_e32 v33, s9, v29
	v_add_nc_u32_e32 v29, v33, v98
	;; [unrolled: 1-line block ×5, first 2 shown]
	v_mad_i64_i32 v[35:36], null, v35, 36, v[46:47]
	v_mad_i64_i32 v[70:71], null, v70, 36, v[46:47]
	s_waitcnt vmcnt(8)
	v_mad_i64_i32 v[4:5], null, 0x90, v4, v[2:3]
	s_waitcnt vmcnt(7)
	;; [unrolled: 2-line block ×4, first 2 shown]
	v_mad_i64_i32 v[10:11], null, 0x90, v10, v[2:3]
	v_add_co_u32 v4, vcc_lo, v4, v100
	s_waitcnt vmcnt(4)
	v_mad_i64_i32 v[12:13], null, 0x90, v12, v[2:3]
	v_add_co_ci_u32_e64 v5, null, 0, v5, vcc_lo
	v_add_co_u32 v6, vcc_lo, v6, v100
	s_waitcnt vmcnt(3)
	v_mad_i64_i32 v[14:15], null, 0x90, v14, v[2:3]
	v_add_co_ci_u32_e64 v7, null, 0, v7, vcc_lo
	;; [unrolled: 4-line block ×5, first 2 shown]
	v_add_co_u32 v14, vcc_lo, v14, v100
	v_add_co_ci_u32_e64 v15, null, 0, v15, vcc_lo
	v_add_co_u32 v16, vcc_lo, v16, v100
	v_add_co_ci_u32_e64 v17, null, 0, v17, vcc_lo
	;; [unrolled: 2-line block ×3, first 2 shown]
	s_clause 0x7
	global_load_dword v72, v[4:5], off offset:16
	global_load_dword v73, v[6:7], off offset:16
	;; [unrolled: 1-line block ×8, first 2 shown]
	s_clause 0x6
	buffer_load_dword v4, off, s[20:23], 0 offset:136
	buffer_load_dword v8, off, s[20:23], 0 offset:148
	;; [unrolled: 1-line block ×7, first 2 shown]
	v_add_co_u32 v6, vcc_lo, v23, v100
	buffer_load_dword v23, off, s[20:23], 0 offset:208 ; 4-byte Folded Reload
	v_add_co_ci_u32_e64 v7, null, 0, v24, vcc_lo
	s_clause 0x1
	buffer_load_dword v27, off, s[20:23], 0 offset:260
	buffer_load_dword v30, off, s[20:23], 0 offset:264
	s_waitcnt vmcnt(9)
	v_mad_i64_i32 v[4:5], null, 0x90, v4, v[2:3]
	s_waitcnt vmcnt(8)
	v_mad_i64_i32 v[8:9], null, 0x90, v8, v[2:3]
	;; [unrolled: 2-line block ×7, first 2 shown]
	buffer_load_dword v23, off, s[20:23], 0 offset:240 ; 4-byte Folded Reload
	v_add_co_u32 v4, vcc_lo, v4, v100
	v_add_co_ci_u32_e64 v5, null, 0, v5, vcc_lo
	v_add_co_u32 v8, vcc_lo, v8, v100
	v_mad_i64_i32 v[16:17], null, 0x90, v16, s[0:1]
	v_add_co_ci_u32_e64 v9, null, 0, v9, vcc_lo
	v_add_co_u32 v10, vcc_lo, v10, v100
	v_add_co_ci_u32_e64 v11, null, 0, v11, vcc_lo
	v_add_co_u32 v12, vcc_lo, v12, v100
	;; [unrolled: 2-line block ×3, first 2 shown]
	v_add_co_ci_u32_e64 v15, null, 0, v15, vcc_lo
	s_waitcnt vmcnt(2)
	v_add_co_u32 v25, vcc_lo, v16, v27
	v_add_co_ci_u32_e64 v26, null, 0, v17, vcc_lo
	s_waitcnt vmcnt(1)
	v_add_co_u32 v16, vcc_lo, v16, v30
	v_add_co_ci_u32_e64 v17, null, 0, v17, vcc_lo
	s_waitcnt vmcnt(0)
	v_mad_i64_i32 v[23:24], null, 0x90, v23, s[0:1]
	v_add_co_u32 v27, vcc_lo, v23, v27
	v_add_co_ci_u32_e64 v28, null, 0, v24, vcc_lo
	v_add_co_u32 v23, vcc_lo, v23, v30
	v_add_co_ci_u32_e64 v24, null, 0, v24, vcc_lo
	s_clause 0x3
	global_load_dword v80, v[25:26], off offset:4
	global_load_dword v81, v[16:17], off offset:4
	;; [unrolled: 1-line block ×4, first 2 shown]
	s_clause 0x1
	buffer_load_dword v16, off, s[20:23], 0 offset:244
	buffer_load_dword v17, off, s[20:23], 0 offset:248
	v_add_nc_u32_e32 v23, v33, v126
	v_add_nc_u32_e32 v25, v33, v127
	v_add_nc_u32_e32 v27, v33, v128
	v_mad_i64_i32 v[23:24], null, v23, 36, v[46:47]
	v_mad_i64_i32 v[25:26], null, v25, 36, v[46:47]
	;; [unrolled: 1-line block ×3, first 2 shown]
	s_waitcnt vmcnt(1)
	v_add_nc_u32_e32 v170, s9, v16
	s_waitcnt vmcnt(0)
	v_mad_i64_i32 v[16:17], null, v29, 36, v[46:47]
	v_add_nc_u32_e32 v29, v33, v129
	v_mad_i64_i32 v[33:34], null, v34, 36, v[46:47]
	v_mad_u64_u32 v[31:32], null, v170, 36, s[2:3]
	v_mad_i64_i32 v[29:30], null, v29, 36, v[46:47]
	s_clause 0x8
	global_load_dword v31, v[31:32], off
	global_load_dword v32, v[16:17], off offset:4
	global_load_dword v23, v[23:24], off offset:4
	;; [unrolled: 1-line block ×8, first 2 shown]
	v_add_co_u32 v16, vcc_lo, v21, v100
	buffer_load_dword v21, off, s[20:23], 0 offset:220 ; 4-byte Folded Reload
	v_add_co_ci_u32_e64 v17, null, 0, v22, vcc_lo
	v_add_co_u32 v2, vcc_lo, v2, v100
	v_add_co_ci_u32_e64 v3, null, 0, v3, vcc_lo
	s_waitcnt vmcnt(0)
	v_mad_i64_i32 v[21:22], null, 0x90, v21, s[0:1]
	s_clause 0x8
	global_load_dword v6, v[6:7], off offset:16
	global_load_dword v4, v[4:5], off offset:16
	;; [unrolled: 1-line block ×8, first 2 shown]
	global_load_dword v3, v[21:22], off
	s_clause 0x1
	buffer_load_dword v12, off, s[20:23], 0 offset:228
	buffer_load_dword v14, off, s[20:23], 0 offset:232
	ds_write_b32 v37, v31
	ds_write_b32 v161, v32
	;; [unrolled: 1-line block ×3, first 2 shown]
	buffer_load_dword v15, off, s[20:23], 0 offset:8 ; 4-byte Folded Reload
	s_mov_b32 s0, -1
	s_mov_b32 s1, 0
	s_waitcnt vmcnt(2)
	v_ashrrev_i32_e32 v11, v12, v80
	s_waitcnt vmcnt(1)
	v_ashrrev_i32_e32 v13, v14, v81
	v_ashrrev_i32_e32 v12, v12, v82
	;; [unrolled: 1-line block ×3, first 2 shown]
	s_waitcnt vmcnt(0)
	ds_write_b32 v15, v24
	buffer_load_dword v15, off, s[20:23], 0 offset:12 ; 4-byte Folded Reload
	v_and_b32_e32 v11, 0xf0f0f0f, v11
	v_and_b32_e32 v12, 0xf0f0f0f, v12
	s_waitcnt vmcnt(0)
	ds_write_b32 v15, v25
	buffer_load_dword v15, off, s[20:23], 0 offset:16 ; 4-byte Folded Reload
	s_waitcnt vmcnt(0)
	ds_write_b32 v15, v26
	buffer_load_dword v15, off, s[20:23], 0 offset:20 ; 4-byte Folded Reload
	;; [unrolled: 3-line block ×3, first 2 shown]
	s_waitcnt vmcnt(0)
	ds_write_b32 v15, v28
	ds_write_b32 v165, v29
	s_clause 0x1
	buffer_load_dword v15, off, s[20:23], 0 offset:32
	buffer_load_dword v16, off, s[20:23], 0 offset:36
	s_waitcnt vmcnt(1)
	ds_write_b32 v15, v72
	s_clause 0x1
	buffer_load_dword v15, off, s[20:23], 0 offset:44
	buffer_load_dword v16, off, s[20:23], 0 offset:48
	s_waitcnt vmcnt(1)
	;; [unrolled: 5-line block ×14, first 2 shown]
	v_and_or_b32 v5, 0x30303030, v14, v12
	ds_write_b32 v4, v9
	s_clause 0x1
	buffer_load_dword v6, off, s[20:23], 0 offset:200
	buffer_load_dword v7, off, s[20:23], 0 offset:204
	v_and_or_b32 v4, 0x30303030, v13, v11
	s_waitcnt vmcnt(1)
	ds_write_b32 v6, v10
	s_clause 0x1
	buffer_load_dword v6, off, s[20:23], 0 offset:212
	buffer_load_dword v7, off, s[20:23], 0 offset:216
	s_waitcnt vmcnt(1)
	ds_write_b32 v6, v2
	buffer_load_dword v2, off, s[20:23], 0 offset:224 ; 4-byte Folded Reload
	s_waitcnt vmcnt(0)
	ds_write_b32 v2, v3
	buffer_load_dword v2, off, s[20:23], 0 offset:268 ; 4-byte Folded Reload
	;; [unrolled: 3-line block ×3, first 2 shown]
	s_waitcnt vmcnt(0)
	ds_write_b32 v2, v5
	s_waitcnt lgkmcnt(0)
	s_waitcnt_vscnt null, 0x0
	s_barrier
	buffer_gl0_inv
	ds_read_b32 v2, v133
	ds_read_b32 v3, v156 offset:128
	s_clause 0x1
	buffer_load_dword v4, off, s[20:23], 0
	buffer_load_dword v5, off, s[20:23], 0 offset:4
	s_waitcnt lgkmcnt(1)
	v_cvt_f32_f16_e32 v171, v2
	v_cvt_f32_f16_sdwa v172, v2 dst_sel:DWORD dst_unused:UNUSED_PAD src0_sel:WORD_1
	s_waitcnt lgkmcnt(0)
	v_cvt_f32_f16_e32 v173, v3
	v_cvt_f32_f16_sdwa v174, v3 dst_sel:DWORD dst_unused:UNUSED_PAD src0_sel:WORD_1
	v_mov_b32_e32 v179, v171
	v_mov_b32_e32 v180, v172
	;; [unrolled: 1-line block ×4, first 2 shown]
	s_waitcnt vmcnt(1)
	ds_read_b32 v4, v4 offset:256
	s_waitcnt vmcnt(0)
	ds_read_b32 v5, v5 offset:384
	s_waitcnt lgkmcnt(1)
	v_cvt_f32_f16_e32 v175, v4
	v_cvt_f32_f16_sdwa v176, v4 dst_sel:DWORD dst_unused:UNUSED_PAD src0_sel:WORD_1
	s_waitcnt lgkmcnt(0)
	v_cvt_f32_f16_e32 v177, v5
	v_cvt_f32_f16_sdwa v178, v5 dst_sel:DWORD dst_unused:UNUSED_PAD src0_sel:WORD_1
	v_mov_b32_e32 v183, v175
	v_mov_b32_e32 v184, v176
	;; [unrolled: 1-line block ×4, first 2 shown]
.LBB152_6:                              ;   Parent Loop BB152_5 Depth=1
                                        ; =>  This Inner Loop Header: Depth=2
	s_lshl_b32 s11, s1, 1
	v_mul_u32_u24_e32 v2, 0x84, v0
	v_or_b32_e32 v200, s11, v109
	s_lshl_b32 s16, s1, 2
	v_mov_b32_e32 v191, 0
	v_add_nc_u32_e32 v228, s16, v146
	v_add_nc_u32_e32 v10, s16, v2
	v_lshlrev_b32_e32 v232, 2, v200
	v_add_nc_u32_e32 v11, s16, v147
	v_add_nc_u32_e32 v230, s16, v148
	ds_read2_b32 v[70:71], v228 offset0:4 offset1:5
	ds_read2_b32 v[82:83], v228 offset1:1
	v_mov_b32_e32 v192, 0
	ds_read_b128 v[6:9], v232 offset:16896
	ds_read_b128 v[2:5], v232 offset:16912
	ds_read2_b32 v[84:85], v11 offset1:1
	ds_read2_b32 v[72:73], v230 offset0:4 offset1:5
	ds_read2_b32 v[86:87], v230 offset1:1
	ds_read2_b32 v[88:89], v10 offset1:1
	ds_read2_b32 v[92:93], v228 offset0:2 offset1:3
	ds_read2_b32 v[94:95], v11 offset0:2 offset1:3
	;; [unrolled: 1-line block ×8, first 2 shown]
	v_mov_b32_e32 v189, 0
	v_mov_b32_e32 v187, 0
	v_or_b32_e32 v201, s11, v139
	v_mov_b32_e32 v198, 0
	v_mov_b32_e32 v197, 0
	;; [unrolled: 1-line block ×4, first 2 shown]
	v_lshlrev_b32_e32 v222, 2, v201
	v_or_b32_e32 v199, s11, v140
	v_mov_b32_e32 v195, 0
	s_waitcnt lgkmcnt(14)
	v_and_b32_e32 v224, 0xf0f0f0f, v82
	v_and_b32_e32 v236, 0xf0f0f0f, v83
	v_mov_b32_e32 v194, 0
	s_waitcnt lgkmcnt(11)
	v_and_b32_e32 v225, 0xf0f0f0f, v84
	s_waitcnt lgkmcnt(9)
	v_and_b32_e32 v234, 0xf0f0f0f, v86
	;; [unrolled: 2-line block ×3, first 2 shown]
	v_dot4c_i32_i8 v191, v224, v6
	v_and_b32_e32 v237, 0xf0f0f0f, v85
	v_dot4c_i32_i8 v192, v225, v6
	v_dot4c_i32_i8 v189, v234, v6
	;; [unrolled: 1-line block ×3, first 2 shown]
	v_and_b32_e32 v238, 0xf0f0f0f, v87
	v_and_b32_e32 v239, 0xf0f0f0f, v89
	v_dot4c_i32_i8 v191, v236, v7
	v_dot4c_i32_i8 v192, v237, v7
	s_waitcnt lgkmcnt(7)
	v_and_b32_e32 v240, 0xf0f0f0f, v92
	v_dot4c_i32_i8 v189, v238, v7
	v_dot4c_i32_i8 v187, v239, v7
	s_waitcnt lgkmcnt(6)
	v_and_b32_e32 v241, 0xf0f0f0f, v94
	s_waitcnt lgkmcnt(3)
	v_and_b32_e32 v243, 0xf0f0f0f, v96
	;; [unrolled: 2-line block ×3, first 2 shown]
	v_dot4c_i32_i8 v191, v240, v8
	v_and_b32_e32 v245, 0xf0f0f0f, v93
	v_dot4c_i32_i8 v192, v241, v8
	v_dot4c_i32_i8 v189, v243, v8
	;; [unrolled: 1-line block ×3, first 2 shown]
	v_and_b32_e32 v246, 0xf0f0f0f, v95
	v_and_b32_e32 v247, 0xf0f0f0f, v97
	;; [unrolled: 1-line block ×3, first 2 shown]
	v_dot4c_i32_i8 v191, v245, v9
	v_lshlrev_b32_e32 v233, 2, v199
	v_dot4c_i32_i8 v192, v246, v9
	v_dot4c_i32_i8 v189, v247, v9
	;; [unrolled: 1-line block ×3, first 2 shown]
	ds_read_b128 v[6:9], v222 offset:16896
	v_mov_b32_e32 v190, 0
	v_mov_b32_e32 v188, 0
	v_or_b32_e32 v211, s11, v141
	v_mov_b32_e32 v209, 0
	v_mov_b32_e32 v208, 0
	;; [unrolled: 1-line block ×4, first 2 shown]
	v_lshlrev_b32_e32 v223, 2, v211
	v_or_b32_e32 v210, s11, v142
	v_mov_b32_e32 v206, 0
	v_mov_b32_e32 v205, 0
	;; [unrolled: 1-line block ×4, first 2 shown]
	v_lshlrev_b32_e32 v249, 2, v210
	v_or_b32_e32 v221, s11, v143
	v_mov_b32_e32 v220, 0
	v_mov_b32_e32 v219, 0
	;; [unrolled: 1-line block ×4, first 2 shown]
	s_waitcnt lgkmcnt(0)
	v_dot4c_i32_i8 v198, v224, v6
	v_dot4c_i32_i8 v197, v225, v6
	;; [unrolled: 1-line block ×4, first 2 shown]
	v_lshlrev_b32_e32 v231, 2, v221
	v_dot4c_i32_i8 v198, v236, v7
	v_dot4c_i32_i8 v197, v237, v7
	v_dot4c_i32_i8 v196, v238, v7
	v_dot4c_i32_i8 v193, v239, v7
	v_or_b32_e32 v216, s11, v144
	v_dot4c_i32_i8 v198, v240, v8
	v_dot4c_i32_i8 v197, v241, v8
	;; [unrolled: 1-line block ×4, first 2 shown]
	v_lshlrev_b32_e32 v33, 2, v216
	v_dot4c_i32_i8 v198, v245, v9
	v_dot4c_i32_i8 v197, v246, v9
	;; [unrolled: 1-line block ×4, first 2 shown]
	ds_read_b128 v[10:13], v233 offset:16896
	ds_read_b128 v[6:9], v233 offset:16912
	v_mov_b32_e32 v212, 0
	v_mov_b32_e32 v213, 0
	;; [unrolled: 1-line block ×4, first 2 shown]
	v_or_b32_e32 v229, s11, v145
	v_mov_b32_e32 v227, 0
	v_mov_b32_e32 v226, 0
	v_lshrrev_b32_e32 v27, 4, v82
	v_lshrrev_b32_e32 v82, 4, v91
	v_lshlrev_b32_e32 v242, 2, v229
	v_lshrrev_b32_e32 v28, 4, v83
	v_lshrrev_b32_e32 v29, 4, v84
	;; [unrolled: 1-line block ×3, first 2 shown]
	v_and_b32_e32 v134, 0xf0f0f0f, v82
	v_lshrrev_b32_e32 v31, 4, v86
	v_lshrrev_b32_e32 v34, 4, v88
	;; [unrolled: 1-line block ×4, first 2 shown]
	s_waitcnt lgkmcnt(1)
	v_dot4c_i32_i8 v195, v224, v10
	v_dot4c_i32_i8 v194, v225, v10
	;; [unrolled: 1-line block ×4, first 2 shown]
	v_lshrrev_b32_e32 v32, 4, v87
	v_dot4c_i32_i8 v195, v236, v11
	v_dot4c_i32_i8 v194, v237, v11
	;; [unrolled: 1-line block ×4, first 2 shown]
	v_lshrrev_b32_e32 v35, 4, v89
	v_dot4c_i32_i8 v195, v240, v12
	v_dot4c_i32_i8 v194, v241, v12
	v_dot4c_i32_i8 v190, v243, v12
	v_dot4c_i32_i8 v188, v244, v12
	v_and_b32_e32 v92, 0xf0f0f0f, v27
	v_dot4c_i32_i8 v195, v245, v13
	v_dot4c_i32_i8 v194, v246, v13
	;; [unrolled: 1-line block ×4, first 2 shown]
	ds_read_b128 v[10:13], v223 offset:16896
	v_and_b32_e32 v96, 0xf0f0f0f, v29
	v_and_b32_e32 v254, 0xf0f0f0f, v31
	;; [unrolled: 1-line block ×3, first 2 shown]
	v_lshrrev_b32_e32 v23, 4, v94
	v_lshrrev_b32_e32 v36, 4, v90
	v_and_b32_e32 v124, 0xf0f0f0f, v28
	v_and_b32_e32 v125, 0xf0f0f0f, v30
	;; [unrolled: 1-line block ×4, first 2 shown]
	v_lshrrev_b32_e32 v22, 4, v93
	v_lshrrev_b32_e32 v24, 4, v95
	;; [unrolled: 1-line block ×3, first 2 shown]
	v_and_b32_e32 v118, 0xf0f0f0f, v21
	v_and_b32_e32 v120, 0xf0f0f0f, v23
	v_and_b32_e32 v122, 0xf0f0f0f, v25
	v_and_b32_e32 v149, 0xf0f0f0f, v36
	v_and_b32_e32 v119, 0xf0f0f0f, v22
	v_and_b32_e32 v121, 0xf0f0f0f, v24
	v_and_b32_e32 v123, 0xf0f0f0f, v26
	s_waitcnt lgkmcnt(0)
	v_dot4c_i32_i8 v209, v224, v10
	v_dot4c_i32_i8 v208, v225, v10
	v_dot4c_i32_i8 v207, v234, v10
	v_dot4c_i32_i8 v204, v235, v10
	v_mov_b32_e32 v97, 0
	v_dot4c_i32_i8 v209, v236, v11
	v_dot4c_i32_i8 v208, v237, v11
	v_dot4c_i32_i8 v207, v238, v11
	v_dot4c_i32_i8 v204, v239, v11
	v_mov_b32_e32 v94, 0
	;; [unrolled: 5-line block ×3, first 2 shown]
	v_dot4c_i32_i8 v209, v245, v13
	v_dot4c_i32_i8 v208, v246, v13
	;; [unrolled: 1-line block ×4, first 2 shown]
	ds_read_b128 v[14:17], v249 offset:16896
	ds_read_b128 v[10:13], v249 offset:16912
	v_mov_b32_e32 v93, 0
	v_mov_b32_e32 v91, 0
	;; [unrolled: 1-line block ×7, first 2 shown]
	s_lshr_b32 s1, s1, 2
	s_and_b32 vcc_lo, exec_lo, s0
	s_addk_i32 s1, 0x6200
	s_mov_b32 s0, 0
	s_waitcnt lgkmcnt(1)
	v_dot4c_i32_i8 v206, v224, v14
	v_dot4c_i32_i8 v205, v225, v14
	;; [unrolled: 1-line block ×16, first 2 shown]
	ds_read_b128 v[14:17], v231 offset:16896
	s_waitcnt lgkmcnt(0)
	v_dot4c_i32_i8 v220, v224, v14
	v_dot4c_i32_i8 v219, v225, v14
	;; [unrolled: 1-line block ×16, first 2 shown]
	ds_read_b128 v[250:253], v33 offset:16896
	ds_read_b128 v[14:17], v33 offset:16912
	s_waitcnt lgkmcnt(1)
	v_dot4c_i32_i8 v212, v224, v250
	v_dot4c_i32_i8 v213, v225, v250
	v_dot4c_i32_i8 v214, v234, v250
	v_dot4c_i32_i8 v215, v235, v250
	v_dot4c_i32_i8 v212, v236, v251
	v_dot4c_i32_i8 v213, v237, v251
	v_dot4c_i32_i8 v214, v238, v251
	v_dot4c_i32_i8 v215, v239, v251
	v_dot4c_i32_i8 v212, v240, v252
	v_dot4c_i32_i8 v213, v241, v252
	v_dot4c_i32_i8 v214, v243, v252
	v_dot4c_i32_i8 v215, v244, v252
	v_dot4c_i32_i8 v212, v245, v253
	v_dot4c_i32_i8 v213, v246, v253
	v_dot4c_i32_i8 v214, v247, v253
	v_dot4c_i32_i8 v215, v248, v253
	ds_read_b128 v[250:253], v242 offset:16896
	s_waitcnt lgkmcnt(0)
	v_dot4c_i32_i8 v227, v224, v250
	v_dot4c_i32_i8 v226, v225, v250
	v_mov_b32_e32 v225, 0
	v_mov_b32_e32 v224, 0
	v_dot4c_i32_i8 v227, v236, v251
	v_dot4c_i32_i8 v226, v237, v251
	v_dot4c_i32_i8 v225, v234, v250
	v_dot4c_i32_i8 v224, v235, v250
	v_mov_b32_e32 v237, 0
	v_dot4c_i32_i8 v227, v240, v252
	v_dot4c_i32_i8 v226, v241, v252
	v_dot4c_i32_i8 v225, v238, v251
	v_dot4c_i32_i8 v224, v239, v251
	;; [unrolled: 5-line block ×3, first 2 shown]
	v_mov_b32_e32 v246, 0
	v_mov_b32_e32 v245, 0
	;; [unrolled: 1-line block ×3, first 2 shown]
	v_dot4c_i32_i8 v225, v247, v253
	v_dot4c_i32_i8 v224, v248, v253
	ds_read_b128 v[82:85], v232 offset:16928
	ds_read_b128 v[250:253], v232 offset:16944
	v_mov_b32_e32 v248, 0
	v_mov_b32_e32 v247, 0
	;; [unrolled: 1-line block ×10, first 2 shown]
	s_waitcnt lgkmcnt(1)
	v_dot4c_i32_i8 v248, v92, v82
	v_dot4c_i32_i8 v247, v96, v82
	;; [unrolled: 1-line block ×16, first 2 shown]
	ds_read_b128 v[82:85], v222 offset:16928
	ds_read_b128 v[101:104], v222 offset:16912
	s_waitcnt lgkmcnt(1)
	v_dot4c_i32_i8 v244, v92, v82
	v_dot4c_i32_i8 v243, v96, v82
	v_dot4c_i32_i8 v241, v254, v82
	v_dot4c_i32_i8 v239, v99, v82
	v_dot4c_i32_i8 v244, v124, v83
	v_dot4c_i32_i8 v243, v125, v83
	v_dot4c_i32_i8 v241, v255, v83
	v_dot4c_i32_i8 v239, v157, v83
	v_dot4c_i32_i8 v244, v118, v84
	v_dot4c_i32_i8 v243, v120, v84
	v_dot4c_i32_i8 v241, v122, v84
	v_dot4c_i32_i8 v239, v149, v84
	v_dot4c_i32_i8 v244, v119, v85
	v_dot4c_i32_i8 v243, v121, v85
	v_dot4c_i32_i8 v241, v123, v85
	v_dot4c_i32_i8 v239, v134, v85
	ds_read_b128 v[82:85], v233 offset:16928
	ds_read_b128 v[21:24], v233 offset:16944
	v_mov_b32_e32 v233, 0
	s_waitcnt lgkmcnt(1)
	v_dot4c_i32_i8 v240, v92, v82
	v_dot4c_i32_i8 v238, v96, v82
	v_dot4c_i32_i8 v237, v254, v82
	v_dot4c_i32_i8 v235, v99, v82
	v_dot4c_i32_i8 v240, v124, v83
	v_dot4c_i32_i8 v238, v125, v83
	v_dot4c_i32_i8 v237, v255, v83
	v_dot4c_i32_i8 v235, v157, v83
	v_dot4c_i32_i8 v240, v118, v84
	v_dot4c_i32_i8 v238, v120, v84
	v_dot4c_i32_i8 v237, v122, v84
	v_dot4c_i32_i8 v235, v149, v84
	v_dot4c_i32_i8 v240, v119, v85
	v_dot4c_i32_i8 v238, v121, v85
	v_dot4c_i32_i8 v237, v123, v85
	v_dot4c_i32_i8 v235, v134, v85
	ds_read_b128 v[82:85], v223 offset:16928
	ds_read_b128 v[105:108], v223 offset:16912
	s_waitcnt lgkmcnt(1)
	v_dot4c_i32_i8 v236, v92, v82
	v_dot4c_i32_i8 v234, v96, v82
	v_dot4c_i32_i8 v97, v254, v82
	v_dot4c_i32_i8 v94, v99, v82
	v_dot4c_i32_i8 v236, v124, v83
	v_dot4c_i32_i8 v234, v125, v83
	v_dot4c_i32_i8 v97, v255, v83
	v_dot4c_i32_i8 v94, v157, v83
	v_dot4c_i32_i8 v236, v118, v84
	v_dot4c_i32_i8 v234, v120, v84
	v_dot4c_i32_i8 v97, v122, v84
	v_dot4c_i32_i8 v94, v149, v84
	v_dot4c_i32_i8 v236, v119, v85
	v_dot4c_i32_i8 v234, v121, v85
	v_dot4c_i32_i8 v97, v123, v85
	v_dot4c_i32_i8 v94, v134, v85
	ds_read_b128 v[82:85], v249 offset:16928
	ds_read_b128 v[25:28], v249 offset:16944
	;; [unrolled: 19-line block ×3, first 2 shown]
	ds_read_b128 v[29:32], v33 offset:16928
	ds_read_b128 v[114:117], v33 offset:16944
	s_waitcnt lgkmcnt(3)
	v_dot4c_i32_i8 v90, v92, v82
	v_dot4c_i32_i8 v88, v96, v82
	v_dot4c_i32_i8 v87, v254, v82
	v_dot4c_i32_i8 v86, v99, v82
	v_mov_b32_e32 v82, 0
	v_dot4c_i32_i8 v90, v124, v83
	v_dot4c_i32_i8 v88, v125, v83
	v_dot4c_i32_i8 v87, v255, v83
	v_dot4c_i32_i8 v86, v157, v83
	v_mov_b32_e32 v83, 0
	;; [unrolled: 5-line block ×4, first 2 shown]
	s_waitcnt lgkmcnt(1)
	v_dot4c_i32_i8 v82, v92, v29
	v_dot4c_i32_i8 v83, v96, v29
	v_dot4c_i32_i8 v84, v254, v29
	v_dot4c_i32_i8 v85, v99, v29
	v_dot4c_i32_i8 v82, v124, v30
	v_dot4c_i32_i8 v83, v125, v30
	v_dot4c_i32_i8 v84, v255, v30
	v_dot4c_i32_i8 v85, v157, v30
	v_dot4c_i32_i8 v82, v118, v31
	v_dot4c_i32_i8 v83, v120, v31
	v_dot4c_i32_i8 v84, v122, v31
	v_dot4c_i32_i8 v85, v149, v31
	v_dot4c_i32_i8 v82, v119, v32
	v_dot4c_i32_i8 v83, v121, v32
	v_dot4c_i32_i8 v84, v123, v32
	v_dot4c_i32_i8 v85, v134, v32
	ds_read_b128 v[29:32], v242 offset:16928
	ds_read_b128 v[33:36], v242 offset:16912
	s_waitcnt lgkmcnt(1)
	v_dot4c_i32_i8 v233, v92, v29
	v_dot4c_i32_i8 v232, v96, v29
	v_mov_b32_e32 v96, 0
	v_mov_b32_e32 v92, 0
	v_dot4c_i32_i8 v233, v124, v30
	v_dot4c_i32_i8 v232, v125, v30
	v_dot4c_i32_i8 v96, v254, v29
	v_dot4c_i32_i8 v92, v99, v29
	v_and_b32_e32 v99, 0xf0f0f0f, v72
	v_dot4c_i32_i8 v233, v118, v31
	v_dot4c_i32_i8 v232, v120, v31
	v_dot4c_i32_i8 v96, v255, v30
	v_dot4c_i32_i8 v92, v157, v30
	v_and_b32_e32 v118, 0xf0f0f0f, v78
	;; [unrolled: 5-line block ×4, first 2 shown]
	v_dot4c_i32_i8 v191, v31, v2
	v_and_b32_e32 v119, 0xf0f0f0f, v71
	v_and_b32_e32 v120, 0xf0f0f0f, v81
	;; [unrolled: 1-line block ×3, first 2 shown]
	v_dot4c_i32_i8 v192, v32, v2
	v_and_b32_e32 v122, 0xf0f0f0f, v79
	v_dot4c_i32_i8 v191, v119, v3
	ds_read2_b32 v[29:30], v230 offset0:6 offset1:7
	v_dot4c_i32_i8 v189, v121, v3
	v_dot4c_i32_i8 v192, v120, v3
	;; [unrolled: 1-line block ×3, first 2 shown]
	ds_read2_b32 v[2:3], v228 offset0:6 offset1:7
	v_dot4c_i32_i8 v198, v31, v101
	v_dot4c_i32_i8 v195, v31, v6
	;; [unrolled: 1-line block ×6, first 2 shown]
	s_waitcnt lgkmcnt(2)
	v_dot4c_i32_i8 v227, v31, v33
	v_and_b32_e32 v124, 0xf0f0f0f, v74
	v_and_b32_e32 v134, 0xf0f0f0f, v76
	v_dot4c_i32_i8 v198, v119, v102
	v_dot4c_i32_i8 v195, v119, v7
	;; [unrolled: 1-line block ×6, first 2 shown]
	s_waitcnt lgkmcnt(1)
	v_and_b32_e32 v125, 0xf0f0f0f, v29
	v_dot4c_i32_i8 v227, v119, v34
	v_dot4c_i32_i8 v192, v124, v4
	;; [unrolled: 1-line block ×3, first 2 shown]
	s_waitcnt lgkmcnt(0)
	v_and_b32_e32 v123, 0xf0f0f0f, v2
	v_dot4c_i32_i8 v189, v125, v4
	v_and_b32_e32 v149, 0xf0f0f0f, v75
	v_and_b32_e32 v157, 0xf0f0f0f, v30
	;; [unrolled: 1-line block ×3, first 2 shown]
	v_dot4c_i32_i8 v191, v123, v4
	v_and_b32_e32 v4, 0xf0f0f0f, v3
	v_dot4c_i32_i8 v198, v123, v103
	v_dot4c_i32_i8 v195, v123, v8
	;; [unrolled: 1-line block ×21, first 2 shown]
	v_lshrrev_b32_e32 v4, 4, v70
	v_lshrrev_b32_e32 v5, 4, v71
	;; [unrolled: 1-line block ×4, first 2 shown]
	v_dot4c_i32_i8 v197, v32, v101
	v_dot4c_i32_i8 v194, v32, v6
	;; [unrolled: 1-line block ×11, first 2 shown]
	v_lshrrev_b32_e32 v10, 4, v29
	v_lshrrev_b32_e32 v11, 4, v30
	v_and_b32_e32 v29, 0xf0f0f0f, v4
	v_and_b32_e32 v30, 0xf0f0f0f, v5
	;; [unrolled: 1-line block ×4, first 2 shown]
	ds_read_b128 v[2:5], v222 offset:16944
	v_dot4c_i32_i8 v194, v120, v7
	v_dot4c_i32_i8 v190, v121, v7
	;; [unrolled: 1-line block ×8, first 2 shown]
	v_lshrrev_b32_e32 v6, 4, v80
	v_lshrrev_b32_e32 v8, 4, v72
	;; [unrolled: 1-line block ×3, first 2 shown]
	v_dot4c_i32_i8 v194, v149, v9
	v_dot4c_i32_i8 v190, v157, v9
	;; [unrolled: 1-line block ×6, first 2 shown]
	v_lshrrev_b32_e32 v7, 4, v81
	v_lshrrev_b32_e32 v9, 4, v73
	;; [unrolled: 1-line block ×3, first 2 shown]
	v_and_b32_e32 v6, 0xf0f0f0f, v6
	v_and_b32_e32 v8, 0xf0f0f0f, v8
	;; [unrolled: 1-line block ×3, first 2 shown]
	v_dot4c_i32_i8 v205, v124, v12
	v_dot4c_i32_i8 v203, v125, v12
	;; [unrolled: 1-line block ×6, first 2 shown]
	v_lshrrev_b32_e32 v12, 4, v74
	v_lshrrev_b32_e32 v16, 4, v76
	v_and_b32_e32 v7, 0xf0f0f0f, v7
	v_and_b32_e32 v9, 0xf0f0f0f, v9
	;; [unrolled: 1-line block ×3, first 2 shown]
	s_waitcnt lgkmcnt(0)
	v_dot4c_i32_i8 v244, v29, v2
	v_dot4c_i32_i8 v243, v6, v2
	;; [unrolled: 1-line block ×10, first 2 shown]
	v_lshrrev_b32_e32 v13, 4, v75
	v_lshrrev_b32_e32 v17, 4, v77
	v_and_b32_e32 v10, 0xf0f0f0f, v10
	v_and_b32_e32 v12, 0xf0f0f0f, v12
	;; [unrolled: 1-line block ×3, first 2 shown]
	v_dot4c_i32_i8 v244, v30, v3
	v_dot4c_i32_i8 v243, v7, v3
	;; [unrolled: 1-line block ×4, first 2 shown]
	v_and_b32_e32 v11, 0xf0f0f0f, v11
	v_and_b32_e32 v13, 0xf0f0f0f, v13
	;; [unrolled: 1-line block ×3, first 2 shown]
	v_dot4c_i32_i8 v244, v31, v4
	v_dot4c_i32_i8 v243, v12, v4
	;; [unrolled: 1-line block ×9, first 2 shown]
	ds_read_b128 v[2:5], v223 offset:16944
	v_dot4c_i32_i8 v247, v6, v250
	v_dot4c_i32_i8 v238, v6, v21
	;; [unrolled: 1-line block ×19, first 2 shown]
	s_waitcnt lgkmcnt(0)
	v_dot4c_i32_i8 v236, v29, v2
	v_dot4c_i32_i8 v234, v6, v2
	;; [unrolled: 1-line block ×19, first 2 shown]
	ds_read_b128 v[2:5], v231 offset:16944
	v_dot4c_i32_i8 v91, v10, v27
	v_dot4c_i32_i8 v84, v10, v116
	;; [unrolled: 1-line block ×19, first 2 shown]
	s_waitcnt lgkmcnt(0)
	v_dot4c_i32_i8 v90, v29, v2
	v_dot4c_i32_i8 v88, v6, v2
	;; [unrolled: 1-line block ×19, first 2 shown]
	ds_read_b128 v[2:5], v242 offset:16944
	v_dot4c_i32_i8 v235, v16, v23
	v_dot4c_i32_i8 v89, v16, v27
	;; [unrolled: 1-line block ×19, first 2 shown]
	s_waitcnt lgkmcnt(0)
	v_dot4c_i32_i8 v233, v29, v2
	v_dot4c_i32_i8 v232, v6, v2
	;; [unrolled: 1-line block ×4, first 2 shown]
	v_lshrrev_b32_e32 v2, 1, v200
	v_dot4c_i32_i8 v233, v30, v3
	v_dot4c_i32_i8 v232, v7, v3
	v_dot4c_i32_i8 v96, v9, v3
	v_dot4c_i32_i8 v92, v15, v3
	v_dot4c_i32_i8 v240, v32, v24
	v_dot4c_i32_i8 v233, v31, v4
	v_dot4c_i32_i8 v232, v12, v4
	v_dot4c_i32_i8 v96, v10, v4
	v_dot4c_i32_i8 v92, v16, v4
	v_add3_u32 v4, s1, v152, v166
	v_dot4c_i32_i8 v233, v32, v5
	v_dot4c_i32_i8 v232, v13, v5
	;; [unrolled: 1-line block ×4, first 2 shown]
	ds_read_u16 v3, v4
	v_dot4c_i32_i8 v95, v32, v28
	v_dot4c_i32_i8 v82, v31, v116
	;; [unrolled: 1-line block ×19, first 2 shown]
	s_waitcnt lgkmcnt(0)
	v_and_b32_e32 v5, 0xff, v3
	v_and_b32_sdwa v6, v169, v3 dst_sel:DWORD dst_unused:UNUSED_PAD src0_sel:DWORD src1_sel:BYTE_1
	v_dot4c_i32_i8 v225, v157, v36
	v_dot4c_i32_i8 v193, v228, v104
	;; [unrolled: 1-line block ×3, first 2 shown]
	v_mul_lo_u32 v3, v191, v5
	v_mul_lo_u32 v7, v248, v6
	;; [unrolled: 1-line block ×5, first 2 shown]
	v_dot4c_i32_i8 v208, v124, v107
	v_dot4c_i32_i8 v207, v99, v105
	;; [unrolled: 1-line block ×3, first 2 shown]
	v_cvt_f32_i32_e32 v8, v3
	ds_read_b64 v[2:3], v2 offset:27200
	v_cvt_f32_i32_e32 v7, v7
	v_cvt_f32_i32_e32 v31, v31
	v_cvt_f32_i32_e32 v72, v72
	v_dot4c_i32_i8 v208, v149, v108
	v_cvt_f32_i32_e32 v80, v80
	v_dot4c_i32_i8 v207, v121, v106
	v_dot4c_i32_i8 v204, v118, v105
	v_mul_lo_u32 v95, v95, v6
	v_dot4c_i32_i8 v219, v120, v111
	v_mul_lo_u32 v90, v90, v6
	v_dot4c_i32_i8 v207, v125, v107
	v_dot4c_i32_i8 v204, v122, v106
	;; [unrolled: 1-line block ×7, first 2 shown]
	v_cvt_f32_i32_e32 v95, v95
	v_dot4c_i32_i8 v219, v149, v113
	s_waitcnt lgkmcnt(0)
	v_fma_mix_f32 v8, v2, v8, 0 op_sel_hi:[1,0,0]
	v_cvt_f32_i32_e32 v90, v90
	v_dot4c_i32_i8 v204, v228, v108
	v_dot4c_i32_i8 v218, v125, v112
	;; [unrolled: 1-line block ×3, first 2 shown]
	v_fma_mix_f32 v7, v3, v7, v8 op_sel_hi:[1,0,0]
	v_add3_u32 v8, s1, v151, v167
	v_dot4c_i32_i8 v218, v157, v113
	v_dot4c_i32_i8 v217, v134, v112
	ds_read_u16 v9, v8
	v_dot4c_i32_i8 v217, v228, v113
	v_mul_lo_u32 v113, v233, v6
	v_mul_lo_u32 v6, v82, v6
	v_cvt_f32_i32_e32 v113, v113
	v_cvt_f32_i32_e32 v6, v6
	s_waitcnt lgkmcnt(0)
	v_and_b32_e32 v10, 0xff, v9
	v_and_b32_sdwa v9, v169, v9 dst_sel:DWORD dst_unused:UNUSED_PAD src0_sel:DWORD src1_sel:BYTE_1
	v_mul_lo_u32 v11, v192, v10
	v_mul_lo_u32 v12, v247, v9
	;; [unrolled: 1-line block ×8, first 2 shown]
	v_cvt_f32_i32_e32 v11, v11
	v_cvt_f32_i32_e32 v12, v12
	;; [unrolled: 1-line block ×5, first 2 shown]
	v_fma_mix_f32 v11, v2, v11, 0 op_sel_hi:[1,0,0]
	v_cvt_f32_i32_e32 v93, v93
	v_cvt_f32_i32_e32 v88, v88
	;; [unrolled: 1-line block ×3, first 2 shown]
	v_mul_lo_u32 v9, v83, v9
	v_fma_mix_f32 v11, v3, v12, v11 op_sel_hi:[1,0,0]
	v_add3_u32 v12, s1, v150, v168
	ds_read_u16 v13, v12
	v_cvt_f32_i32_e32 v9, v9
	s_waitcnt lgkmcnt(0)
	v_and_b32_e32 v14, 0xff, v13
	v_and_b32_sdwa v13, v169, v13 dst_sel:DWORD dst_unused:UNUSED_PAD src0_sel:DWORD src1_sel:BYTE_1
	v_mul_lo_u32 v15, v189, v14
	v_mul_lo_u32 v16, v246, v13
	;; [unrolled: 1-line block ×8, first 2 shown]
	v_cvt_f32_i32_e32 v15, v15
	v_cvt_f32_i32_e32 v16, v16
	v_cvt_f32_i32_e32 v34, v34
	v_cvt_f32_i32_e32 v75, v75
	v_cvt_f32_i32_e32 v97, v97
	v_fma_mix_f32 v15, v2, v15, 0 op_sel_hi:[1,0,0]
	v_cvt_f32_i32_e32 v91, v91
	v_cvt_f32_i32_e32 v87, v87
	;; [unrolled: 1-line block ×3, first 2 shown]
	v_mul_lo_u32 v13, v84, v13
	v_fma_mix_f32 v15, v3, v16, v15 op_sel_hi:[1,0,0]
	v_lshlrev_b32_e32 v16, 2, v20
	v_add3_u32 v16, s1, v153, v16
	s_mov_b32 s1, 8
	ds_read_u16 v17, v16
	ds_read_u16 v4, v4 offset:8
	ds_read_u16 v8, v8 offset:8
	;; [unrolled: 1-line block ×4, first 2 shown]
	s_waitcnt lgkmcnt(2)
	v_cvt_f32_ubyte0_e32 v24, v8
	v_and_b32_e32 v21, 0xff, v17
	v_and_b32_sdwa v17, v169, v17 dst_sel:DWORD dst_unused:UNUSED_PAD src0_sel:DWORD src1_sel:BYTE_1
	s_waitcnt lgkmcnt(1)
	v_cvt_f32_ubyte0_e32 v25, v12
	s_waitcnt lgkmcnt(0)
	v_cvt_f32_ubyte0_e32 v26, v16
	v_cvt_f32_ubyte1_e32 v8, v8
	v_mul_lo_u32 v22, v187, v21
	v_mul_lo_u32 v23, v245, v17
	v_cvt_f32_ubyte1_e32 v12, v12
	v_cvt_f32_ubyte1_e32 v16, v16
	v_fma_mix_f32 v28, v24, v2, 0 op_sel:[0,1,0] op_sel_hi:[0,1,0]
	v_fma_mix_f32 v29, v25, v2, 0 op_sel:[0,1,0] op_sel_hi:[0,1,0]
	v_mul_lo_u32 v35, v239, v17
	v_mul_lo_u32 v76, v235, v17
	v_cvt_f32_i32_e32 v22, v22
	v_cvt_f32_i32_e32 v23, v23
	v_fma_mix_f32 v28, v8, v3, v28 op_sel:[0,1,0] op_sel_hi:[0,1,0]
	v_fma_mix_f32 v29, v12, v3, v29 op_sel:[0,1,0] op_sel_hi:[0,1,0]
	v_mul_lo_u32 v94, v94, v17
	v_fma_mix_f32 v22, v2, v22, 0 op_sel_hi:[1,0,0]
	v_cvt_f32_i32_e32 v35, v35
	v_cvt_f32_i32_e32 v76, v76
	v_mul_lo_u32 v89, v89, v17
	v_mul_lo_u32 v86, v86, v17
	v_fma_mix_f32 v22, v3, v23, v22 op_sel_hi:[1,0,0]
	v_cvt_f32_ubyte0_e32 v23, v4
	v_cvt_f32_ubyte1_e32 v4, v4
	v_cvt_f32_i32_e32 v94, v94
	v_mul_lo_u32 v92, v92, v17
	v_mul_lo_u32 v17, v85, v17
	v_fma_mix_f32 v27, v23, v2, 0 op_sel:[0,1,0] op_sel_hi:[0,1,0]
	v_fma_mix_f32 v2, v26, v2, 0 op_sel:[0,1,0] op_sel_hi:[0,1,0]
	v_cvt_f32_i32_e32 v89, v89
	v_cvt_f32_i32_e32 v86, v86
	v_fma_mix_f32 v27, v4, v3, v27 op_sel:[0,1,0] op_sel_hi:[0,1,0]
	v_fma_mix_f32 v30, v16, v3, v2 op_sel:[0,1,0] op_sel_hi:[0,1,0]
	v_mul_lo_u32 v3, v198, v5
	v_lshrrev_b32_e32 v2, 1, v201
	v_cvt_f32_i32_e32 v92, v92
	v_mul_f32_e32 v30, v30, v172
	v_cvt_f32_i32_e32 v32, v3
	ds_read_b64 v[2:3], v2 offset:27200
	v_fma_f32 v22, v22, v171, -v30
	v_add_f32_e32 v18, v18, v22
	s_waitcnt lgkmcnt(0)
	v_fma_mix_f32 v32, v2, v32, 0 op_sel_hi:[1,0,0]
	v_fma_mix_f32 v36, v24, v2, 0 op_sel:[0,1,0] op_sel_hi:[0,1,0]
	v_fma_mix_f32 v70, v25, v2, 0 op_sel:[0,1,0] op_sel_hi:[0,1,0]
	v_fma_mix_f32 v31, v3, v31, v32 op_sel_hi:[1,0,0]
	v_mul_lo_u32 v32, v197, v10
	v_fma_mix_f32 v36, v8, v3, v36 op_sel:[0,1,0] op_sel_hi:[0,1,0]
	v_fma_mix_f32 v70, v12, v3, v70 op_sel:[0,1,0] op_sel_hi:[0,1,0]
	v_cvt_f32_i32_e32 v32, v32
	v_fma_mix_f32 v32, v2, v32, 0 op_sel_hi:[1,0,0]
	v_fma_mix_f32 v32, v3, v33, v32 op_sel_hi:[1,0,0]
	v_mul_lo_u32 v33, v196, v14
	v_cvt_f32_i32_e32 v33, v33
	v_fma_mix_f32 v33, v2, v33, 0 op_sel_hi:[1,0,0]
	v_fma_mix_f32 v33, v3, v34, v33 op_sel_hi:[1,0,0]
	v_mul_lo_u32 v34, v193, v21
	v_cvt_f32_i32_e32 v34, v34
	v_fma_mix_f32 v34, v2, v34, 0 op_sel_hi:[1,0,0]
	v_fma_mix_f32 v34, v3, v35, v34 op_sel_hi:[1,0,0]
	v_fma_mix_f32 v35, v23, v2, 0 op_sel:[0,1,0] op_sel_hi:[0,1,0]
	v_fma_mix_f32 v2, v26, v2, 0 op_sel:[0,1,0] op_sel_hi:[0,1,0]
	;; [unrolled: 1-line block ×4, first 2 shown]
	v_mul_lo_u32 v3, v195, v5
	v_lshrrev_b32_e32 v2, 1, v199
	v_mul_f32_e32 v30, v71, v180
	v_cvt_f32_i32_e32 v73, v3
	ds_read_b64 v[2:3], v2 offset:27200
	v_fma_f32 v30, v34, v179, -v30
	v_add_f32_e32 v19, v19, v30
	s_waitcnt lgkmcnt(0)
	v_fma_mix_f32 v73, v73, v2, 0 op_sel_hi:[0,1,0]
	v_fma_mix_f32 v77, v24, v2, 0 op_sel:[0,1,0] op_sel_hi:[0,1,0]
	v_fma_mix_f32 v78, v25, v2, 0 op_sel:[0,1,0] op_sel_hi:[0,1,0]
	v_fma_mix_f32 v72, v72, v3, v73 op_sel_hi:[0,1,0]
	v_mul_lo_u32 v73, v194, v10
	v_fma_mix_f32 v77, v8, v3, v77 op_sel:[0,1,0] op_sel_hi:[0,1,0]
	v_fma_mix_f32 v78, v12, v3, v78 op_sel:[0,1,0] op_sel_hi:[0,1,0]
	v_cvt_f32_i32_e32 v73, v73
	v_fma_mix_f32 v73, v73, v2, 0 op_sel_hi:[0,1,0]
	v_fma_mix_f32 v73, v74, v3, v73 op_sel_hi:[0,1,0]
	v_mul_lo_u32 v74, v190, v14
	v_cvt_f32_i32_e32 v74, v74
	v_fma_mix_f32 v74, v74, v2, 0 op_sel_hi:[0,1,0]
	v_fma_mix_f32 v74, v75, v3, v74 op_sel_hi:[0,1,0]
	v_mul_lo_u32 v75, v188, v21
	v_cvt_f32_i32_e32 v75, v75
	v_fma_mix_f32 v75, v75, v2, 0 op_sel_hi:[0,1,0]
	v_fma_mix_f32 v75, v76, v3, v75 op_sel_hi:[0,1,0]
	v_fma_mix_f32 v76, v23, v2, 0 op_sel:[0,1,0] op_sel_hi:[0,1,0]
	v_fma_mix_f32 v2, v26, v2, 0 op_sel:[0,1,0] op_sel_hi:[0,1,0]
	;; [unrolled: 1-line block ×4, first 2 shown]
	v_mul_lo_u32 v3, v209, v5
	v_lshrrev_b32_e32 v2, 1, v211
	v_cvt_f32_i32_e32 v81, v3
	ds_read_b64 v[2:3], v2 offset:27200
	s_waitcnt lgkmcnt(0)
	v_fma_mix_f32 v81, v81, v2, 0 op_sel_hi:[0,1,0]
	v_fma_mix_f32 v101, v24, v2, 0 op_sel:[0,1,0] op_sel_hi:[0,1,0]
	v_fma_mix_f32 v102, v25, v2, 0 op_sel:[0,1,0] op_sel_hi:[0,1,0]
	v_fma_mix_f32 v80, v80, v3, v81 op_sel_hi:[0,1,0]
	v_mul_lo_u32 v81, v208, v10
	v_fma_mix_f32 v101, v8, v3, v101 op_sel:[0,1,0] op_sel_hi:[0,1,0]
	v_fma_mix_f32 v102, v12, v3, v102 op_sel:[0,1,0] op_sel_hi:[0,1,0]
	v_cvt_f32_i32_e32 v81, v81
	v_fma_mix_f32 v81, v81, v2, 0 op_sel_hi:[0,1,0]
	v_fma_mix_f32 v81, v99, v3, v81 op_sel_hi:[0,1,0]
	v_mul_lo_u32 v99, v207, v14
	v_cvt_f32_i32_e32 v99, v99
	v_fma_mix_f32 v99, v99, v2, 0 op_sel_hi:[0,1,0]
	v_fma_mix_f32 v97, v97, v3, v99 op_sel_hi:[0,1,0]
	v_mul_lo_u32 v99, v204, v21
	v_cvt_f32_i32_e32 v99, v99
	v_fma_mix_f32 v99, v99, v2, 0 op_sel_hi:[0,1,0]
	v_fma_mix_f32 v94, v94, v3, v99 op_sel_hi:[0,1,0]
	v_fma_mix_f32 v99, v23, v2, 0 op_sel:[0,1,0] op_sel_hi:[0,1,0]
	v_fma_mix_f32 v2, v26, v2, 0 op_sel:[0,1,0] op_sel_hi:[0,1,0]
	;; [unrolled: 1-line block ×4, first 2 shown]
	v_mul_lo_u32 v3, v206, v5
	v_lshrrev_b32_e32 v2, 1, v210
	v_mul_f32_e32 v34, v103, v180
	v_cvt_f32_i32_e32 v104, v3
	ds_read_b64 v[2:3], v2 offset:27200
	v_fma_f32 v34, v94, v179, -v34
	v_add_f32_e32 v61, v61, v34
	s_waitcnt lgkmcnt(0)
	v_fma_mix_f32 v104, v104, v2, 0 op_sel_hi:[0,1,0]
	v_fma_mix_f32 v105, v24, v2, 0 op_sel:[0,1,0] op_sel_hi:[0,1,0]
	v_fma_mix_f32 v106, v25, v2, 0 op_sel:[0,1,0] op_sel_hi:[0,1,0]
	v_fma_mix_f32 v95, v95, v3, v104 op_sel_hi:[0,1,0]
	v_mul_lo_u32 v104, v205, v10
	v_fma_mix_f32 v105, v8, v3, v105 op_sel:[0,1,0] op_sel_hi:[0,1,0]
	v_fma_mix_f32 v106, v12, v3, v106 op_sel:[0,1,0] op_sel_hi:[0,1,0]
	v_cvt_f32_i32_e32 v104, v104
	v_fma_mix_f32 v104, v104, v2, 0 op_sel_hi:[0,1,0]
	v_fma_mix_f32 v93, v93, v3, v104 op_sel_hi:[0,1,0]
	v_mul_lo_u32 v104, v203, v14
	v_cvt_f32_i32_e32 v104, v104
	v_fma_mix_f32 v104, v104, v2, 0 op_sel_hi:[0,1,0]
	v_fma_mix_f32 v91, v91, v3, v104 op_sel_hi:[0,1,0]
	v_mul_lo_u32 v104, v202, v21
	v_cvt_f32_i32_e32 v104, v104
	v_fma_mix_f32 v104, v104, v2, 0 op_sel_hi:[0,1,0]
	v_fma_mix_f32 v89, v89, v3, v104 op_sel_hi:[0,1,0]
	v_fma_mix_f32 v104, v23, v2, 0 op_sel:[0,1,0] op_sel_hi:[0,1,0]
	v_fma_mix_f32 v2, v26, v2, 0 op_sel:[0,1,0] op_sel_hi:[0,1,0]
	;; [unrolled: 1-line block ×4, first 2 shown]
	v_mul_lo_u32 v3, v220, v5
	v_lshrrev_b32_e32 v2, 1, v221
	v_cvt_f32_i32_e32 v108, v3
	ds_read_b64 v[2:3], v2 offset:27200
	s_waitcnt lgkmcnt(0)
	v_fma_mix_f32 v108, v108, v2, 0 op_sel_hi:[0,1,0]
	v_fma_mix_f32 v110, v24, v2, 0 op_sel:[0,1,0] op_sel_hi:[0,1,0]
	v_fma_mix_f32 v111, v25, v2, 0 op_sel:[0,1,0] op_sel_hi:[0,1,0]
	v_fma_mix_f32 v90, v90, v3, v108 op_sel_hi:[0,1,0]
	v_mul_lo_u32 v108, v219, v10
	v_fma_mix_f32 v110, v8, v3, v110 op_sel:[0,1,0] op_sel_hi:[0,1,0]
	v_fma_mix_f32 v111, v12, v3, v111 op_sel:[0,1,0] op_sel_hi:[0,1,0]
	v_cvt_f32_i32_e32 v108, v108
	v_fma_mix_f32 v108, v108, v2, 0 op_sel_hi:[0,1,0]
	v_fma_mix_f32 v88, v88, v3, v108 op_sel_hi:[0,1,0]
	v_mul_lo_u32 v108, v218, v14
	v_cvt_f32_i32_e32 v108, v108
	v_fma_mix_f32 v108, v108, v2, 0 op_sel_hi:[0,1,0]
	v_fma_mix_f32 v87, v87, v3, v108 op_sel_hi:[0,1,0]
	v_mul_lo_u32 v108, v217, v21
	v_cvt_f32_i32_e32 v108, v108
	v_fma_mix_f32 v108, v108, v2, 0 op_sel_hi:[0,1,0]
	v_fma_mix_f32 v86, v86, v3, v108 op_sel_hi:[0,1,0]
	v_fma_mix_f32 v108, v23, v2, 0 op_sel:[0,1,0] op_sel_hi:[0,1,0]
	v_fma_mix_f32 v2, v26, v2, 0 op_sel:[0,1,0] op_sel_hi:[0,1,0]
	v_fma_mix_f32 v108, v4, v3, v108 op_sel:[0,1,0] op_sel_hi:[0,1,0]
	v_fma_mix_f32 v112, v16, v3, v2 op_sel:[0,1,0] op_sel_hi:[0,1,0]
	v_mul_lo_u32 v3, v227, v5
	v_lshrrev_b32_e32 v2, 1, v229
	v_mul_lo_u32 v5, v212, v5
	v_cvt_f32_i32_e32 v114, v3
	ds_read_b64 v[2:3], v2 offset:27200
	v_cvt_f32_i32_e32 v5, v5
	s_waitcnt lgkmcnt(0)
	v_fma_mix_f32 v114, v114, v2, 0 op_sel_hi:[0,1,0]
	v_fma_mix_f32 v116, v24, v2, 0 op_sel:[0,1,0] op_sel_hi:[0,1,0]
	v_fma_mix_f32 v117, v25, v2, 0 op_sel:[0,1,0] op_sel_hi:[0,1,0]
	v_fma_mix_f32 v113, v113, v3, v114 op_sel_hi:[0,1,0]
	v_mul_lo_u32 v114, v226, v10
	v_fma_mix_f32 v116, v8, v3, v116 op_sel:[0,1,0] op_sel_hi:[0,1,0]
	v_fma_mix_f32 v117, v12, v3, v117 op_sel:[0,1,0] op_sel_hi:[0,1,0]
	v_mul_lo_u32 v10, v213, v10
	v_cvt_f32_i32_e32 v114, v114
	v_fma_mix_f32 v114, v114, v2, 0 op_sel_hi:[0,1,0]
	v_fma_mix_f32 v114, v115, v3, v114 op_sel_hi:[0,1,0]
	v_mul_lo_u32 v115, v225, v14
	v_mul_lo_u32 v14, v214, v14
	v_cvt_f32_i32_e32 v115, v115
	v_fma_mix_f32 v115, v115, v2, 0 op_sel_hi:[0,1,0]
	v_fma_mix_f32 v96, v96, v3, v115 op_sel_hi:[0,1,0]
	v_mul_lo_u32 v115, v224, v21
	v_mul_lo_u32 v21, v215, v21
	v_cvt_f32_i32_e32 v115, v115
	v_fma_mix_f32 v115, v115, v2, 0 op_sel_hi:[0,1,0]
	v_fma_mix_f32 v92, v92, v3, v115 op_sel_hi:[0,1,0]
	v_fma_mix_f32 v115, v23, v2, 0 op_sel:[0,1,0] op_sel_hi:[0,1,0]
	v_fma_mix_f32 v2, v26, v2, 0 op_sel:[0,1,0] op_sel_hi:[0,1,0]
	v_fma_mix_f32 v115, v4, v3, v115 op_sel:[0,1,0] op_sel_hi:[0,1,0]
	v_fma_mix_f32 v118, v16, v3, v2 op_sel:[0,1,0] op_sel_hi:[0,1,0]
	v_lshrrev_b32_e32 v2, 1, v216
	ds_read_b64 v[2:3], v2 offset:27200
	s_waitcnt lgkmcnt(0)
	v_fma_mix_f32 v5, v5, v2, 0 op_sel_hi:[0,1,0]
	v_fma_mix_f32 v23, v23, v2, 0 op_sel:[0,1,0] op_sel_hi:[0,1,0]
	v_fma_mix_f32 v5, v6, v3, v5 op_sel_hi:[0,1,0]
	v_cvt_f32_i32_e32 v6, v10
	v_fma_mix_f32 v4, v4, v3, v23 op_sel:[0,1,0] op_sel_hi:[0,1,0]
	v_fma_mix_f32 v23, v24, v2, 0 op_sel:[0,1,0] op_sel_hi:[0,1,0]
	v_cvt_f32_i32_e32 v10, v13
	v_mul_f32_e32 v13, v29, v178
	v_fma_mix_f32 v6, v6, v2, 0 op_sel_hi:[0,1,0]
	v_mul_f32_e32 v4, v4, v174
	v_fma_mix_f32 v8, v8, v3, v23 op_sel:[0,1,0] op_sel_hi:[0,1,0]
	v_fma_mix_f32 v23, v25, v2, 0 op_sel:[0,1,0] op_sel_hi:[0,1,0]
	v_fma_f32 v13, v15, v177, -v13
	v_fma_mix_f32 v6, v9, v3, v6 op_sel_hi:[0,1,0]
	v_cvt_f32_i32_e32 v9, v14
	v_mul_f32_e32 v14, v70, v186
	v_fma_mix_f32 v12, v12, v3, v23 op_sel:[0,1,0] op_sel_hi:[0,1,0]
	v_fma_mix_f32 v23, v26, v2, 0 op_sel:[0,1,0] op_sel_hi:[0,1,0]
	v_mul_f32_e32 v8, v8, v176
	v_fma_mix_f32 v9, v9, v2, 0 op_sel_hi:[0,1,0]
	v_fma_f32 v14, v33, v185, -v14
	v_mul_f32_e32 v12, v12, v178
	v_fma_mix_f32 v16, v16, v3, v23 op_sel:[0,1,0] op_sel_hi:[0,1,0]
	v_mul_f32_e32 v15, v76, v174
	v_fma_mix_f32 v9, v10, v3, v9 op_sel_hi:[0,1,0]
	v_cvt_f32_i32_e32 v10, v21
	v_mul_f32_e32 v21, v77, v176
	v_mul_f32_e32 v16, v16, v172
	;; [unrolled: 1-line block ×4, first 2 shown]
	v_fma_mix_f32 v2, v10, v2, 0 op_sel_hi:[0,1,0]
	v_cvt_f32_i32_e32 v10, v17
	v_mul_f32_e32 v17, v99, v182
	v_mul_f32_e32 v25, v102, v186
	;; [unrolled: 1-line block ×4, first 2 shown]
	v_fma_mix_f32 v2, v10, v3, v2 op_sel_hi:[0,1,0]
	v_mul_f32_e32 v3, v27, v174
	v_mul_f32_e32 v10, v28, v176
	;; [unrolled: 1-line block ×4, first 2 shown]
	v_fma_f32 v4, v5, v173, -v4
	v_fma_f32 v3, v7, v173, -v3
	v_mul_f32_e32 v7, v35, v182
	v_fma_f32 v10, v11, v175, -v10
	v_mul_f32_e32 v11, v36, v184
	v_mul_f32_e32 v5, v115, v182
	v_fma_f32 v6, v6, v175, -v8
	v_fma_f32 v7, v31, v181, -v7
	v_mul_f32_e32 v31, v106, v178
	v_fma_f32 v11, v32, v183, -v11
	v_mul_f32_e32 v32, v111, v186
	v_mul_f32_e32 v8, v116, v184
	v_fma_f32 v9, v9, v177, -v12
	v_mul_f32_e32 v12, v117, v186
	v_mul_f32_e32 v33, v79, v172
	;; [unrolled: 1-line block ×4, first 2 shown]
	v_fma_f32 v2, v2, v171, -v16
	v_mul_f32_e32 v16, v118, v180
	v_fma_f32 v15, v72, v173, -v15
	v_fma_f32 v17, v80, v181, -v17
	v_fma_f32 v21, v73, v175, -v21
	v_fma_f32 v23, v81, v183, -v23
	v_fma_f32 v24, v74, v177, -v24
	v_fma_f32 v25, v97, v185, -v25
	v_fma_f32 v26, v95, v173, -v26
	v_fma_f32 v27, v90, v181, -v27
	v_fma_f32 v28, v93, v175, -v28
	v_fma_f32 v29, v88, v183, -v29
	v_fma_f32 v31, v91, v177, -v31
	v_fma_f32 v32, v87, v185, -v32
	v_fma_f32 v5, v113, v181, -v5
	v_fma_f32 v8, v114, v183, -v8
	v_fma_f32 v12, v96, v185, -v12
	v_fma_f32 v33, v75, v171, -v33
	v_fma_f32 v35, v89, v171, -v35
	v_fma_f32 v36, v86, v179, -v36
	v_fma_f32 v16, v92, v179, -v16
	v_add_f32_e32 v65, v65, v7
	v_add_f32_e32 v64, v64, v3
	;; [unrolled: 1-line block ×29, first 2 shown]
	s_cbranch_vccnz .LBB152_6
; %bb.7:                                ;   in Loop: Header=BB152_5 Depth=1
	buffer_load_dword v2, off, s[20:23], 0 offset:252 ; 4-byte Folded Reload
	v_add_nc_u32_e32 v12, 4, v170
	s_waitcnt vmcnt(0)
	s_barrier
	buffer_gl0_inv
	v_mov_b32_e32 v136, v98
	v_mad_u64_u32 v[12:13], null, v12, 36, s[2:3]
	v_mov_b32_e32 v137, v126
	v_mov_b32_e32 v138, v127
	;; [unrolled: 1-line block ×10, first 2 shown]
	v_lshl_add_u32 v75, v1, 4, 0x6a40
	v_mad_u32_u24 v92, 0x84, v0, 64
	s_mov_b32 s0, 16
	s_mov_b32 s1, 0
	v_add_nc_u32_e32 v14, s9, v2
	s_mov_b32 s9, 0
	v_add_nc_u32_e32 v2, v14, v98
	v_add_nc_u32_e32 v4, v14, v126
	;; [unrolled: 1-line block ×5, first 2 shown]
	v_mad_i64_i32 v[2:3], null, v2, 36, v[46:47]
	v_add_nc_u32_e32 v15, v14, v130
	v_mad_i64_i32 v[4:5], null, v4, 36, v[46:47]
	v_add_nc_u32_e32 v16, v14, v131
	;; [unrolled: 2-line block ×3, first 2 shown]
	v_mad_i64_i32 v[8:9], null, v8, 36, v[46:47]
	v_mad_i64_i32 v[10:11], null, v10, 36, v[46:47]
	;; [unrolled: 1-line block ×5, first 2 shown]
	s_clause 0x8
	global_load_dword v12, v[12:13], off
	global_load_dword v2, v[2:3], off offset:4
	global_load_dword v3, v[4:5], off offset:4
	;; [unrolled: 1-line block ×8, first 2 shown]
	s_waitcnt vmcnt(8)
	ds_write_b32 v37, v12
	s_waitcnt vmcnt(7)
	ds_write_b32 v161, v2
	buffer_load_dword v2, off, s[20:23], 0 offset:8 ; 4-byte Folded Reload
	s_waitcnt vmcnt(7)
	ds_write_b32 v162, v3
	v_mov_b32_e32 v161, v133
	v_mov_b32_e32 v162, v156
	s_waitcnt vmcnt(0)
	ds_write_b32 v2, v4
	buffer_load_dword v2, off, s[20:23], 0 offset:12 ; 4-byte Folded Reload
	s_waitcnt vmcnt(0)
	ds_write_b32 v2, v5
	buffer_load_dword v2, off, s[20:23], 0 offset:16 ; 4-byte Folded Reload
	;; [unrolled: 3-line block ×4, first 2 shown]
	s_waitcnt vmcnt(0)
	ds_write_b32 v2, v8
	ds_write_b32 v165, v9
	s_waitcnt lgkmcnt(0)
	s_barrier
	buffer_gl0_inv
	s_clause 0x2
	buffer_load_dword v4, off, s[20:23], 0
	buffer_load_dword v5, off, s[20:23], 0 offset:4
	buffer_load_dword v74, off, s[20:23], 0 offset:256
	ds_read_b32 v2, v133
	ds_read_b32 v3, v156 offset:128
	s_waitcnt lgkmcnt(0)
	v_cvt_f32_f16_e32 v78, v3
	v_cvt_f32_f16_sdwa v79, v3 dst_sel:DWORD dst_unused:UNUSED_PAD src0_sel:WORD_1
	v_mov_b32_e32 v86, v78
	v_mov_b32_e32 v87, v79
	s_waitcnt vmcnt(2)
	ds_read_b32 v4, v4 offset:256
	s_waitcnt vmcnt(1)
	ds_read_b32 v5, v5 offset:384
	v_cvt_f32_f16_e32 v76, v2
	v_cvt_f32_f16_sdwa v77, v2 dst_sel:DWORD dst_unused:UNUSED_PAD src0_sel:WORD_1
	v_mov_b32_e32 v133, v1
	v_mov_b32_e32 v84, v76
	;; [unrolled: 1-line block ×3, first 2 shown]
	s_waitcnt lgkmcnt(1)
	v_cvt_f32_f16_e32 v80, v4
	v_cvt_f32_f16_sdwa v81, v4 dst_sel:DWORD dst_unused:UNUSED_PAD src0_sel:WORD_1
	s_waitcnt lgkmcnt(0)
	v_cvt_f32_f16_e32 v82, v5
	v_cvt_f32_f16_sdwa v83, v5 dst_sel:DWORD dst_unused:UNUSED_PAD src0_sel:WORD_1
	v_mov_b32_e32 v88, v80
	v_mov_b32_e32 v89, v81
	;; [unrolled: 1-line block ×4, first 2 shown]
.LBB152_8:                              ;   Parent Loop BB152_5 Depth=1
                                        ; =>  This Inner Loop Header: Depth=2
	v_lshlrev_b32_e32 v12, 4, v0
	s_lshr_b32 s11, s0, 2
	ds_read2_b32 v[6:7], v92 offset1:1
	s_waitcnt vmcnt(0)
	ds_read_b128 v[21:24], v74
	s_and_b32 s11, s11, 0x3ffffffc
	ds_read2_b32 v[118:119], v92 offset0:2 offset1:3
	ds_read2_b32 v[10:11], v92 offset0:4 offset1:5
	;; [unrolled: 1-line block ×3, first 2 shown]
	ds_read_b128 v[2:5], v74 offset:16
	v_add_nc_u32_e32 v176, s1, v12
	v_add_nc_u32_e32 v12, 0x1080, v92
	;; [unrolled: 1-line block ×3, first 2 shown]
	v_mov_b32_e32 v186, 0
	v_mov_b32_e32 v187, 0
	v_add3_u32 v189, v150, s11, v176
	ds_read2_b32 v[120:121], v12 offset1:1
	v_add3_u32 v195, v152, s11, v176
	v_mov_b32_e32 v181, 0
	v_mov_b32_e32 v180, 0
	ds_read_u16 v175, v189 offset:26632
	v_add_nc_u32_e32 v12, 0x3180, v92
	ds_read_u16 v173, v195 offset:25608
	v_add_nc_u32_e32 v15, 0x1090, v92
	v_add_nc_u32_e32 v25, 0x3190, v92
	;; [unrolled: 1-line block ×3, first 2 shown]
	ds_read2_b32 v[122:123], v12 offset1:1
	v_add_nc_u32_e32 v12, 0x2110, v92
	s_waitcnt lgkmcnt(9)
	v_and_b32_e32 v97, 0xf0f0f0f, v6
	v_and_b32_e32 v99, 0xf0f0f0f, v7
	ds_read2_b32 v[12:13], v12 offset1:1
	ds_read2_b32 v[124:125], v14 offset1:1
	v_add_nc_u32_e32 v14, 0x1088, v92
	s_waitcnt lgkmcnt(10)
	v_dot4c_i32_i8 v186, v97, v21
	s_waitcnt lgkmcnt(9)
	v_and_b32_e32 v157, 0xf0f0f0f, v118
	s_waitcnt lgkmcnt(5)
	v_and_b32_e32 v134, 0xf0f0f0f, v120
	v_and_b32_e32 v208, 0xf0f0f0f, v121
	v_and_b32_e32 v211, 0xf0f0f0f, v119
	v_dot4c_i32_i8 v186, v99, v22
	v_mov_b32_e32 v201, 0
	v_dot4c_i32_i8 v187, v134, v21
	v_mov_b32_e32 v200, 0
	v_mov_b32_e32 v199, 0
	v_dot4c_i32_i8 v186, v157, v23
	v_mov_b32_e32 v197, 0
	s_waitcnt lgkmcnt(2)
	v_and_b32_e32 v149, 0xf0f0f0f, v122
	v_and_b32_e32 v209, 0xf0f0f0f, v123
	v_dot4c_i32_i8 v187, v208, v22
	v_dot4c_i32_i8 v186, v211, v24
	v_mov_b32_e32 v190, 0
	v_dot4c_i32_i8 v181, v149, v21
	s_waitcnt lgkmcnt(0)
	v_and_b32_e32 v210, 0xf0f0f0f, v124
	v_and_b32_e32 v214, 0xf0f0f0f, v125
	v_mov_b32_e32 v188, 0
	v_mov_b32_e32 v182, 0
	v_dot4c_i32_i8 v181, v209, v22
	v_dot4c_i32_i8 v180, v210, v21
	v_add_nc_u32_e32 v21, 0x1098, v92
	ds_read2_b32 v[202:203], v14 offset1:1
	ds_read2_b32 v[16:17], v15 offset1:1
	;; [unrolled: 1-line block ×3, first 2 shown]
	v_add_nc_u32_e32 v21, 0x3188, v92
	ds_read2_b32 v[204:205], v21 offset1:1
	ds_read2_b32 v[72:73], v25 offset1:1
	;; [unrolled: 1-line block ×3, first 2 shown]
	v_add_nc_u32_e32 v21, 0x2108, v92
	v_dot4c_i32_i8 v180, v214, v22
	v_mov_b32_e32 v178, 0
	v_mov_b32_e32 v198, 0
	;; [unrolled: 1-line block ×3, first 2 shown]
	ds_read2_b32 v[206:207], v21 offset1:1
	v_mov_b32_e32 v193, 0
	v_mov_b32_e32 v191, 0
	;; [unrolled: 1-line block ×5, first 2 shown]
	s_waitcnt lgkmcnt(6)
	v_and_b32_e32 v212, 0xf0f0f0f, v202
	v_and_b32_e32 v215, 0xf0f0f0f, v203
	v_mov_b32_e32 v174, 0
	v_mov_b32_e32 v194, 0
	;; [unrolled: 1-line block ×3, first 2 shown]
	v_dot4c_i32_i8 v187, v212, v23
	s_waitcnt lgkmcnt(3)
	v_and_b32_e32 v213, 0xf0f0f0f, v204
	v_and_b32_e32 v216, 0xf0f0f0f, v205
	v_mov_b32_e32 v185, 0
	v_mov_b32_e32 v184, 0
	v_dot4c_i32_i8 v187, v215, v24
	v_dot4c_i32_i8 v181, v213, v23
	v_mov_b32_e32 v94, 0
	v_mov_b32_e32 v95, 0
	s_waitcnt lgkmcnt(0)
	v_and_b32_e32 v217, 0xf0f0f0f, v206
	v_and_b32_e32 v218, 0xf0f0f0f, v207
	v_dot4c_i32_i8 v181, v216, v24
	v_mov_b32_e32 v96, 0
	v_mov_b32_e32 v93, 0
	v_dot4c_i32_i8 v180, v217, v23
	v_mov_b32_e32 v170, 0
	v_mov_b32_e32 v171, 0
	;; [unrolled: 1-line block ×3, first 2 shown]
	v_lshrrev_b32_e32 v6, 4, v6
	v_dot4c_i32_i8 v180, v218, v24
	ds_read_b128 v[21:24], v74 offset:1024
	ds_read_b128 v[25:28], v74 offset:1040
	v_lshrrev_b32_e32 v122, 4, v122
	v_lshrrev_b32_e32 v124, 4, v124
	;; [unrolled: 1-line block ×5, first 2 shown]
	v_mov_b32_e32 v225, 0
	v_and_b32_e32 v129, 0xf0f0f0f, v122
	v_mov_b32_e32 v226, 0
	v_mov_b32_e32 v222, 0
	v_and_b32_e32 v131, 0xf0f0f0f, v124
	v_and_b32_e32 v98, 0xf0f0f0f, v7
	;; [unrolled: 1-line block ×4, first 2 shown]
	v_mov_b32_e32 v231, 0
	v_mov_b32_e32 v230, 0
	;; [unrolled: 1-line block ×5, first 2 shown]
	s_waitcnt lgkmcnt(1)
	v_dot4c_i32_i8 v201, v97, v21
	v_dot4c_i32_i8 v200, v134, v21
	v_dot4c_i32_i8 v199, v149, v21
	v_dot4c_i32_i8 v197, v210, v21
	v_mov_b32_e32 v224, 0
	v_dot4c_i32_i8 v201, v99, v22
	v_dot4c_i32_i8 v200, v208, v22
	v_dot4c_i32_i8 v199, v209, v22
	v_dot4c_i32_i8 v197, v214, v22
	v_mov_b32_e32 v221, 0
	;; [unrolled: 5-line block ×3, first 2 shown]
	v_dot4c_i32_i8 v201, v211, v24
	v_dot4c_i32_i8 v200, v215, v24
	;; [unrolled: 1-line block ×4, first 2 shown]
	ds_read_b128 v[21:24], v74 offset:2048
	ds_read_b128 v[29:32], v74 offset:2064
	v_mov_b32_e32 v223, 0
	v_mov_b32_e32 v220, 0
	;; [unrolled: 1-line block ×3, first 2 shown]
	s_add_i32 s0, s0, 8
	s_add_i32 s1, s1, 2
	s_waitcnt lgkmcnt(1)
	v_dot4c_i32_i8 v190, v97, v21
	v_dot4c_i32_i8 v188, v134, v21
	v_dot4c_i32_i8 v182, v149, v21
	v_dot4c_i32_i8 v178, v210, v21
	v_dot4c_i32_i8 v190, v99, v22
	v_dot4c_i32_i8 v188, v208, v22
	v_dot4c_i32_i8 v182, v209, v22
	v_dot4c_i32_i8 v178, v214, v22
	v_dot4c_i32_i8 v190, v157, v23
	v_dot4c_i32_i8 v188, v212, v23
	v_dot4c_i32_i8 v182, v213, v23
	v_dot4c_i32_i8 v178, v217, v23
	v_dot4c_i32_i8 v190, v211, v24
	v_dot4c_i32_i8 v188, v215, v24
	v_dot4c_i32_i8 v182, v216, v24
	v_dot4c_i32_i8 v178, v218, v24
	ds_read_b128 v[21:24], v74 offset:3072
	ds_read_b128 v[33:36], v74 offset:3088
	s_waitcnt lgkmcnt(1)
	v_dot4c_i32_i8 v198, v97, v21
	v_dot4c_i32_i8 v196, v134, v21
	v_dot4c_i32_i8 v193, v149, v21
	v_dot4c_i32_i8 v191, v210, v21
	v_dot4c_i32_i8 v198, v99, v22
	v_dot4c_i32_i8 v196, v208, v22
	v_dot4c_i32_i8 v193, v209, v22
	v_dot4c_i32_i8 v191, v214, v22
	v_dot4c_i32_i8 v198, v157, v23
	v_dot4c_i32_i8 v196, v212, v23
	v_dot4c_i32_i8 v193, v213, v23
	v_dot4c_i32_i8 v191, v217, v23
	v_dot4c_i32_i8 v198, v211, v24
	v_dot4c_i32_i8 v196, v215, v24
	v_dot4c_i32_i8 v193, v216, v24
	v_dot4c_i32_i8 v191, v218, v24
	ds_read_b128 v[21:24], v74 offset:4096
	ds_read_b128 v[101:104], v74 offset:4112
	;; [unrolled: 19-line block ×5, first 2 shown]
	s_waitcnt lgkmcnt(1)
	v_dot4c_i32_i8 v170, v97, v21
	v_mov_b32_e32 v97, 0
	v_dot4c_i32_i8 v171, v134, v21
	v_dot4c_i32_i8 v172, v149, v21
	v_lshrrev_b32_e32 v149, 4, v204
	v_dot4c_i32_i8 v170, v99, v22
	v_dot4c_i32_i8 v97, v210, v21
	v_dot4c_i32_i8 v171, v208, v22
	v_dot4c_i32_i8 v172, v209, v22
	v_lshrrev_b32_e32 v21, 4, v118
	v_dot4c_i32_i8 v170, v157, v23
	v_dot4c_i32_i8 v97, v214, v22
	;; [unrolled: 5-line block ×3, first 2 shown]
	v_dot4c_i32_i8 v171, v215, v24
	v_dot4c_i32_i8 v172, v216, v24
	v_and_b32_e32 v1, 0xf0f0f0f, v21
	v_and_b32_e32 v37, 0xf0f0f0f, v22
	v_dot4c_i32_i8 v97, v218, v24
	ds_read_b128 v[21:24], v74 offset:32
	ds_read_b128 v[232:235], v74 offset:48
	v_lshrrev_b32_e32 v99, 4, v120
	v_lshrrev_b32_e32 v118, 4, v121
	v_and_b32_e32 v204, 0xf0f0f0f, v6
	v_mov_b32_e32 v217, 0
	v_lshrrev_b32_e32 v119, 4, v202
	v_and_b32_e32 v99, 0xf0f0f0f, v99
	v_lshrrev_b32_e32 v121, 4, v206
	v_and_b32_e32 v156, 0xf0f0f0f, v118
	v_lshrrev_b32_e32 v120, 4, v203
	v_lshrrev_b32_e32 v134, 4, v207
	v_lshrrev_b32_e32 v157, 4, v205
	v_and_b32_e32 v126, 0xf0f0f0f, v119
	v_and_b32_e32 v128, 0xf0f0f0f, v121
	;; [unrolled: 1-line block ×6, first 2 shown]
	v_mov_b32_e32 v218, 0
	s_waitcnt lgkmcnt(1)
	v_dot4c_i32_i8 v225, v204, v21
	v_dot4c_i32_i8 v226, v99, v21
	v_dot4c_i32_i8 v222, v129, v21
	v_dot4c_i32_i8 v217, v131, v21
	v_mov_b32_e32 v216, 0
	v_dot4c_i32_i8 v225, v98, v22
	v_dot4c_i32_i8 v226, v156, v22
	v_dot4c_i32_i8 v222, v130, v22
	v_dot4c_i32_i8 v217, v132, v22
	v_mov_b32_e32 v212, 0
	;; [unrolled: 5-line block ×3, first 2 shown]
	v_dot4c_i32_i8 v225, v37, v24
	v_dot4c_i32_i8 v226, v127, v24
	;; [unrolled: 1-line block ×4, first 2 shown]
	ds_read_b128 v[21:24], v74 offset:1056
	ds_read_b128 v[236:239], v74 offset:1072
	v_mov_b32_e32 v213, 0
	v_mov_b32_e32 v211, 0
	;; [unrolled: 1-line block ×12, first 2 shown]
	s_waitcnt lgkmcnt(1)
	v_dot4c_i32_i8 v231, v204, v21
	v_dot4c_i32_i8 v230, v99, v21
	v_dot4c_i32_i8 v229, v129, v21
	v_dot4c_i32_i8 v227, v131, v21
	v_dot4c_i32_i8 v231, v98, v22
	v_dot4c_i32_i8 v230, v156, v22
	v_dot4c_i32_i8 v229, v130, v22
	v_dot4c_i32_i8 v227, v132, v22
	v_dot4c_i32_i8 v231, v1, v23
	v_dot4c_i32_i8 v230, v126, v23
	v_dot4c_i32_i8 v229, v149, v23
	v_dot4c_i32_i8 v227, v128, v23
	v_dot4c_i32_i8 v231, v37, v24
	v_dot4c_i32_i8 v230, v127, v24
	v_dot4c_i32_i8 v229, v157, v24
	v_dot4c_i32_i8 v227, v134, v24
	ds_read_b128 v[21:24], v74 offset:2080
	ds_read_b128 v[240:243], v74 offset:2096
	s_waitcnt lgkmcnt(1)
	v_dot4c_i32_i8 v218, v204, v21
	v_dot4c_i32_i8 v216, v99, v21
	v_dot4c_i32_i8 v212, v129, v21
	v_dot4c_i32_i8 v210, v131, v21
	v_dot4c_i32_i8 v218, v98, v22
	v_dot4c_i32_i8 v216, v156, v22
	v_dot4c_i32_i8 v212, v130, v22
	v_dot4c_i32_i8 v210, v132, v22
	v_dot4c_i32_i8 v218, v1, v23
	v_dot4c_i32_i8 v216, v126, v23
	v_dot4c_i32_i8 v212, v149, v23
	v_dot4c_i32_i8 v210, v128, v23
	v_dot4c_i32_i8 v218, v37, v24
	v_dot4c_i32_i8 v216, v127, v24
	v_dot4c_i32_i8 v212, v157, v24
	v_dot4c_i32_i8 v210, v134, v24
	ds_read_b128 v[21:24], v74 offset:3104
	ds_read_b128 v[244:247], v74 offset:3120
	;; [unrolled: 19-line block ×6, first 2 shown]
	v_add_nc_u32_e32 v74, 64, v74
	s_waitcnt lgkmcnt(1)
	v_dot4c_i32_i8 v207, v204, v21
	v_mov_b32_e32 v204, 0
	v_dot4c_i32_i8 v205, v99, v21
	v_dot4c_i32_i8 v206, v129, v21
	v_and_b32_e32 v99, 0xf0f0f0f, v12
	v_dot4c_i32_i8 v207, v98, v22
	v_dot4c_i32_i8 v204, v131, v21
	;; [unrolled: 1-line block ×4, first 2 shown]
	v_and_b32_e32 v21, 0xf0f0f0f, v11
	v_dot4c_i32_i8 v207, v1, v23
	v_dot4c_i32_i8 v204, v132, v22
	;; [unrolled: 1-line block ×4, first 2 shown]
	v_and_b32_e32 v1, 0xf0f0f0f, v10
	v_and_b32_e32 v22, 0xf0f0f0f, v16
	v_dot4c_i32_i8 v204, v128, v23
	v_and_b32_e32 v23, 0xf0f0f0f, v72
	v_dot4c_i32_i8 v207, v37, v24
	v_dot4c_i32_i8 v186, v1, v2
	;; [unrolled: 1-line block ×3, first 2 shown]
	v_and_b32_e32 v37, 0xf0f0f0f, v17
	v_dot4c_i32_i8 v181, v23, v2
	v_and_b32_e32 v98, 0xf0f0f0f, v73
	v_dot4c_i32_i8 v180, v99, v2
	v_and_b32_e32 v129, 0xf0f0f0f, v13
	v_add_nc_u32_e32 v2, 0x2118, v92
	v_dot4c_i32_i8 v186, v21, v3
	v_dot4c_i32_i8 v187, v37, v3
	;; [unrolled: 1-line block ×4, first 2 shown]
	ds_read2_b32 v[2:3], v2 offset1:1
	v_dot4c_i32_i8 v197, v99, v25
	v_dot4c_i32_i8 v178, v99, v29
	;; [unrolled: 1-line block ×10, first 2 shown]
	v_and_b32_e32 v24, 0xf0f0f0f, v8
	v_and_b32_e32 v127, 0xf0f0f0f, v14
	;; [unrolled: 1-line block ×3, first 2 shown]
	v_dot4c_i32_i8 v197, v129, v26
	v_dot4c_i32_i8 v178, v129, v30
	;; [unrolled: 1-line block ×6, first 2 shown]
	s_waitcnt lgkmcnt(0)
	v_and_b32_e32 v132, 0xf0f0f0f, v2
	v_dot4c_i32_i8 v97, v129, v115
	v_dot4c_i32_i8 v186, v24, v4
	;; [unrolled: 1-line block ×5, first 2 shown]
	v_and_b32_e32 v4, 0xf0f0f0f, v3
	v_dot4c_i32_i8 v197, v132, v27
	v_dot4c_i32_i8 v178, v132, v31
	;; [unrolled: 1-line block ×15, first 2 shown]
	v_lshrrev_b32_e32 v4, 4, v11
	v_lshrrev_b32_e32 v11, 4, v12
	;; [unrolled: 1-line block ×3, first 2 shown]
	v_dot4c_i32_i8 v201, v1, v25
	v_dot4c_i32_i8 v190, v1, v29
	;; [unrolled: 1-line block ×3, first 2 shown]
	v_and_b32_e32 v11, 0xf0f0f0f, v11
	v_dot4c_i32_i8 v183, v1, v101
	v_dot4c_i32_i8 v194, v1, v105
	;; [unrolled: 1-line block ×4, first 2 shown]
	v_lshrrev_b32_e32 v1, 4, v10
	v_lshrrev_b32_e32 v2, 4, v2
	v_and_b32_e32 v12, 0xf0f0f0f, v12
	v_dot4c_i32_i8 v217, v11, v232
	v_dot4c_i32_i8 v227, v11, v236
	v_dot4c_i32_i8 v210, v11, v240
	v_dot4c_i32_i8 v219, v11, v244
	v_dot4c_i32_i8 v208, v11, v248
	v_dot4c_i32_i8 v214, v11, v252
	v_dot4c_i32_i8 v6, v11, v118
	v_dot4c_i32_i8 v204, v11, v122
	v_lshrrev_b32_e32 v3, 4, v3
	v_and_b32_e32 v1, 0xf0f0f0f, v1
	v_and_b32_e32 v2, 0xf0f0f0f, v2
	v_dot4c_i32_i8 v217, v12, v233
	v_dot4c_i32_i8 v227, v12, v237
	;; [unrolled: 1-line block ×8, first 2 shown]
	v_and_b32_e32 v3, 0xf0f0f0f, v3
	v_dot4c_i32_i8 v225, v1, v232
	v_dot4c_i32_i8 v217, v2, v234
	;; [unrolled: 1-line block ×16, first 2 shown]
	v_add3_u32 v1, v153, s11, v176
	v_and_b32_e32 v126, 0xf0f0f0f, v9
	v_and_b32_e32 v130, 0xf0f0f0f, v15
	v_and_b32_e32 v131, 0xf0f0f0f, v71
	v_dot4c_i32_i8 v217, v3, v235
	v_dot4c_i32_i8 v227, v3, v239
	;; [unrolled: 1-line block ×8, first 2 shown]
	ds_read_u16 v2, v1 offset:25088
	ds_read_u16 v1, v1 offset:25096
	;; [unrolled: 1-line block ×3, first 2 shown]
	v_dot4c_i32_i8 v186, v126, v5
	v_dot4c_i32_i8 v187, v130, v5
	;; [unrolled: 1-line block ×3, first 2 shown]
	v_lshrrev_b32_e32 v5, 4, v8
	v_lshrrev_b32_e32 v8, 4, v9
	;; [unrolled: 1-line block ×3, first 2 shown]
	v_and_b32_e32 v4, 0xf0f0f0f, v4
	v_lshrrev_b32_e32 v13, 4, v72
	v_lshrrev_b32_e32 v10, 4, v17
	v_and_b32_e32 v5, 0xf0f0f0f, v5
	v_and_b32_e32 v9, 0xf0f0f0f, v9
	v_dot4c_i32_i8 v225, v4, v233
	v_dot4c_i32_i8 v231, v4, v237
	;; [unrolled: 1-line block ×9, first 2 shown]
	v_lshrrev_b32_e32 v16, 4, v73
	v_and_b32_e32 v13, 0xf0f0f0f, v13
	v_and_b32_e32 v8, 0xf0f0f0f, v8
	;; [unrolled: 1-line block ×3, first 2 shown]
	v_dot4c_i32_i8 v226, v9, v232
	v_dot4c_i32_i8 v225, v5, v234
	;; [unrolled: 1-line block ×17, first 2 shown]
	v_lshrrev_b32_e32 v17, 4, v70
	v_and_b32_e32 v16, 0xf0f0f0f, v16
	v_dot4c_i32_i8 v222, v13, v232
	v_dot4c_i32_i8 v229, v13, v236
	;; [unrolled: 1-line block ×24, first 2 shown]
	ds_read2_b64 v[8:11], v75 offset1:16
	v_dot4c_i32_i8 v201, v126, v28
	v_and_b32_e32 v17, 0xf0f0f0f, v17
	v_dot4c_i32_i8 v222, v16, v233
	v_dot4c_i32_i8 v229, v16, v237
	;; [unrolled: 1-line block ×8, first 2 shown]
	s_waitcnt lgkmcnt(3)
	v_and_b32_e32 v16, 0xff, v2
	v_dot4c_i32_i8 v222, v17, v234
	v_dot4c_i32_i8 v229, v17, v238
	;; [unrolled: 1-line block ×8, first 2 shown]
	v_and_b32_sdwa v17, v169, v2 dst_sel:DWORD dst_unused:UNUSED_PAD src0_sel:DWORD src1_sel:BYTE_1
	v_mul_lo_u32 v2, v201, v16
	v_dot4c_i32_i8 v190, v21, v30
	v_dot4c_i32_i8 v198, v21, v34
	;; [unrolled: 1-line block ×3, first 2 shown]
	v_mul_lo_u32 v4, v231, v17
	v_dot4c_i32_i8 v194, v21, v106
	v_dot4c_i32_i8 v94, v21, v111
	;; [unrolled: 1-line block ×3, first 2 shown]
	v_lshrrev_b32_e32 v21, 4, v71
	v_cvt_f32_i32_e32 v2, v2
	v_dot4c_i32_i8 v200, v22, v25
	v_lshrrev_b32_e32 v14, 4, v14
	v_cvt_f32_i32_e32 v4, v4
	v_and_b32_e32 v21, 0xf0f0f0f, v21
	s_waitcnt lgkmcnt(0)
	v_fma_mix_f32 v2, v10, v2, 0 op_sel_hi:[1,0,0]
	v_dot4c_i32_i8 v200, v37, v26
	v_lshrrev_b32_e32 v15, 4, v15
	v_and_b32_e32 v14, 0xf0f0f0f, v14
	v_dot4c_i32_i8 v222, v21, v235
	v_dot4c_i32_i8 v229, v21, v239
	v_dot4c_i32_i8 v212, v21, v243
	v_dot4c_i32_i8 v221, v21, v247
	v_dot4c_i32_i8 v209, v21, v251
	v_dot4c_i32_i8 v215, v21, v255
	v_dot4c_i32_i8 v202, v21, v121
	v_dot4c_i32_i8 v206, v21, v125
	v_fma_mix_f32 v21, v11, v4, v2 op_sel_hi:[1,0,0]
	v_mul_lo_u32 v2, v186, v16
	v_mul_lo_u32 v4, v225, v17
	v_dot4c_i32_i8 v200, v127, v27
	v_dot4c_i32_i8 v199, v23, v25
	;; [unrolled: 1-line block ×6, first 2 shown]
	v_cvt_f32_i32_e32 v2, v2
	v_dot4c_i32_i8 v185, v23, v105
	v_dot4c_i32_i8 v96, v23, v110
	;; [unrolled: 1-line block ×3, first 2 shown]
	v_and_b32_e32 v15, 0xf0f0f0f, v15
	v_dot4c_i32_i8 v230, v14, v238
	v_fma_mix_f32 v2, v8, v2, 0 op_sel_hi:[1,0,0]
	v_cvt_f32_i32_e32 v4, v4
	v_and_b32_e32 v23, 0xff, v3
	v_dot4c_i32_i8 v188, v22, v29
	v_dot4c_i32_i8 v190, v24, v31
	;; [unrolled: 1-line block ×13, first 2 shown]
	v_fma_mix_f32 v22, v9, v4, v2 op_sel_hi:[1,0,0]
	v_and_b32_sdwa v24, v169, v3 dst_sel:DWORD dst_unused:UNUSED_PAD src0_sel:DWORD src1_sel:BYTE_1
	v_mul_lo_u32 v2, v200, v23
	v_dot4c_i32_i8 v226, v14, v234
	v_dot4c_i32_i8 v199, v98, v26
	v_add3_u32 v4, v151, s11, v176
	v_mul_lo_u32 v3, v230, v24
	v_dot4c_i32_i8 v188, v37, v30
	v_dot4c_i32_i8 v226, v15, v235
	;; [unrolled: 1-line block ×3, first 2 shown]
	v_cvt_f32_i32_e32 v2, v2
	v_dot4c_i32_i8 v182, v98, v30
	v_dot4c_i32_i8 v188, v127, v31
	;; [unrolled: 1-line block ×3, first 2 shown]
	v_cvt_f32_i32_e32 v3, v3
	v_fma_mix_f32 v2, v10, v2, 0 op_sel_hi:[1,0,0]
	v_dot4c_i32_i8 v199, v131, v28
	v_dot4c_i32_i8 v182, v128, v31
	;; [unrolled: 1-line block ×4, first 2 shown]
	v_fma_mix_f32 v25, v11, v3, v2 op_sel_hi:[1,0,0]
	v_mul_lo_u32 v2, v187, v23
	v_mul_lo_u32 v3, v226, v24
	v_dot4c_i32_i8 v182, v131, v32
	v_dot4c_i32_i8 v193, v98, v34
	v_dot4c_i32_i8 v196, v127, v35
	v_cvt_f32_ubyte0_e32 v33, v1
	v_dot4c_i32_i8 v198, v126, v36
	v_dot4c_i32_i8 v179, v37, v102
	v_cvt_f32_i32_e32 v2, v2
	v_cvt_f32_i32_e32 v3, v3
	v_dot4c_i32_i8 v193, v128, v35
	v_dot4c_i32_i8 v196, v130, v36
	v_dot4c_i32_i8 v192, v37, v106
	v_fma_mix_f32 v2, v8, v2, 0 op_sel_hi:[1,0,0]
	v_dot4c_i32_i8 v95, v37, v111
	v_dot4c_i32_i8 v193, v131, v36
	;; [unrolled: 1-line block ×3, first 2 shown]
	v_cvt_f32_ubyte1_e32 v1, v1
	v_fma_mix_f32 v26, v9, v3, v2 op_sel_hi:[1,0,0]
	ds_read_u16 v2, v189 offset:26624
	v_cvt_f32_ubyte0_e32 v34, v173
	v_cvt_f32_ubyte1_e32 v35, v173
	v_dot4c_i32_i8 v177, v98, v102
	v_dot4c_i32_i8 v185, v98, v106
	;; [unrolled: 1-line block ×4, first 2 shown]
	v_cvt_f32_ubyte0_e32 v70, v175
	v_dot4c_i32_i8 v216, v14, v242
	v_dot4c_i32_i8 v224, v14, v246
	;; [unrolled: 1-line block ×6, first 2 shown]
	v_cvt_f32_ubyte1_e32 v71, v175
	v_dot4c_i32_i8 v216, v15, v243
	v_dot4c_i32_i8 v224, v15, v247
	;; [unrolled: 1-line block ×5, first 2 shown]
	s_waitcnt lgkmcnt(0)
	v_and_b32_e32 v27, 0xff, v2
	v_and_b32_sdwa v28, v169, v2 dst_sel:DWORD dst_unused:UNUSED_PAD src0_sel:DWORD src1_sel:BYTE_1
	v_dot4c_i32_i8 v205, v15, v125
	ds_read2_b64 v[12:15], v75 offset0:32 offset1:48
	v_dot4c_i32_i8 v179, v127, v103
	v_mul_lo_u32 v2, v199, v27
	v_mul_lo_u32 v3, v229, v28
	v_dot4c_i32_i8 v177, v128, v103
	v_dot4c_i32_i8 v183, v126, v104
	;; [unrolled: 1-line block ×6, first 2 shown]
	v_cvt_f32_i32_e32 v2, v2
	v_cvt_f32_i32_e32 v3, v3
	v_dot4c_i32_i8 v194, v126, v108
	v_dot4c_i32_i8 v192, v130, v108
	v_dot4c_i32_i8 v185, v131, v108
	v_fma_mix_f32 v2, v10, v2, 0 op_sel_hi:[1,0,0]
	v_dot4c_i32_i8 v95, v127, v112
	v_dot4c_i32_i8 v96, v128, v112
	;; [unrolled: 1-line block ×4, first 2 shown]
	v_fma_mix_f32 v29, v11, v3, v2 op_sel_hi:[1,0,0]
	v_mul_lo_u32 v2, v181, v27
	v_mul_lo_u32 v3, v222, v28
	v_dot4c_i32_i8 v95, v130, v113
	v_dot4c_i32_i8 v96, v131, v113
	;; [unrolled: 1-line block ×5, first 2 shown]
	v_mul_lo_u32 v116, v223, v17
	v_cvt_f32_i32_e32 v2, v2
	v_cvt_f32_i32_e32 v3, v3
	v_dot4c_i32_i8 v172, v131, v117
	v_mul_lo_u32 v118, v213, v17
	v_mul_lo_u32 v119, v220, v24
	v_fma_mix_f32 v2, v8, v2, 0 op_sel_hi:[1,0,0]
	v_mul_lo_u32 v120, v211, v24
	v_cvt_f32_i32_e32 v116, v116
	v_mul_lo_u32 v121, v215, v28
	v_mul_lo_u32 v122, v209, v28
	v_fma_mix_f32 v30, v9, v3, v2 op_sel_hi:[1,0,0]
	ds_read_u16 v2, v4 offset:26112
	ds_read_u16 v4, v4 offset:26120
	v_cvt_f32_i32_e32 v118, v118
	v_cvt_f32_i32_e32 v119, v119
	;; [unrolled: 1-line block ×5, first 2 shown]
	v_mul_lo_u32 v96, v96, v27
	v_mul_lo_u32 v134, v205, v24
	;; [unrolled: 1-line block ×4, first 2 shown]
	v_add_nc_u32_e32 v92, 32, v92
	s_add_i32 s11, s9, 8
	s_add_i32 s9, s9, 16
	s_cmp_lt_u32 s9, 24
	s_mov_b32 s9, s11
	v_cvt_f32_i32_e32 v7, v7
	s_waitcnt lgkmcnt(1)
	v_and_b32_e32 v31, 0xff, v2
	v_and_b32_sdwa v32, v169, v2 dst_sel:DWORD dst_unused:UNUSED_PAD src0_sel:DWORD src1_sel:BYTE_1
	s_waitcnt lgkmcnt(0)
	v_cvt_f32_ubyte0_e32 v36, v4
	v_cvt_f32_ubyte1_e32 v37, v4
	v_fma_mix_f32 v4, v33, v8, 0 op_sel:[0,1,0] op_sel_hi:[0,1,0]
	v_mul_lo_u32 v2, v197, v31
	v_mul_lo_u32 v3, v227, v32
	;; [unrolled: 1-line block ×4, first 2 shown]
	v_fma_mix_f32 v72, v1, v9, v4 op_sel:[0,1,0] op_sel_hi:[0,1,0]
	v_fma_mix_f32 v4, v33, v10, 0 op_sel:[0,1,0] op_sel_hi:[0,1,0]
	v_mul_lo_u32 v124, v208, v32
	v_mul_lo_u32 v93, v93, v31
	v_cvt_f32_i32_e32 v2, v2
	v_cvt_f32_i32_e32 v3, v3
	v_fma_mix_f32 v73, v1, v11, v4 op_sel:[0,1,0] op_sel_hi:[0,1,0]
	v_fma_mix_f32 v4, v34, v8, 0 op_sel:[0,1,0] op_sel_hi:[0,1,0]
	v_cvt_f32_i32_e32 v5, v5
	v_fma_mix_f32 v2, v10, v2, 0 op_sel_hi:[1,0,0]
	v_cvt_f32_i32_e32 v123, v123
	v_cvt_f32_i32_e32 v124, v124
	v_fma_mix_f32 v98, v35, v9, v4 op_sel:[0,1,0] op_sel_hi:[0,1,0]
	v_fma_mix_f32 v4, v34, v10, 0 op_sel:[0,1,0] op_sel_hi:[0,1,0]
	v_fma_mix_f32 v2, v11, v3, v2 op_sel_hi:[1,0,0]
	v_mul_lo_u32 v3, v180, v31
	v_mul_lo_u32 v6, v6, v32
	v_fma_mix_f32 v99, v35, v11, v4 op_sel:[0,1,0] op_sel_hi:[0,1,0]
	v_fma_mix_f32 v4, v36, v8, 0 op_sel:[0,1,0] op_sel_hi:[0,1,0]
	v_cvt_f32_i32_e32 v3, v3
	v_fma_mix_f32 v4, v37, v9, v4 op_sel:[0,1,0] op_sel_hi:[0,1,0]
	v_cvt_f32_i32_e32 v6, v6
	v_fma_mix_f32 v3, v8, v3, 0 op_sel_hi:[1,0,0]
	v_fma_mix_f32 v8, v70, v8, 0 op_sel:[0,1,0] op_sel_hi:[0,1,0]
	v_mul_f32_e32 v4, v4, v81
	v_fma_mix_f32 v3, v9, v5, v3 op_sel_hi:[1,0,0]
	v_fma_mix_f32 v101, v71, v9, v8 op_sel:[0,1,0] op_sel_hi:[0,1,0]
	v_fma_mix_f32 v8, v70, v10, 0 op_sel:[0,1,0] op_sel_hi:[0,1,0]
	v_mul_lo_u32 v9, v228, v17
	v_fma_mix_f32 v5, v36, v10, 0 op_sel:[0,1,0] op_sel_hi:[0,1,0]
	v_mul_lo_u32 v10, v210, v32
	;; [unrolled: 2-line block ×3, first 2 shown]
	v_fma_mix_f32 v5, v37, v11, v5 op_sel:[0,1,0] op_sel_hi:[0,1,0]
	v_fma_mix_f32 v11, v36, v14, 0 op_sel:[0,1,0] op_sel_hi:[0,1,0]
	v_cvt_f32_i32_e32 v9, v9
	v_cvt_f32_i32_e32 v10, v10
	v_mul_f32_e32 v5, v5, v89
	v_fma_mix_f32 v11, v37, v15, v11 op_sel:[0,1,0] op_sel_hi:[0,1,0]
	v_cvt_f32_i32_e32 v8, v8
	v_fma_f32 v2, v2, v88, -v5
	v_fma_mix_f32 v8, v8, v14, 0 op_sel_hi:[0,1,0]
	v_add_f32_e32 v67, v67, v2
	v_fma_mix_f32 v103, v9, v15, v8 op_sel_hi:[0,1,0]
	v_mul_lo_u32 v8, v190, v16
	v_mul_lo_u32 v9, v218, v17
	v_cvt_f32_i32_e32 v8, v8
	v_cvt_f32_i32_e32 v9, v9
	v_fma_mix_f32 v8, v8, v12, 0 op_sel_hi:[0,1,0]
	v_fma_mix_f32 v104, v9, v13, v8 op_sel_hi:[0,1,0]
	v_mul_lo_u32 v8, v196, v23
	v_mul_lo_u32 v9, v224, v24
	v_cvt_f32_i32_e32 v8, v8
	v_cvt_f32_i32_e32 v9, v9
	v_fma_mix_f32 v8, v8, v14, 0 op_sel_hi:[0,1,0]
	v_fma_mix_f32 v105, v9, v15, v8 op_sel_hi:[0,1,0]
	v_mul_lo_u32 v8, v188, v23
	v_mul_lo_u32 v9, v216, v24
	;; [unrolled: 1-line block ×3, first 2 shown]
	v_cvt_f32_i32_e32 v8, v8
	v_cvt_f32_i32_e32 v9, v9
	;; [unrolled: 1-line block ×3, first 2 shown]
	v_fma_mix_f32 v8, v8, v12, 0 op_sel_hi:[0,1,0]
	v_fma_mix_f32 v106, v9, v13, v8 op_sel_hi:[0,1,0]
	v_mul_lo_u32 v8, v193, v27
	v_mul_lo_u32 v9, v221, v28
	v_cvt_f32_i32_e32 v8, v8
	v_cvt_f32_i32_e32 v9, v9
	v_fma_mix_f32 v8, v8, v14, 0 op_sel_hi:[0,1,0]
	v_fma_mix_f32 v107, v9, v15, v8 op_sel_hi:[0,1,0]
	v_mul_lo_u32 v8, v182, v27
	v_mul_lo_u32 v9, v212, v28
	;; [unrolled: 1-line block ×3, first 2 shown]
	v_cvt_f32_i32_e32 v8, v8
	v_cvt_f32_i32_e32 v9, v9
	;; [unrolled: 1-line block ×3, first 2 shown]
	v_fma_mix_f32 v8, v8, v12, 0 op_sel_hi:[0,1,0]
	v_fma_mix_f32 v108, v9, v13, v8 op_sel_hi:[0,1,0]
	v_mul_lo_u32 v8, v191, v31
	v_mul_lo_u32 v9, v219, v32
	v_cvt_f32_i32_e32 v8, v8
	v_cvt_f32_i32_e32 v9, v9
	v_fma_mix_f32 v8, v8, v14, 0 op_sel_hi:[0,1,0]
	v_fma_mix_f32 v8, v9, v15, v8 op_sel_hi:[0,1,0]
	v_mul_lo_u32 v9, v178, v31
	v_cvt_f32_i32_e32 v9, v9
	v_fma_mix_f32 v9, v9, v12, 0 op_sel_hi:[0,1,0]
	v_fma_mix_f32 v9, v10, v13, v9 op_sel_hi:[0,1,0]
	v_fma_mix_f32 v10, v33, v12, 0 op_sel:[0,1,0] op_sel_hi:[0,1,0]
	v_fma_mix_f32 v110, v1, v13, v10 op_sel:[0,1,0] op_sel_hi:[0,1,0]
	;; [unrolled: 1-line block ×14, first 2 shown]
	v_mul_lo_u32 v12, v194, v16
	v_cvt_f32_i32_e32 v117, v12
	ds_read2_b64 v[12:15], v75 offset0:64 offset1:80
	s_waitcnt lgkmcnt(0)
	v_fma_mix_f32 v117, v117, v14, 0 op_sel_hi:[0,1,0]
	v_fma_mix_f32 v126, v34, v12, 0 op_sel:[0,1,0] op_sel_hi:[0,1,0]
	v_fma_mix_f32 v128, v36, v12, 0 op_sel:[0,1,0] op_sel_hi:[0,1,0]
	v_fma_mix_f32 v125, v33, v14, 0 op_sel:[0,1,0] op_sel_hi:[0,1,0]
	v_fma_mix_f32 v127, v34, v14, 0 op_sel:[0,1,0] op_sel_hi:[0,1,0]
	v_fma_mix_f32 v116, v116, v15, v117 op_sel_hi:[0,1,0]
	v_mul_lo_u32 v117, v183, v16
	v_fma_mix_f32 v129, v36, v14, 0 op_sel:[0,1,0] op_sel_hi:[0,1,0]
	v_fma_mix_f32 v125, v1, v15, v125 op_sel:[0,1,0] op_sel_hi:[0,1,0]
	;; [unrolled: 1-line block ×6, first 2 shown]
	v_cvt_f32_i32_e32 v117, v117
	v_fma_mix_f32 v117, v117, v12, 0 op_sel_hi:[0,1,0]
	v_fma_mix_f32 v117, v118, v13, v117 op_sel_hi:[0,1,0]
	v_mul_lo_u32 v118, v192, v23
	v_cvt_f32_i32_e32 v118, v118
	v_fma_mix_f32 v118, v118, v14, 0 op_sel_hi:[0,1,0]
	v_fma_mix_f32 v118, v119, v15, v118 op_sel_hi:[0,1,0]
	v_mul_lo_u32 v119, v179, v23
	v_mul_lo_u32 v23, v171, v23
	v_cvt_f32_i32_e32 v119, v119
	v_cvt_f32_i32_e32 v23, v23
	v_fma_mix_f32 v119, v119, v12, 0 op_sel_hi:[0,1,0]
	v_fma_mix_f32 v119, v120, v13, v119 op_sel_hi:[0,1,0]
	v_mul_lo_u32 v120, v185, v27
	v_cvt_f32_i32_e32 v120, v120
	v_fma_mix_f32 v120, v120, v14, 0 op_sel_hi:[0,1,0]
	v_fma_mix_f32 v120, v121, v15, v120 op_sel_hi:[0,1,0]
	v_mul_lo_u32 v121, v177, v27
	v_mul_lo_u32 v27, v172, v27
	v_cvt_f32_i32_e32 v121, v121
	;; [unrolled: 10-line block ×3, first 2 shown]
	v_fma_mix_f32 v123, v123, v12, 0 op_sel_hi:[0,1,0]
	v_fma_mix_f32 v123, v124, v13, v123 op_sel_hi:[0,1,0]
	v_fma_mix_f32 v124, v33, v12, 0 op_sel:[0,1,0] op_sel_hi:[0,1,0]
	v_fma_mix_f32 v12, v70, v12, 0 op_sel:[0,1,0] op_sel_hi:[0,1,0]
	;; [unrolled: 1-line block ×6, first 2 shown]
	ds_read2_b64 v[12:15], v75 offset0:96 offset1:112
	v_add_nc_u32_e32 v75, 8, v75
	s_waitcnt lgkmcnt(0)
	v_fma_mix_f32 v132, v33, v12, 0 op_sel:[0,1,0] op_sel_hi:[0,1,0]
	v_fma_mix_f32 v33, v33, v14, 0 op_sel:[0,1,0] op_sel_hi:[0,1,0]
	v_fma_mix_f32 v27, v27, v14, 0 op_sel_hi:[0,1,0]
	v_fma_mix_f32 v23, v23, v14, 0 op_sel_hi:[0,1,0]
	v_fma_mix_f32 v132, v1, v13, v132 op_sel:[0,1,0] op_sel_hi:[0,1,0]
	v_fma_mix_f32 v1, v1, v15, v33 op_sel:[0,1,0] op_sel_hi:[0,1,0]
	;; [unrolled: 1-line block ×4, first 2 shown]
	v_fma_mix_f32 v24, v24, v15, v27 op_sel_hi:[0,1,0]
	v_cvt_f32_i32_e32 v27, v96
	v_mul_f32_e32 v1, v1, v85
	v_fma_mix_f32 v33, v35, v13, v33 op_sel:[0,1,0] op_sel_hi:[0,1,0]
	v_fma_mix_f32 v34, v35, v15, v34 op_sel:[0,1,0] op_sel_hi:[0,1,0]
	;; [unrolled: 1-line block ×4, first 2 shown]
	v_fma_mix_f32 v27, v27, v12, 0 op_sel_hi:[0,1,0]
	v_fma_mix_f32 v35, v37, v13, v35 op_sel:[0,1,0] op_sel_hi:[0,1,0]
	v_fma_mix_f32 v36, v37, v15, v36 op_sel:[0,1,0] op_sel_hi:[0,1,0]
	;; [unrolled: 1-line block ×4, first 2 shown]
	v_fma_mix_f32 v27, v28, v13, v27 op_sel_hi:[0,1,0]
	v_cvt_f32_i32_e32 v28, v31
	v_mul_f32_e32 v31, v132, v77
	v_fma_mix_f32 v37, v71, v13, v37 op_sel:[0,1,0] op_sel_hi:[0,1,0]
	v_fma_mix_f32 v70, v71, v15, v70 op_sel:[0,1,0] op_sel_hi:[0,1,0]
	v_mul_lo_u32 v71, v94, v16
	v_mul_lo_u32 v94, v207, v17
	;; [unrolled: 1-line block ×4, first 2 shown]
	v_cvt_f32_i32_e32 v71, v71
	v_cvt_f32_i32_e32 v94, v94
	;; [unrolled: 1-line block ×4, first 2 shown]
	v_fma_mix_f32 v71, v71, v12, 0 op_sel_hi:[0,1,0]
	v_fma_mix_f32 v16, v16, v14, 0 op_sel_hi:[0,1,0]
	;; [unrolled: 1-line block ×4, first 2 shown]
	v_mul_lo_u32 v71, v204, v32
	v_cvt_f32_i32_e32 v32, v134
	v_fma_mix_f32 v16, v94, v15, v16 op_sel_hi:[0,1,0]
	v_fma_f32 v17, v17, v76, -v31
	v_mul_f32_e32 v31, v131, v91
	v_fma_mix_f32 v23, v32, v15, v23 op_sel_hi:[0,1,0]
	v_cvt_f32_i32_e32 v32, v95
	v_cvt_f32_i32_e32 v28, v71
	v_fma_f32 v1, v16, v84, -v1
	v_mul_f32_e32 v16, v101, v83
	v_add_f32_e32 v38, v38, v17
	v_fma_mix_f32 v32, v32, v12, 0 op_sel_hi:[0,1,0]
	v_fma_mix_f32 v14, v28, v15, v14 op_sel_hi:[0,1,0]
	v_cvt_f32_i32_e32 v15, v93
	v_add_f32_e32 v39, v39, v1
	v_mul_f32_e32 v1, v33, v79
	v_fma_mix_f32 v7, v7, v13, v32 op_sel_hi:[0,1,0]
	v_mul_f32_e32 v28, v125, v85
	v_fma_mix_f32 v12, v15, v12, 0 op_sel_hi:[0,1,0]
	v_mul_f32_e32 v15, v110, v77
	v_fma_f32 v16, v30, v82, -v16
	v_fma_f32 v1, v7, v78, -v1
	v_mul_f32_e32 v7, v34, v87
	v_fma_mix_f32 v6, v6, v13, v12 op_sel_hi:[0,1,0]
	v_mul_f32_e32 v12, v72, v77
	v_mul_f32_e32 v13, v73, v85
	v_fma_f32 v15, v104, v76, -v15
	v_fma_f32 v28, v116, v84, -v28
	;; [unrolled: 1-line block ×5, first 2 shown]
	v_mul_f32_e32 v21, v111, v85
	v_mul_f32_e32 v22, v124, v77
	v_add_f32_e32 v60, v60, v15
	v_add_f32_e32 v18, v18, v12
	;; [unrolled: 1-line block ×3, first 2 shown]
	v_mul_f32_e32 v12, v98, v79
	v_mul_f32_e32 v13, v99, v87
	;; [unrolled: 1-line block ×3, first 2 shown]
	v_fma_f32 v21, v103, v84, -v21
	v_fma_f32 v22, v117, v76, -v22
	;; [unrolled: 1-line block ×4, first 2 shown]
	v_mul_f32_e32 v25, v102, v91
	v_fma_f32 v15, v106, v78, -v15
	v_add_f32_e32 v61, v61, v21
	v_mul_f32_e32 v21, v113, v87
	v_mul_f32_e32 v26, v114, v83
	v_fma_f32 v25, v29, v90, -v25
	v_mul_f32_e32 v29, v115, v91
	v_add_f32_e32 v51, v51, v28
	v_add_f32_e32 v50, v50, v22
	v_mul_f32_e32 v22, v126, v79
	v_mul_f32_e32 v28, v127, v87
	;; [unrolled: 1-line block ×5, first 2 shown]
	v_add_f32_e32 v65, v65, v13
	v_add_f32_e32 v64, v64, v12
	;; [unrolled: 1-line block ×4, first 2 shown]
	v_mul_f32_e32 v7, v10, v81
	v_mul_f32_e32 v10, v11, v89
	;; [unrolled: 1-line block ×6, first 2 shown]
	v_fma_f32 v21, v105, v86, -v21
	v_fma_f32 v26, v108, v82, -v26
	;; [unrolled: 1-line block ×9, first 2 shown]
	v_add_f32_e32 v40, v40, v1
	v_fma_f32 v1, v3, v80, -v4
	v_fma_f32 v3, v9, v80, -v7
	;; [unrolled: 1-line block ×7, first 2 shown]
	v_add_f32_e32 v69, v69, v25
	v_add_f32_e32 v68, v68, v16
	;; [unrolled: 1-line block ×18, first 2 shown]
	s_cbranch_scc1 .LBB152_8
; %bb.9:                                ;   in Loop: Header=BB152_5 Depth=1
	v_mov_b32_e32 v1, v133
	v_mov_b32_e32 v37, v135
	;; [unrolled: 1-line block ×14, first 2 shown]
	s_add_i32 s15, s15, 1
	s_cmp_eq_u32 s15, s4
	s_barrier
	buffer_gl0_inv
	s_cbranch_scc0 .LBB152_5
; %bb.10:
	v_cvt_f16_f32_e32 v2, v19
	v_cvt_f16_f32_e32 v3, v18
	;; [unrolled: 1-line block ×6, first 2 shown]
	v_pack_b32_f16 v20, v3, v2
	v_cvt_f16_f32_e32 v2, v66
	v_cvt_f16_f32_e32 v3, v69
	v_pack_b32_f16 v19, v5, v4
	v_cvt_f16_f32_e32 v4, v59
	v_cvt_f16_f32_e32 v5, v58
	v_pack_b32_f16 v18, v2, v6
	v_pack_b32_f16 v17, v7, v3
	v_cvt_f16_f32_e32 v6, v51
	v_cvt_f16_f32_e32 v7, v50
	v_pack_b32_f16 v13, v5, v4
	v_cvt_f16_f32_e32 v4, v39
	v_cvt_f16_f32_e32 v5, v38
	;; [unrolled: 1-line block ×3, first 2 shown]
	v_pack_b32_f16 v12, v7, v6
	v_cvt_f16_f32_e32 v6, v41
	v_cvt_f16_f32_e32 v7, v40
	v_pack_b32_f16 v5, v5, v4
	v_cvt_f16_f32_e32 v9, v60
	v_cvt_f16_f32_e32 v10, v63
	;; [unrolled: 1-line block ×3, first 2 shown]
	v_pack_b32_f16 v4, v7, v6
	buffer_load_dword v6, off, s[20:23], 0 offset:276 ; 4-byte Folded Reload
	v_pack_b32_f16 v16, v9, v8
	v_cvt_f16_f32_e32 v2, v57
	v_pack_b32_f16 v15, v11, v10
	v_cvt_f16_f32_e32 v3, v56
	v_cvt_f16_f32_e32 v8, v53
	;; [unrolled: 1-line block ×5, first 2 shown]
	v_pack_b32_f16 v14, v3, v2
	v_cvt_f16_f32_e32 v2, v49
	v_pack_b32_f16 v11, v9, v8
	v_cvt_f16_f32_e32 v3, v48
	;; [unrolled: 2-line block ×3, first 2 shown]
	v_cvt_f16_f32_e32 v21, v42
	v_cvt_f16_f32_e32 v22, v45
	;; [unrolled: 1-line block ×3, first 2 shown]
	v_pack_b32_f16 v9, v3, v2
	v_pack_b32_f16 v3, v21, v8
	;; [unrolled: 1-line block ×3, first 2 shown]
.LBB152_11:
	s_mov_b32 s0, exec_lo
	s_waitcnt vmcnt(0)
	v_cmpx_gt_u32_e64 s10, v6
	s_cbranch_execz .LBB152_62
; %bb.12:
	v_add_nc_u32_e32 v0, s6, v0
	v_mul_lo_u32 v21, v6, s14
	v_cmp_gt_u32_e32 vcc_lo, s14, v0
	s_and_saveexec_b32 s1, vcc_lo
	s_cbranch_execz .LBB152_14
; %bb.13:
	v_add_nc_u32_e32 v6, v0, v21
	v_mov_b32_e32 v7, 0
	v_lshlrev_b64 v[6:7], 1, v[6:7]
	s_waitcnt lgkmcnt(0)
	v_add_co_u32 v6, s0, s12, v6
	v_add_co_ci_u32_e64 v7, null, s13, v7, s0
	global_store_short v[6:7], v20, off
.LBB152_14:
	s_or_b32 exec_lo, exec_lo, s1
	v_add_nc_u32_e32 v6, 32, v0
	v_cmp_gt_u32_e64 s0, s14, v6
	s_and_saveexec_b32 s2, s0
	s_cbranch_execz .LBB152_16
; %bb.15:
	v_add_nc_u32_e32 v7, v6, v21
	v_mov_b32_e32 v8, 0
	v_lshlrev_b64 v[7:8], 1, v[7:8]
	s_waitcnt lgkmcnt(0)
	v_add_co_u32 v7, s1, s12, v7
	v_add_co_ci_u32_e64 v8, null, s13, v8, s1
	global_store_short v[7:8], v19, off
.LBB152_16:
	s_or_b32 exec_lo, exec_lo, s2
	v_add_nc_u32_e32 v7, 64, v0
	v_cmp_gt_u32_e64 s1, s14, v7
	s_and_saveexec_b32 s3, s1
	;; [unrolled: 14-line block ×3, first 2 shown]
	s_cbranch_execz .LBB152_20
; %bb.19:
	v_add_nc_u32_e32 v21, v8, v21
	v_mov_b32_e32 v22, 0
	v_lshlrev_b64 v[21:22], 1, v[21:22]
	s_waitcnt lgkmcnt(0)
	v_add_co_u32 v21, s3, s12, v21
	v_add_co_ci_u32_e64 v22, null, s13, v22, s3
	global_store_short v[21:22], v17, off
.LBB152_20:
	s_or_b32 exec_lo, exec_lo, s4
	v_add3_u32 v21, v1, s7, 8
	v_cmp_gt_u32_e64 s3, s10, v21
	s_and_b32 exec_lo, exec_lo, s3
	s_cbranch_execz .LBB152_62
; %bb.21:
	v_mul_lo_u32 v21, v21, s14
	s_and_saveexec_b32 s4, vcc_lo
	s_cbranch_execnz .LBB152_63
; %bb.22:
	s_or_b32 exec_lo, exec_lo, s4
	s_and_saveexec_b32 s4, s0
	s_cbranch_execnz .LBB152_64
.LBB152_23:
	s_or_b32 exec_lo, exec_lo, s4
	s_and_saveexec_b32 s4, s1
	s_cbranch_execnz .LBB152_65
.LBB152_24:
	s_or_b32 exec_lo, exec_lo, s4
	s_and_saveexec_b32 s4, s2
	s_cbranch_execz .LBB152_26
.LBB152_25:
	v_add_nc_u32_e32 v18, v21, v8
	v_mov_b32_e32 v19, 0
	v_lshlrev_b64 v[18:19], 1, v[18:19]
	s_waitcnt lgkmcnt(0)
	v_add_co_u32 v18, s3, s12, v18
	v_add_co_ci_u32_e64 v19, null, s13, v19, s3
	global_store_short_d16_hi v[18:19], v17, off
.LBB152_26:
	s_or_b32 exec_lo, exec_lo, s4
	v_add3_u32 v17, v1, s7, 16
	v_cmp_gt_u32_e64 s3, s10, v17
	s_and_b32 exec_lo, exec_lo, s3
	s_cbranch_execz .LBB152_62
; %bb.27:
	v_mul_lo_u32 v17, v17, s14
	s_and_saveexec_b32 s4, vcc_lo
	s_cbranch_execnz .LBB152_66
; %bb.28:
	s_or_b32 exec_lo, exec_lo, s4
	s_and_saveexec_b32 s4, s0
	s_cbranch_execnz .LBB152_67
.LBB152_29:
	s_or_b32 exec_lo, exec_lo, s4
	s_and_saveexec_b32 s4, s1
	s_cbranch_execnz .LBB152_68
.LBB152_30:
	s_or_b32 exec_lo, exec_lo, s4
	s_and_saveexec_b32 s4, s2
	s_cbranch_execz .LBB152_32
.LBB152_31:
	v_add_nc_u32_e32 v17, v17, v8
	v_mov_b32_e32 v18, 0
	v_lshlrev_b64 v[17:18], 1, v[17:18]
	s_waitcnt lgkmcnt(0)
	v_add_co_u32 v17, s3, s12, v17
	v_add_co_ci_u32_e64 v18, null, s13, v18, s3
	global_store_short v[17:18], v13, off
.LBB152_32:
	s_or_b32 exec_lo, exec_lo, s4
	v_add3_u32 v17, v1, s7, 24
	v_cmp_gt_u32_e64 s3, s10, v17
	s_and_b32 exec_lo, exec_lo, s3
	s_cbranch_execz .LBB152_62
; %bb.33:
	v_mul_lo_u32 v17, v17, s14
	s_and_saveexec_b32 s4, vcc_lo
	s_cbranch_execnz .LBB152_69
; %bb.34:
	s_or_b32 exec_lo, exec_lo, s4
	s_and_saveexec_b32 s4, s0
	s_cbranch_execnz .LBB152_70
.LBB152_35:
	s_or_b32 exec_lo, exec_lo, s4
	s_and_saveexec_b32 s4, s1
	s_cbranch_execnz .LBB152_71
.LBB152_36:
	s_or_b32 exec_lo, exec_lo, s4
	s_and_saveexec_b32 s4, s2
	s_cbranch_execz .LBB152_38
.LBB152_37:
	v_add_nc_u32_e32 v14, v17, v8
	v_mov_b32_e32 v15, 0
	v_lshlrev_b64 v[14:15], 1, v[14:15]
	s_waitcnt lgkmcnt(0)
	v_add_co_u32 v14, s3, s12, v14
	v_add_co_ci_u32_e64 v15, null, s13, v15, s3
	global_store_short_d16_hi v[14:15], v13, off
.LBB152_38:
	s_or_b32 exec_lo, exec_lo, s4
	v_add3_u32 v13, v1, s7, 32
	v_cmp_gt_u32_e64 s3, s10, v13
	s_and_b32 exec_lo, exec_lo, s3
	s_cbranch_execz .LBB152_62
; %bb.39:
	v_mul_lo_u32 v13, v13, s14
	s_and_saveexec_b32 s4, vcc_lo
	s_cbranch_execnz .LBB152_72
; %bb.40:
	s_or_b32 exec_lo, exec_lo, s4
	s_and_saveexec_b32 s4, s0
	s_cbranch_execnz .LBB152_73
.LBB152_41:
	s_or_b32 exec_lo, exec_lo, s4
	s_and_saveexec_b32 s4, s1
	s_cbranch_execnz .LBB152_74
.LBB152_42:
	s_or_b32 exec_lo, exec_lo, s4
	s_and_saveexec_b32 s4, s2
	s_cbranch_execz .LBB152_44
.LBB152_43:
	v_add_nc_u32_e32 v13, v13, v8
	v_mov_b32_e32 v14, 0
	v_lshlrev_b64 v[13:14], 1, v[13:14]
	s_waitcnt lgkmcnt(0)
	v_add_co_u32 v13, s3, s12, v13
	v_add_co_ci_u32_e64 v14, null, s13, v14, s3
	global_store_short v[13:14], v9, off
.LBB152_44:
	s_or_b32 exec_lo, exec_lo, s4
	v_add3_u32 v13, v1, s7, 40
	v_cmp_gt_u32_e64 s3, s10, v13
	s_and_b32 exec_lo, exec_lo, s3
	s_cbranch_execz .LBB152_62
; %bb.45:
	v_mul_lo_u32 v13, v13, s14
	s_and_saveexec_b32 s4, vcc_lo
	s_cbranch_execnz .LBB152_75
; %bb.46:
	s_or_b32 exec_lo, exec_lo, s4
	s_and_saveexec_b32 s4, s0
	s_cbranch_execnz .LBB152_76
.LBB152_47:
	s_or_b32 exec_lo, exec_lo, s4
	s_and_saveexec_b32 s4, s1
	s_cbranch_execnz .LBB152_77
.LBB152_48:
	s_or_b32 exec_lo, exec_lo, s4
	s_and_saveexec_b32 s4, s2
	s_cbranch_execz .LBB152_50
.LBB152_49:
	v_add_nc_u32_e32 v10, v13, v8
	v_mov_b32_e32 v11, 0
	v_lshlrev_b64 v[10:11], 1, v[10:11]
	s_waitcnt lgkmcnt(0)
	v_add_co_u32 v10, s3, s12, v10
	v_add_co_ci_u32_e64 v11, null, s13, v11, s3
	global_store_short_d16_hi v[10:11], v9, off
.LBB152_50:
	s_or_b32 exec_lo, exec_lo, s4
	v_add3_u32 v9, v1, s7, 48
	v_cmp_gt_u32_e64 s3, s10, v9
	s_and_b32 exec_lo, exec_lo, s3
	s_cbranch_execz .LBB152_62
; %bb.51:
	v_mul_lo_u32 v9, v9, s14
	s_and_saveexec_b32 s4, vcc_lo
	s_cbranch_execnz .LBB152_78
; %bb.52:
	s_or_b32 exec_lo, exec_lo, s4
	s_and_saveexec_b32 s4, s0
	s_cbranch_execnz .LBB152_79
.LBB152_53:
	s_or_b32 exec_lo, exec_lo, s4
	s_and_saveexec_b32 s4, s1
	s_cbranch_execnz .LBB152_80
.LBB152_54:
	s_or_b32 exec_lo, exec_lo, s4
	s_and_saveexec_b32 s4, s2
	s_cbranch_execz .LBB152_56
.LBB152_55:
	v_add_nc_u32_e32 v9, v9, v8
	v_mov_b32_e32 v10, 0
	v_lshlrev_b64 v[9:10], 1, v[9:10]
	s_waitcnt lgkmcnt(0)
	v_add_co_u32 v9, s3, s12, v9
	v_add_co_ci_u32_e64 v10, null, s13, v10, s3
	global_store_short v[9:10], v2, off
.LBB152_56:
	s_or_b32 exec_lo, exec_lo, s4
	v_add3_u32 v1, v1, s7, 56
	v_cmp_gt_u32_e64 s3, s10, v1
	s_and_b32 exec_lo, exec_lo, s3
	s_cbranch_execz .LBB152_62
; %bb.57:
	v_mul_lo_u32 v1, v1, s14
	s_and_saveexec_b32 s3, vcc_lo
	s_cbranch_execnz .LBB152_81
; %bb.58:
	s_or_b32 exec_lo, exec_lo, s3
	s_and_saveexec_b32 s3, s0
	s_cbranch_execnz .LBB152_82
.LBB152_59:
	s_or_b32 exec_lo, exec_lo, s3
	s_and_saveexec_b32 s0, s1
	s_cbranch_execnz .LBB152_83
.LBB152_60:
	s_or_b32 exec_lo, exec_lo, s0
	s_and_b32 exec_lo, exec_lo, s2
	s_cbranch_execz .LBB152_62
.LBB152_61:
	v_add_nc_u32_e32 v0, v1, v8
	v_mov_b32_e32 v1, 0
	v_lshlrev_b64 v[0:1], 1, v[0:1]
	s_waitcnt lgkmcnt(0)
	v_add_co_u32 v0, vcc_lo, s12, v0
	v_add_co_ci_u32_e64 v1, null, s13, v1, vcc_lo
	global_store_short_d16_hi v[0:1], v2, off
.LBB152_62:
	s_endpgm
.LBB152_63:
	v_add_nc_u32_e32 v22, v21, v0
	v_mov_b32_e32 v23, 0
	v_lshlrev_b64 v[22:23], 1, v[22:23]
	s_waitcnt lgkmcnt(0)
	v_add_co_u32 v22, s3, s12, v22
	v_add_co_ci_u32_e64 v23, null, s13, v23, s3
	global_store_short_d16_hi v[22:23], v20, off
	s_or_b32 exec_lo, exec_lo, s4
	s_and_saveexec_b32 s4, s0
	s_cbranch_execz .LBB152_23
.LBB152_64:
	v_add_nc_u32_e32 v22, v21, v6
	v_mov_b32_e32 v23, 0
	v_lshlrev_b64 v[22:23], 1, v[22:23]
	s_waitcnt lgkmcnt(0)
	v_add_co_u32 v22, s3, s12, v22
	v_add_co_ci_u32_e64 v23, null, s13, v23, s3
	global_store_short_d16_hi v[22:23], v19, off
	s_or_b32 exec_lo, exec_lo, s4
	s_and_saveexec_b32 s4, s1
	s_cbranch_execz .LBB152_24
.LBB152_65:
	v_add_nc_u32_e32 v19, v21, v7
	v_mov_b32_e32 v20, 0
	v_lshlrev_b64 v[19:20], 1, v[19:20]
	s_waitcnt lgkmcnt(0)
	v_add_co_u32 v19, s3, s12, v19
	v_add_co_ci_u32_e64 v20, null, s13, v20, s3
	global_store_short_d16_hi v[19:20], v18, off
	s_or_b32 exec_lo, exec_lo, s4
	s_and_saveexec_b32 s4, s2
	s_cbranch_execnz .LBB152_25
	s_branch .LBB152_26
.LBB152_66:
	v_add_nc_u32_e32 v18, v17, v0
	v_mov_b32_e32 v19, 0
	v_lshlrev_b64 v[18:19], 1, v[18:19]
	s_waitcnt lgkmcnt(0)
	v_add_co_u32 v18, s3, s12, v18
	v_add_co_ci_u32_e64 v19, null, s13, v19, s3
	global_store_short v[18:19], v16, off
	s_or_b32 exec_lo, exec_lo, s4
	s_and_saveexec_b32 s4, s0
	s_cbranch_execz .LBB152_29
.LBB152_67:
	v_add_nc_u32_e32 v18, v17, v6
	v_mov_b32_e32 v19, 0
	v_lshlrev_b64 v[18:19], 1, v[18:19]
	s_waitcnt lgkmcnt(0)
	v_add_co_u32 v18, s3, s12, v18
	v_add_co_ci_u32_e64 v19, null, s13, v19, s3
	global_store_short v[18:19], v15, off
	s_or_b32 exec_lo, exec_lo, s4
	s_and_saveexec_b32 s4, s1
	s_cbranch_execz .LBB152_30
.LBB152_68:
	v_add_nc_u32_e32 v18, v17, v7
	v_mov_b32_e32 v19, 0
	v_lshlrev_b64 v[18:19], 1, v[18:19]
	s_waitcnt lgkmcnt(0)
	v_add_co_u32 v18, s3, s12, v18
	v_add_co_ci_u32_e64 v19, null, s13, v19, s3
	global_store_short v[18:19], v14, off
	s_or_b32 exec_lo, exec_lo, s4
	s_and_saveexec_b32 s4, s2
	s_cbranch_execnz .LBB152_31
	s_branch .LBB152_32
.LBB152_69:
	v_add_nc_u32_e32 v18, v17, v0
	v_mov_b32_e32 v19, 0
	v_lshlrev_b64 v[18:19], 1, v[18:19]
	s_waitcnt lgkmcnt(0)
	v_add_co_u32 v18, s3, s12, v18
	v_add_co_ci_u32_e64 v19, null, s13, v19, s3
	global_store_short_d16_hi v[18:19], v16, off
	s_or_b32 exec_lo, exec_lo, s4
	s_and_saveexec_b32 s4, s0
	s_cbranch_execz .LBB152_35
.LBB152_70:
	v_add_nc_u32_e32 v18, v17, v6
	v_mov_b32_e32 v19, 0
	v_lshlrev_b64 v[18:19], 1, v[18:19]
	s_waitcnt lgkmcnt(0)
	v_add_co_u32 v18, s3, s12, v18
	v_add_co_ci_u32_e64 v19, null, s13, v19, s3
	global_store_short_d16_hi v[18:19], v15, off
	s_or_b32 exec_lo, exec_lo, s4
	s_and_saveexec_b32 s4, s1
	s_cbranch_execz .LBB152_36
.LBB152_71:
	v_add_nc_u32_e32 v15, v17, v7
	v_mov_b32_e32 v16, 0
	v_lshlrev_b64 v[15:16], 1, v[15:16]
	s_waitcnt lgkmcnt(0)
	v_add_co_u32 v15, s3, s12, v15
	v_add_co_ci_u32_e64 v16, null, s13, v16, s3
	global_store_short_d16_hi v[15:16], v14, off
	s_or_b32 exec_lo, exec_lo, s4
	s_and_saveexec_b32 s4, s2
	s_cbranch_execnz .LBB152_37
	s_branch .LBB152_38
.LBB152_72:
	v_add_nc_u32_e32 v14, v13, v0
	v_mov_b32_e32 v15, 0
	v_lshlrev_b64 v[14:15], 1, v[14:15]
	s_waitcnt lgkmcnt(0)
	v_add_co_u32 v14, s3, s12, v14
	v_add_co_ci_u32_e64 v15, null, s13, v15, s3
	global_store_short v[14:15], v12, off
	s_or_b32 exec_lo, exec_lo, s4
	s_and_saveexec_b32 s4, s0
	s_cbranch_execz .LBB152_41
.LBB152_73:
	v_add_nc_u32_e32 v14, v13, v6
	v_mov_b32_e32 v15, 0
	v_lshlrev_b64 v[14:15], 1, v[14:15]
	s_waitcnt lgkmcnt(0)
	v_add_co_u32 v14, s3, s12, v14
	v_add_co_ci_u32_e64 v15, null, s13, v15, s3
	global_store_short v[14:15], v11, off
	s_or_b32 exec_lo, exec_lo, s4
	s_and_saveexec_b32 s4, s1
	s_cbranch_execz .LBB152_42
.LBB152_74:
	v_add_nc_u32_e32 v14, v13, v7
	v_mov_b32_e32 v15, 0
	v_lshlrev_b64 v[14:15], 1, v[14:15]
	s_waitcnt lgkmcnt(0)
	v_add_co_u32 v14, s3, s12, v14
	v_add_co_ci_u32_e64 v15, null, s13, v15, s3
	global_store_short v[14:15], v10, off
	s_or_b32 exec_lo, exec_lo, s4
	s_and_saveexec_b32 s4, s2
	s_cbranch_execnz .LBB152_43
	s_branch .LBB152_44
.LBB152_75:
	v_add_nc_u32_e32 v14, v13, v0
	v_mov_b32_e32 v15, 0
	v_lshlrev_b64 v[14:15], 1, v[14:15]
	s_waitcnt lgkmcnt(0)
	v_add_co_u32 v14, s3, s12, v14
	v_add_co_ci_u32_e64 v15, null, s13, v15, s3
	global_store_short_d16_hi v[14:15], v12, off
	s_or_b32 exec_lo, exec_lo, s4
	s_and_saveexec_b32 s4, s0
	s_cbranch_execz .LBB152_47
.LBB152_76:
	v_add_nc_u32_e32 v14, v13, v6
	v_mov_b32_e32 v15, 0
	v_lshlrev_b64 v[14:15], 1, v[14:15]
	s_waitcnt lgkmcnt(0)
	v_add_co_u32 v14, s3, s12, v14
	v_add_co_ci_u32_e64 v15, null, s13, v15, s3
	global_store_short_d16_hi v[14:15], v11, off
	s_or_b32 exec_lo, exec_lo, s4
	s_and_saveexec_b32 s4, s1
	s_cbranch_execz .LBB152_48
.LBB152_77:
	v_add_nc_u32_e32 v11, v13, v7
	v_mov_b32_e32 v12, 0
	v_lshlrev_b64 v[11:12], 1, v[11:12]
	s_waitcnt lgkmcnt(0)
	v_add_co_u32 v11, s3, s12, v11
	v_add_co_ci_u32_e64 v12, null, s13, v12, s3
	global_store_short_d16_hi v[11:12], v10, off
	s_or_b32 exec_lo, exec_lo, s4
	s_and_saveexec_b32 s4, s2
	s_cbranch_execnz .LBB152_49
	s_branch .LBB152_50
.LBB152_78:
	v_add_nc_u32_e32 v10, v9, v0
	v_mov_b32_e32 v11, 0
	v_lshlrev_b64 v[10:11], 1, v[10:11]
	s_waitcnt lgkmcnt(0)
	v_add_co_u32 v10, s3, s12, v10
	v_add_co_ci_u32_e64 v11, null, s13, v11, s3
	global_store_short v[10:11], v5, off
	s_or_b32 exec_lo, exec_lo, s4
	s_and_saveexec_b32 s4, s0
	s_cbranch_execz .LBB152_53
.LBB152_79:
	v_add_nc_u32_e32 v10, v9, v6
	v_mov_b32_e32 v11, 0
	v_lshlrev_b64 v[10:11], 1, v[10:11]
	s_waitcnt lgkmcnt(0)
	v_add_co_u32 v10, s3, s12, v10
	v_add_co_ci_u32_e64 v11, null, s13, v11, s3
	global_store_short v[10:11], v4, off
	s_or_b32 exec_lo, exec_lo, s4
	s_and_saveexec_b32 s4, s1
	s_cbranch_execz .LBB152_54
.LBB152_80:
	v_add_nc_u32_e32 v10, v9, v7
	v_mov_b32_e32 v11, 0
	v_lshlrev_b64 v[10:11], 1, v[10:11]
	s_waitcnt lgkmcnt(0)
	v_add_co_u32 v10, s3, s12, v10
	v_add_co_ci_u32_e64 v11, null, s13, v11, s3
	global_store_short v[10:11], v3, off
	s_or_b32 exec_lo, exec_lo, s4
	s_and_saveexec_b32 s4, s2
	s_cbranch_execnz .LBB152_55
	s_branch .LBB152_56
.LBB152_81:
	v_add_nc_u32_e32 v9, v1, v0
	v_mov_b32_e32 v10, 0
	v_lshlrev_b64 v[9:10], 1, v[9:10]
	s_waitcnt lgkmcnt(0)
	v_add_co_u32 v9, vcc_lo, s12, v9
	v_add_co_ci_u32_e64 v10, null, s13, v10, vcc_lo
	global_store_short_d16_hi v[9:10], v5, off
	s_or_b32 exec_lo, exec_lo, s3
	s_and_saveexec_b32 s3, s0
	s_cbranch_execz .LBB152_59
.LBB152_82:
	v_add_nc_u32_e32 v5, v1, v6
	v_mov_b32_e32 v6, 0
	v_lshlrev_b64 v[5:6], 1, v[5:6]
	s_waitcnt lgkmcnt(0)
	v_add_co_u32 v5, vcc_lo, s12, v5
	v_add_co_ci_u32_e64 v6, null, s13, v6, vcc_lo
	global_store_short_d16_hi v[5:6], v4, off
	s_or_b32 exec_lo, exec_lo, s3
	s_and_saveexec_b32 s0, s1
	s_cbranch_execz .LBB152_60
.LBB152_83:
	v_add_nc_u32_e32 v4, v1, v7
	v_mov_b32_e32 v5, 0
	v_lshlrev_b64 v[4:5], 1, v[4:5]
	s_waitcnt lgkmcnt(0)
	v_add_co_u32 v4, vcc_lo, s12, v4
	v_add_co_ci_u32_e64 v5, null, s13, v5, vcc_lo
	global_store_short_d16_hi v[4:5], v3, off
	s_or_b32 exec_lo, exec_lo, s0
	s_and_b32 exec_lo, exec_lo, s2
	s_cbranch_execnz .LBB152_61
	s_branch .LBB152_62
	.section	.rodata,"a",@progbits
	.p2align	6, 0x0
	.amdhsa_kernel _ZL12mul_mat_q4_KIN3c104HalfELb1EEvPKvS3_PT_iiiii
		.amdhsa_group_segment_fixed_size 28752
		.amdhsa_private_segment_fixed_size 284
		.amdhsa_kernarg_size 44
		.amdhsa_user_sgpr_count 6
		.amdhsa_user_sgpr_private_segment_buffer 1
		.amdhsa_user_sgpr_dispatch_ptr 0
		.amdhsa_user_sgpr_queue_ptr 0
		.amdhsa_user_sgpr_kernarg_segment_ptr 1
		.amdhsa_user_sgpr_dispatch_id 0
		.amdhsa_user_sgpr_flat_scratch_init 0
		.amdhsa_user_sgpr_private_segment_size 0
		.amdhsa_wavefront_size32 1
		.amdhsa_uses_dynamic_stack 0
		.amdhsa_system_sgpr_private_segment_wavefront_offset 1
		.amdhsa_system_sgpr_workgroup_id_x 1
		.amdhsa_system_sgpr_workgroup_id_y 1
		.amdhsa_system_sgpr_workgroup_id_z 0
		.amdhsa_system_sgpr_workgroup_info 0
		.amdhsa_system_vgpr_workitem_id 1
		.amdhsa_next_free_vgpr 256
		.amdhsa_next_free_sgpr 24
		.amdhsa_reserve_vcc 1
		.amdhsa_reserve_flat_scratch 0
		.amdhsa_float_round_mode_32 0
		.amdhsa_float_round_mode_16_64 0
		.amdhsa_float_denorm_mode_32 3
		.amdhsa_float_denorm_mode_16_64 3
		.amdhsa_dx10_clamp 1
		.amdhsa_ieee_mode 1
		.amdhsa_fp16_overflow 0
		.amdhsa_workgroup_processor_mode 1
		.amdhsa_memory_ordered 1
		.amdhsa_forward_progress 1
		.amdhsa_shared_vgpr_count 0
		.amdhsa_exception_fp_ieee_invalid_op 0
		.amdhsa_exception_fp_denorm_src 0
		.amdhsa_exception_fp_ieee_div_zero 0
		.amdhsa_exception_fp_ieee_overflow 0
		.amdhsa_exception_fp_ieee_underflow 0
		.amdhsa_exception_fp_ieee_inexact 0
		.amdhsa_exception_int_div_zero 0
	.end_amdhsa_kernel
	.section	.text._ZL12mul_mat_q4_KIN3c104HalfELb1EEvPKvS3_PT_iiiii,"axG",@progbits,_ZL12mul_mat_q4_KIN3c104HalfELb1EEvPKvS3_PT_iiiii,comdat
.Lfunc_end152:
	.size	_ZL12mul_mat_q4_KIN3c104HalfELb1EEvPKvS3_PT_iiiii, .Lfunc_end152-_ZL12mul_mat_q4_KIN3c104HalfELb1EEvPKvS3_PT_iiiii
                                        ; -- End function
	.set _ZL12mul_mat_q4_KIN3c104HalfELb1EEvPKvS3_PT_iiiii.num_vgpr, 256
	.set _ZL12mul_mat_q4_KIN3c104HalfELb1EEvPKvS3_PT_iiiii.num_agpr, 0
	.set _ZL12mul_mat_q4_KIN3c104HalfELb1EEvPKvS3_PT_iiiii.numbered_sgpr, 24
	.set _ZL12mul_mat_q4_KIN3c104HalfELb1EEvPKvS3_PT_iiiii.num_named_barrier, 0
	.set _ZL12mul_mat_q4_KIN3c104HalfELb1EEvPKvS3_PT_iiiii.private_seg_size, 284
	.set _ZL12mul_mat_q4_KIN3c104HalfELb1EEvPKvS3_PT_iiiii.uses_vcc, 1
	.set _ZL12mul_mat_q4_KIN3c104HalfELb1EEvPKvS3_PT_iiiii.uses_flat_scratch, 0
	.set _ZL12mul_mat_q4_KIN3c104HalfELb1EEvPKvS3_PT_iiiii.has_dyn_sized_stack, 0
	.set _ZL12mul_mat_q4_KIN3c104HalfELb1EEvPKvS3_PT_iiiii.has_recursion, 0
	.set _ZL12mul_mat_q4_KIN3c104HalfELb1EEvPKvS3_PT_iiiii.has_indirect_call, 0
	.section	.AMDGPU.csdata,"",@progbits
; Kernel info:
; codeLenInByte = 20204
; TotalNumSgprs: 26
; NumVgprs: 256
; ScratchSize: 284
; MemoryBound: 0
; FloatMode: 240
; IeeeMode: 1
; LDSByteSize: 28752 bytes/workgroup (compile time only)
; SGPRBlocks: 0
; VGPRBlocks: 31
; NumSGPRsForWavesPerEU: 26
; NumVGPRsForWavesPerEU: 256
; Occupancy: 4
; WaveLimiterHint : 0
; COMPUTE_PGM_RSRC2:SCRATCH_EN: 1
; COMPUTE_PGM_RSRC2:USER_SGPR: 6
; COMPUTE_PGM_RSRC2:TRAP_HANDLER: 0
; COMPUTE_PGM_RSRC2:TGID_X_EN: 1
; COMPUTE_PGM_RSRC2:TGID_Y_EN: 1
; COMPUTE_PGM_RSRC2:TGID_Z_EN: 0
; COMPUTE_PGM_RSRC2:TIDIG_COMP_CNT: 1
	.section	.text._ZL12mul_mat_q5_KIN3c104HalfELb0EEvPKvS3_PT_iiiii,"axG",@progbits,_ZL12mul_mat_q5_KIN3c104HalfELb0EEvPKvS3_PT_iiiii,comdat
	.globl	_ZL12mul_mat_q5_KIN3c104HalfELb0EEvPKvS3_PT_iiiii ; -- Begin function _ZL12mul_mat_q5_KIN3c104HalfELb0EEvPKvS3_PT_iiiii
	.p2align	8
	.type	_ZL12mul_mat_q5_KIN3c104HalfELb0EEvPKvS3_PT_iiiii,@function
_ZL12mul_mat_q5_KIN3c104HalfELb0EEvPKvS3_PT_iiiii: ; @_ZL12mul_mat_q5_KIN3c104HalfELb0EEvPKvS3_PT_iiiii
; %bb.0:
	s_clause 0x1
	s_load_dword s14, s[4:5], 0x18
	s_load_dwordx4 s[8:11], s[4:5], 0x20
	s_lshl_b32 s7, s7, 6
	v_add_nc_u32_e32 v37, s7, v1
	s_waitcnt lgkmcnt(0)
	s_cmpk_gt_i32 s14, 0xff
	s_cbranch_scc1 .LBB153_2
; %bb.1:
	v_add_nc_u32_e32 v6, s7, v1
	s_mov_b32 s0, 0
	s_branch .LBB153_3
.LBB153_2:
	s_mov_b32 s0, -1
                                        ; implicit-def: $vgpr6
.LBB153_3:
	s_load_dwordx2 s[12:13], s[4:5], 0x10
	v_mov_b32_e32 v2, 0
	v_mov_b32_e32 v9, 0
	;; [unrolled: 1-line block ×16, first 2 shown]
	s_lshl_b32 s6, s6, 7
	s_andn2_b32 vcc_lo, exec_lo, s0
	s_mov_b32 s11, 0
	s_cbranch_vccnz .LBB153_11
; %bb.4:
	s_load_dwordx4 s[0:3], s[4:5], 0x0
	s_ashr_i32 s4, s14, 31
	s_ashr_i32 s5, s9, 31
	s_lshr_b32 s4, s4, 24
	s_lshr_b32 s5, s5, 27
	s_add_i32 s14, s14, s4
	s_add_i32 s5, s9, s5
	s_ashr_i32 s4, s14, 8
	v_lshrrev_b32_e32 v6, 2, v0
	s_mul_i32 s9, s4, s6
	v_and_b32_e32 v7, 7, v0
	s_ashr_i32 s14, s5, 5
	s_mul_i32 s5, s9, 0xb0
	v_lshlrev_b32_e32 v8, 3, v1
	v_add_nc_u32_e32 v9, 8, v37
	v_add_nc_u32_e32 v10, 16, v37
	;; [unrolled: 1-line block ×7, first 2 shown]
	s_mul_hi_i32 s9, s9, 0xb0
	s_waitcnt lgkmcnt(0)
	s_add_u32 s5, s0, s5
	s_addc_u32 s9, s1, s9
	s_add_i32 s15, s8, -1
	v_cvt_f64_u32_e32 v[4:5], v37
	v_and_b32_e32 v49, 6, v6
	v_lshlrev_b32_e32 v31, 2, v7
	v_add_nc_u32_e32 v33, v6, v8
	v_add_nc_u16 v36, v6, v8
	v_cvt_f64_u32_e32 v[6:7], v9
	v_cvt_f64_u32_e32 v[8:9], v10
	;; [unrolled: 1-line block ×5, first 2 shown]
	v_cvt_f64_i32_e32 v[16:17], s15
	v_cvt_f64_u32_e32 v[18:19], v18
	v_cvt_f64_u32_e32 v[20:21], v20
	s_lshl_b32 s1, s4, 3
	v_lshlrev_b32_e32 v42, 5, v1
	v_mad_i32_i24 v40, s4, v1, s1
	v_lshlrev_b32_e32 v23, 3, v0
	v_mul_u32_u24_e32 v22, 0x41, v1
	v_and_b32_e32 v3, 3, v0
	v_add_nc_u32_e32 v32, v42, v0
	v_add_nc_u32_e32 v41, s1, v40
	v_and_or_b32 v23, 0xc0, v23, v31
	v_lshrrev_b32_e32 v38, 5, v0
	v_add_nc_u32_e32 v34, 0xfe, v3
	v_and_b32_e32 v31, 0x7f, v32
	v_add_nc_u32_e32 v43, s1, v41
	v_lshrrev_b32_e32 v32, 3, v32
	v_lshl_add_u32 v59, v22, 2, v23
	v_and_b32_e32 v34, 0xff, v34
	v_lshlrev_b32_e32 v23, 2, v31
	v_add_nc_u32_e32 v44, s1, v43
	v_and_b32_e32 v22, 12, v32
	v_min_f64 v[4:5], v[4:5], v[16:17]
	v_min_f64 v[6:7], v[6:7], v[16:17]
	;; [unrolled: 1-line block ×8, first 2 shown]
	v_add_nc_u32_e32 v45, s1, v44
	v_add3_u32 v62, v23, v22, 0xae40
	v_and_b32_e32 v23, 0x7f, v33
	v_lshlrev_b32_e32 v32, 2, v3
	v_cmp_gt_u32_e64 s0, 2, v3
	v_add_nc_u32_e32 v48, s1, v45
	v_cmp_lt_u32_e32 vcc_lo, 1, v3
	v_xor_b32_e32 v69, 64, v23
	v_mul_i32_i24_e32 v60, s4, v31
	v_cndmask_b32_e64 v31, v34, v3, s0
	v_add_nc_u32_e32 v50, s1, v48
	v_cmp_ne_u32_e64 s0, 0, v3
	v_lshrrev_b32_e32 v20, 1, v69
	v_mul_i32_i24_e32 v68, s4, v69
	v_cvt_i32_f64_e32 v21, v[4:5]
	v_cvt_i32_f64_e32 v6, v[6:7]
	;; [unrolled: 1-line block ×6, first 2 shown]
	v_add_nc_u32_e32 v51, s1, v50
	v_cvt_i32_f64_e32 v14, v[16:17]
	v_and_b32_e32 v5, 63, v33
	v_lshl_or_b32 v4, v69, 4, v32
	v_and_b32_e32 v8, 60, v20
	v_add_nc_u32_e32 v52, s1, v51
	v_lshlrev_b32_e32 v39, 2, v0
	v_or_b32_e32 v12, s7, v5
	v_lshlrev_b32_e32 v15, 2, v38
	v_add3_u32 v69, v4, v8, 0xa200
	v_cvt_i32_f64_e32 v8, v[18:19]
	v_add_nc_u32_e32 v53, s1, v52
	v_min_i32_e32 v4, s15, v12
	v_lshl_or_b32 v12, v5, 4, v32
	v_mov_b32_e32 v2, 0
	v_add_nc_u32_e32 v24, 8, v1
	v_add_nc_u32_e32 v56, s1, v53
	v_mad_u64_u32 v[4:5], null, v4, s14, v[3:4]
	v_add_nc_u32_e32 v3, 32, v0
	v_add_nc_u32_e32 v25, 16, v1
	v_mul_lo_u32 v77, s14, v13
	v_add_nc_u32_e32 v13, 64, v0
	v_mul_lo_u32 v79, s14, v14
	v_add_nc_u32_e32 v14, 0x60, v0
	v_add_nc_u32_e32 v58, s1, v56
	v_lshrrev_b32_e32 v80, 3, v3
	v_lshrrev_b32_e32 v81, 3, v13
	v_add_nc_u32_e32 v26, 24, v1
	v_lshrrev_b32_e32 v82, 3, v14
	v_add_nc_u32_e32 v61, s1, v58
	v_add_nc_u32_e32 v27, 32, v1
	;; [unrolled: 1-line block ×5, first 2 shown]
	v_and_b32_e32 v35, 4, v39
	v_lshrrev_b16 v34, 1, v36
	v_and_b32_e32 v10, 31, v0
	v_and_b32_e32 v17, 60, v80
	v_add3_u32 v83, v39, v15, 0xae40
	v_and_b32_e32 v15, 60, v81
	v_lshlrev_b32_e32 v18, 2, v3
	v_and_b32_e32 v3, 60, v82
	v_and_b32_e32 v47, 28, v39
	v_add_nc_u32_e32 v63, s1, v61
	v_cndmask_b32_e32 v57, 0, v35, vcc_lo
	v_add_co_ci_u32_e64 v22, null, 0, v31, s0
	v_cndmask_b32_e64 v35, 0, 1, vcc_lo
	v_lshl_or_b32 v36, v23, 4, v32
	v_and_b32_e32 v34, 60, v34
	v_lshl_or_b32 v10, v10, 2, 0x8200
	v_add_nc_u32_e32 v70, 0xaa40, v12
	v_lshlrev_b32_e32 v5, 7, v1
	v_mul_lo_u32 v73, s14, v6
	v_lshlrev_b32_e32 v6, 7, v24
	v_mul_lo_u32 v74, s14, v7
	;; [unrolled: 2-line block ×4, first 2 shown]
	v_lshlrev_b32_e32 v11, 7, v27
	v_lshlrev_b32_e32 v12, 7, v28
	v_mul_lo_u32 v78, s14, v8
	v_lshlrev_b32_e32 v8, 7, v29
	v_lshlrev_b32_e32 v16, 7, v30
	v_add3_u32 v84, v39, v17, 0xae40
	v_lshlrev_b32_e32 v17, 2, v13
	v_add3_u32 v85, v39, v15, 0xae40
	v_lshlrev_b32_e32 v15, 2, v14
	v_add3_u32 v86, v39, v3, 0xae40
	s_movk_i32 s0, 0x2080
	v_mov_b32_e32 v3, v2
	v_mad_u32_u24 v95, 0x104, v0, s0
	s_movk_i32 s0, 0x4100
	v_mul_lo_u32 v72, s14, v21
	v_add_nc_u32_e32 v64, s1, v63
	s_movk_i32 s1, 0x6180
	v_mad_u32_u24 v96, 0x104, v0, s0
	v_add_co_u32 v13, s0, s2, v47
	v_lshlrev_b32_e32 v65, 1, v31
	v_mul_i32_i24_e32 v66, s4, v23
	v_add3_u32 v67, v36, v34, 0xa200
	v_lshlrev_b32_e32 v87, 5, v24
	v_lshlrev_b32_e32 v88, 5, v25
	;; [unrolled: 1-line block ×9, first 2 shown]
	v_add_nc_u32_e32 v100, v10, v5
	v_add_nc_u32_e32 v101, v10, v6
	;; [unrolled: 1-line block ×8, first 2 shown]
	v_lshlrev_b32_e32 v124, 2, v18
	v_lshlrev_b32_e32 v125, 2, v17
	;; [unrolled: 1-line block ×3, first 2 shown]
	v_mov_b32_e32 v28, v3
	v_mov_b32_e32 v18, v3
	;; [unrolled: 1-line block ×15, first 2 shown]
	v_and_b32_e32 v46, 0x7c, v39
	v_mul_i32_i24_e32 v54, s4, v1
	v_or_b32_e32 v55, 1, v49
	v_lshrrev_b32_e32 v71, 3, v0
	v_mul_u32_u24_e32 v94, 0x104, v0
	v_mad_u32_u24 v97, 0x104, v0, s1
	v_add_co_ci_u32_e64 v14, null, s3, 0, s0
	v_add_nc_u32_e32 v108, 0x800, v59
	v_add_nc_u32_e32 v109, 0x1000, v59
	;; [unrolled: 1-line block ×15, first 2 shown]
	v_mov_b32_e32 v123, 0xffff
	v_mov_b32_e32 v27, v2
	;; [unrolled: 1-line block ×16, first 2 shown]
.LBB153_5:                              ; =>This Loop Header: Depth=1
                                        ;     Child Loop BB153_6 Depth 2
                                        ;     Child Loop BB153_8 Depth 2
	s_mul_i32 s0, s11, 0xb0
	s_mul_hi_u32 s1, s11, 0xb0
	s_add_u32 s0, s5, s0
	s_addc_u32 s1, s9, s1
	s_mov_b32 s14, 0
	v_mad_u64_u32 v[127:128], null, 0xb0, v38, s[0:1]
	v_mad_u64_u32 v[129:130], null, 0xb0, v54, v[127:128]
	;; [unrolled: 1-line block ×5, first 2 shown]
	v_add_co_u32 v133, vcc_lo, v129, v46
	v_add_co_ci_u32_e64 v134, null, 0, v130, vcc_lo
	v_add_co_u32 v129, vcc_lo, v129, v47
	v_add_co_ci_u32_e64 v130, null, 0, v130, vcc_lo
	;; [unrolled: 2-line block ×6, first 2 shown]
	v_add_co_u32 v143, vcc_lo, v139, v46
	v_mad_u64_u32 v[145:146], null, 0xb0, v44, v[127:128]
	v_add_co_ci_u32_e64 v144, null, 0, v140, vcc_lo
	v_add_co_u32 v139, vcc_lo, v139, v47
	v_add_co_ci_u32_e64 v140, null, 0, v140, vcc_lo
	s_clause 0x7
	global_load_dword v151, v[133:134], off offset:48
	global_load_dword v152, v[129:130], off offset:16
	;; [unrolled: 1-line block ×8, first 2 shown]
	v_mad_u64_u32 v[131:132], null, 0xb0, v45, v[127:128]
	v_add_co_u32 v129, vcc_lo, v145, v46
	v_mad_u64_u32 v[135:136], null, 0xb0, v48, v[127:128]
	v_add_co_ci_u32_e64 v130, null, 0, v146, vcc_lo
	v_add_co_u32 v133, vcc_lo, v145, v47
	v_add_co_ci_u32_e64 v134, null, 0, v146, vcc_lo
	v_add_co_u32 v137, vcc_lo, v131, v46
	v_mad_u64_u32 v[141:142], null, 0xb0, v50, v[127:128]
	v_add_co_ci_u32_e64 v138, null, 0, v132, vcc_lo
	v_add_co_u32 v131, vcc_lo, v131, v47
	v_add_co_ci_u32_e64 v132, null, 0, v132, vcc_lo
	;; [unrolled: 5-line block ×3, first 2 shown]
	v_add_co_u32 v145, vcc_lo, v141, v46
	v_add_co_ci_u32_e64 v146, null, 0, v142, vcc_lo
	v_add_co_u32 v141, vcc_lo, v141, v47
	v_add_co_ci_u32_e64 v142, null, 0, v142, vcc_lo
	v_add_co_u32 v147, vcc_lo, v143, v46
	v_mad_u64_u32 v[149:150], null, 0xb0, v52, v[127:128]
	v_add_co_ci_u32_e64 v148, null, 0, v144, vcc_lo
	v_add_co_u32 v143, vcc_lo, v143, v47
	v_add_co_ci_u32_e64 v144, null, 0, v144, vcc_lo
	s_clause 0x9
	global_load_dword v159, v[129:130], off offset:48
	global_load_dword v160, v[133:134], off offset:16
	;; [unrolled: 1-line block ×10, first 2 shown]
	v_mad_u64_u32 v[129:130], null, 0xb0, v53, v[127:128]
	v_add_co_u32 v131, vcc_lo, v149, v46
	v_add_co_ci_u32_e64 v132, null, 0, v150, vcc_lo
	v_add_co_u32 v133, vcc_lo, v149, v47
	v_add_co_ci_u32_e64 v134, null, 0, v150, vcc_lo
	;; [unrolled: 2-line block ×4, first 2 shown]
	s_clause 0x3
	global_load_dword v149, v[131:132], off offset:48
	global_load_dword v150, v[133:134], off offset:16
	;; [unrolled: 1-line block ×4, first 2 shown]
	v_mad_u64_u32 v[129:130], null, 0xb0, v56, v[127:128]
	v_mad_u64_u32 v[133:134], null, 0xb0, v58, v[127:128]
	;; [unrolled: 1-line block ×4, first 2 shown]
	v_add_co_u32 v131, vcc_lo, v129, v46
	v_add_co_ci_u32_e64 v132, null, 0, v130, vcc_lo
	v_add_co_u32 v129, vcc_lo, v129, v47
	v_add_co_ci_u32_e64 v130, null, 0, v130, vcc_lo
	s_clause 0x1
	global_load_dword v169, v[131:132], off offset:48
	global_load_dword v170, v[129:130], off offset:16
	v_mad_u64_u32 v[129:130], null, 0xb0, v61, v[127:128]
	v_add_co_u32 v131, vcc_lo, v133, v46
	v_add_co_ci_u32_e64 v132, null, 0, v134, vcc_lo
	v_add_co_u32 v133, vcc_lo, v133, v47
	v_add_co_ci_u32_e64 v134, null, 0, v134, vcc_lo
	v_add_co_u32 v135, vcc_lo, v129, v46
	v_mad_u64_u32 v[127:128], null, 0xb0, v64, v[127:128]
	v_add_co_ci_u32_e64 v136, null, 0, v130, vcc_lo
	v_add_co_u32 v129, vcc_lo, v129, v47
	v_add_co_ci_u32_e64 v130, null, 0, v130, vcc_lo
	v_add_co_u32 v139, vcc_lo, v137, v46
	;; [unrolled: 2-line block ×5, first 2 shown]
	v_add_co_ci_u32_e64 v128, null, 0, v128, vcc_lo
	s_clause 0x7
	global_load_dword v171, v[131:132], off offset:48
	global_load_dword v172, v[133:134], off offset:16
	;; [unrolled: 1-line block ×8, first 2 shown]
	v_mad_u64_u32 v[129:130], null, 0xb0, v68, s[0:1]
	v_mad_u64_u32 v[127:128], null, 0xb0, v60, s[0:1]
	v_add_co_u32 v131, vcc_lo, v143, v98
	s_lshl_b32 s0, s11, 3
	v_add_co_ci_u32_e64 v132, null, 0, v144, vcc_lo
	v_add_co_u32 v133, vcc_lo, v143, v99
	v_add_nc_u32_e32 v139, s0, v71
	v_add_co_ci_u32_e64 v134, null, 0, v144, vcc_lo
	v_add_co_u32 v135, vcc_lo, v129, v98
	v_add_co_ci_u32_e64 v136, null, 0, v130, vcc_lo
	v_add_co_u32 v129, vcc_lo, v129, v99
	v_add_nc_u32_e32 v137, v139, v72
	v_add_co_ci_u32_e64 v130, null, 0, v130, vcc_lo
	s_clause 0x4
	global_load_dword v179, v[127:128], off
	global_load_dword v131, v[131:132], off offset:4
	global_load_dword v180, v[133:134], off offset:4
	;; [unrolled: 1-line block ×4, first 2 shown]
	v_add_nc_u32_e32 v129, v139, v73
	v_add_nc_u32_e32 v133, v139, v74
	;; [unrolled: 1-line block ×3, first 2 shown]
	v_mad_i64_i32 v[127:128], null, v137, 36, v[13:14]
	v_add_nc_u32_e32 v137, v139, v76
	v_add_nc_u32_e32 v140, v139, v77
	v_mad_i64_i32 v[129:130], null, v129, 36, v[13:14]
	v_add_nc_u32_e32 v141, v139, v78
	v_mad_i64_i32 v[133:134], null, v133, 36, v[13:14]
	v_add_nc_u32_e32 v143, v139, v79
	v_add_nc_u32_e32 v132, s0, v4
	v_mad_i64_i32 v[135:136], null, v135, 36, v[13:14]
	v_mad_i64_i32 v[137:138], null, v137, 36, v[13:14]
	;; [unrolled: 1-line block ×5, first 2 shown]
	v_mad_u64_u32 v[145:146], null, v132, 36, s[2:3]
	s_clause 0x8
	global_load_dword v127, v[127:128], off offset:4
	global_load_dword v128, v[129:130], off offset:4
	;; [unrolled: 1-line block ×8, first 2 shown]
	global_load_dword v137, v[145:146], off
	s_mov_b32 s1, -1
	s_waitcnt vmcnt(45)
	v_lshrrev_b32_e32 v139, 4, v151
	s_waitcnt vmcnt(44)
	v_ashrrev_i32_e32 v140, v49, v152
	v_ashrrev_i32_e32 v141, v55, v152
	s_waitcnt vmcnt(43)
	v_lshrrev_b32_e32 v143, 4, v153
	s_waitcnt vmcnt(42)
	v_ashrrev_i32_e32 v144, v49, v154
	v_ashrrev_i32_e32 v145, v55, v154
	v_and_b32_e32 v138, 0xf0f0f0f, v151
	v_and_b32_e32 v142, 0xf0f0f0f, v153
	s_waitcnt vmcnt(41)
	v_lshrrev_b32_e32 v151, 4, v155
	s_waitcnt vmcnt(40)
	v_ashrrev_i32_e32 v152, v49, v156
	v_ashrrev_i32_e32 v153, v55, v156
	v_and_b32_e32 v146, 0xf0f0f0f, v155
	s_waitcnt vmcnt(39)
	v_and_b32_e32 v154, 0xf0f0f0f, v157
	v_lshrrev_b32_e32 v155, 4, v157
	s_waitcnt vmcnt(38)
	v_ashrrev_i32_e32 v156, v49, v158
	v_ashrrev_i32_e32 v157, v55, v158
	v_and_b32_e32 v139, 0xf0f0f0f, v139
	v_lshlrev_b32_e32 v140, 4, v140
	v_lshlrev_b32_e32 v141, 4, v141
	v_and_b32_e32 v143, 0xf0f0f0f, v143
	v_lshlrev_b32_e32 v144, 4, v144
	v_lshlrev_b32_e32 v145, 4, v145
	;; [unrolled: 3-line block ×4, first 2 shown]
	v_and_or_b32 v138, 0x10101010, v140, v138
	v_and_or_b32 v139, 0x10101010, v141, v139
	;; [unrolled: 1-line block ×8, first 2 shown]
	s_waitcnt vmcnt(37)
	v_and_b32_e32 v158, 0xf0f0f0f, v159
	v_lshrrev_b32_e32 v159, 4, v159
	s_waitcnt vmcnt(36)
	v_ashrrev_i32_e32 v183, v49, v160
	v_ashrrev_i32_e32 v160, v55, v160
	s_waitcnt vmcnt(35)
	v_and_b32_e32 v184, 0xf0f0f0f, v161
	v_lshrrev_b32_e32 v161, 4, v161
	s_waitcnt vmcnt(34)
	v_ashrrev_i32_e32 v185, v49, v162
	v_ashrrev_i32_e32 v162, v55, v162
	;; [unrolled: 6-line block ×5, first 2 shown]
	v_and_b32_e32 v159, 0xf0f0f0f, v159
	v_lshlrev_b32_e32 v183, 4, v183
	v_lshlrev_b32_e32 v160, 4, v160
	v_and_b32_e32 v161, 0xf0f0f0f, v161
	v_lshlrev_b32_e32 v185, 4, v185
	s_waitcnt vmcnt(27)
	v_and_b32_e32 v192, 0xf0f0f0f, v149
	v_lshrrev_b32_e32 v149, 4, v149
	s_waitcnt vmcnt(26)
	v_ashrrev_i32_e32 v193, v49, v150
	v_ashrrev_i32_e32 v150, v55, v150
	s_waitcnt vmcnt(24)
	v_ashrrev_i32_e32 v195, v49, v168
	v_lshlrev_b32_e32 v162, 4, v162
	v_and_b32_e32 v163, 0xf0f0f0f, v163
	v_lshlrev_b32_e32 v187, 4, v187
	v_lshlrev_b32_e32 v164, 4, v164
	v_and_b32_e32 v165, 0xf0f0f0f, v165
	v_lshlrev_b32_e32 v189, 4, v189
	;; [unrolled: 3-line block ×3, first 2 shown]
	v_lshlrev_b32_e32 v148, 4, v148
	v_lshrrev_b32_e32 v194, 4, v167
	v_ashrrev_i32_e32 v168, v55, v168
	v_and_or_b32 v146, 0x10101010, v183, v158
	v_and_or_b32 v151, 0x10101010, v160, v159
	v_and_b32_e32 v149, 0xf0f0f0f, v149
	v_lshlrev_b32_e32 v193, 4, v193
	v_and_or_b32 v152, 0x10101010, v185, v184
	v_and_or_b32 v153, 0x10101010, v162, v161
	;; [unrolled: 1-line block ×8, first 2 shown]
	ds_write2_b32 v59, v138, v139 offset1:8
	ds_write2_b32 v108, v140, v141 offset0:8 offset1:16
	ds_write2_b32 v109, v142, v143 offset0:16 offset1:24
	;; [unrolled: 1-line block ×8, first 2 shown]
	v_lshlrev_b32_e32 v138, 4, v150
	v_and_b32_e32 v139, 0xf0f0f0f, v167
	v_lshlrev_b32_e32 v140, 4, v195
	v_and_b32_e32 v141, 0xf0f0f0f, v194
	v_lshlrev_b32_e32 v142, 4, v168
	v_and_or_b32 v143, 0x10101010, v193, v192
	v_and_or_b32 v138, 0x10101010, v138, v149
	;; [unrolled: 1-line block ×3, first 2 shown]
	s_waitcnt vmcnt(22)
	v_ashrrev_i32_e32 v140, v49, v170
	v_lshrrev_b32_e32 v144, 4, v169
	v_ashrrev_i32_e32 v145, v55, v170
	v_and_or_b32 v141, 0x10101010, v142, v141
	v_and_b32_e32 v142, 0xf0f0f0f, v169
	v_lshlrev_b32_e32 v140, 4, v140
	ds_write2_b32 v116, v143, v138 offset0:72 offset1:80
	ds_write2_b32 v117, v139, v141 offset0:80 offset1:88
	v_and_b32_e32 v138, 0xf0f0f0f, v144
	v_lshlrev_b32_e32 v139, 4, v145
	v_and_or_b32 v140, 0x10101010, v140, v142
	s_waitcnt vmcnt(21)
	v_lshrrev_b32_e32 v142, 4, v171
	s_waitcnt vmcnt(20)
	v_ashrrev_i32_e32 v141, v49, v172
	v_ashrrev_i32_e32 v143, v55, v172
	v_and_or_b32 v138, 0x10101010, v139, v138
	v_and_b32_e32 v139, 0xf0f0f0f, v171
	v_and_b32_e32 v142, 0xf0f0f0f, v142
	v_lshlrev_b32_e32 v141, 4, v141
	v_lshlrev_b32_e32 v143, 4, v143
	ds_write2_b32 v118, v140, v138 offset0:88 offset1:96
	s_waitcnt vmcnt(18)
	v_ashrrev_i32_e32 v140, v49, v174
	s_waitcnt vmcnt(17)
	v_lshrrev_b32_e32 v144, 4, v175
	s_waitcnt vmcnt(16)
	v_ashrrev_i32_e32 v145, v49, v176
	v_ashrrev_i32_e32 v146, v55, v176
	v_lshrrev_b32_e32 v138, 4, v173
	v_and_or_b32 v139, 0x10101010, v141, v139
	v_and_or_b32 v141, 0x10101010, v143, v142
	v_and_b32_e32 v142, 0xf0f0f0f, v173
	v_ashrrev_i32_e32 v143, v55, v174
	v_lshlrev_b32_e32 v140, 4, v140
	v_and_b32_e32 v147, 0xf0f0f0f, v175
	v_and_b32_e32 v144, 0xf0f0f0f, v144
	v_lshlrev_b32_e32 v145, 4, v145
	v_lshlrev_b32_e32 v146, 4, v146
	v_and_b32_e32 v138, 0xf0f0f0f, v138
	v_lshlrev_b32_e32 v143, 4, v143
	ds_write2_b32 v119, v139, v141 offset0:96 offset1:104
	v_and_or_b32 v139, 0x10101010, v140, v142
	v_and_or_b32 v140, 0x10101010, v145, v147
	;; [unrolled: 1-line block ×3, first 2 shown]
	s_waitcnt vmcnt(15)
	v_lshrrev_b32_e32 v142, 4, v177
	s_waitcnt vmcnt(14)
	v_ashrrev_i32_e32 v144, v49, v178
	v_ashrrev_i32_e32 v145, v55, v178
	s_waitcnt vmcnt(12)
	v_ashrrev_i32_e32 v131, v57, v131
	s_waitcnt vmcnt(10)
	v_ashrrev_i32_e32 v146, v57, v181
	v_and_or_b32 v138, 0x10101010, v143, v138
	v_and_b32_e32 v143, 0xf0f0f0f, v177
	v_and_b32_e32 v142, 0xf0f0f0f, v142
	v_lshlrev_b32_e32 v144, 4, v144
	v_lshlrev_b32_e32 v145, 4, v145
	v_and_b32_e32 v131, 0xf0f0f0f, v131
	v_ashrrev_i32_e32 v147, v65, v180
	v_and_b32_e32 v146, 0xf0f0f0f, v146
	s_waitcnt vmcnt(9)
	v_ashrrev_i32_e32 v148, v65, v182
	v_and_or_b32 v143, 0x10101010, v144, v143
	v_and_or_b32 v142, 0x10101010, v145, v142
	;; [unrolled: 1-line block ×3, first 2 shown]
	ds_write2_b32 v120, v139, v138 offset0:104 offset1:112
	v_and_or_b32 v138, 0x30303030, v148, v146
	ds_write2_b32 v121, v140, v141 offset0:112 offset1:120
	ds_write2_b32 v122, v143, v142 offset0:120 offset1:128
	ds_write_b32 v62, v179
	ds_write_b32 v67, v131
	;; [unrolled: 1-line block ×3, first 2 shown]
	s_waitcnt vmcnt(8)
	ds_write_b32 v100, v127
	s_waitcnt vmcnt(7)
	ds_write_b32 v101, v128
	s_waitcnt vmcnt(6)
	ds_write_b32 v102, v129
	s_waitcnt vmcnt(5)
	ds_write_b32 v103, v130
	s_waitcnt vmcnt(4)
	ds_write_b32 v104, v133
	s_waitcnt vmcnt(3)
	ds_write_b32 v105, v134
	s_waitcnt vmcnt(2)
	ds_write_b32 v106, v135
	s_waitcnt vmcnt(1)
	ds_write_b32 v107, v136
	s_waitcnt vmcnt(0)
	ds_write_b32 v70, v137
	s_waitcnt lgkmcnt(0)
	s_barrier
	buffer_gl0_inv
	ds_read_b32 v127, v83
	ds_read_b32 v128, v84 offset:128
	ds_read_b32 v129, v85 offset:256
	;; [unrolled: 1-line block ×3, first 2 shown]
	s_waitcnt lgkmcnt(3)
	v_cvt_f32_f16_e32 v133, v127
	v_cvt_f32_f16_sdwa v134, v127 dst_sel:DWORD dst_unused:UNUSED_PAD src0_sel:WORD_1
	s_waitcnt lgkmcnt(2)
	v_cvt_f32_f16_e32 v135, v128
	v_cvt_f32_f16_sdwa v136, v128 dst_sel:DWORD dst_unused:UNUSED_PAD src0_sel:WORD_1
	s_waitcnt lgkmcnt(1)
	v_cvt_f32_f16_e32 v137, v129
	v_cvt_f32_f16_sdwa v138, v129 dst_sel:DWORD dst_unused:UNUSED_PAD src0_sel:WORD_1
	s_waitcnt lgkmcnt(0)
	v_cvt_f32_f16_e32 v139, v130
	v_cvt_f32_f16_sdwa v140, v130 dst_sel:DWORD dst_unused:UNUSED_PAD src0_sel:WORD_1
	v_mov_b32_e32 v141, v133
	v_mov_b32_e32 v142, v134
	;; [unrolled: 1-line block ×8, first 2 shown]
.LBB153_6:                              ;   Parent Loop BB153_5 Depth=1
                                        ; =>  This Inner Loop Header: Depth=2
	s_lshl_b32 s15, s14, 1
	s_lshl_b32 s16, s14, 3
	v_or_b32_e32 v127, s15, v42
	v_add_nc_u32_e32 v128, s16, v94
	v_add_nc_u32_e32 v190, s16, v95
	;; [unrolled: 1-line block ×4, first 2 shown]
	v_lshlrev_b32_e32 v185, 2, v127
	v_or_b32_e32 v150, s15, v87
	v_mov_b32_e32 v129, 0
	v_mov_b32_e32 v130, 0
	ds_read2_b32 v[193:194], v128 offset1:1
	ds_read_b128 v[152:155], v185 offset:33280
	ds_read2_b32 v[195:196], v190 offset1:1
	ds_read2_b32 v[197:198], v191 offset1:1
	ds_read2_b32 v[204:205], v190 offset0:2 offset1:3
	ds_read2_b32 v[202:203], v128 offset0:2 offset1:3
	ds_read2_b32 v[200:201], v192 offset1:1
	ds_read2_b32 v[208:209], v192 offset0:2 offset1:3
	ds_read2_b32 v[206:207], v191 offset0:2 offset1:3
	v_lshlrev_b32_e32 v199, 2, v150
	v_mov_b32_e32 v131, 0
	v_mov_b32_e32 v151, 0
	v_or_b32_e32 v158, s15, v89
	v_mov_b32_e32 v149, 0
	ds_read_b128 v[160:163], v199 offset:33280
	v_mov_b32_e32 v159, 0
	v_mov_b32_e32 v156, 0
	v_lshlrev_b32_e32 v220, 2, v158
	v_or_b32_e32 v177, s15, v92
	v_mov_b32_e32 v166, 0
	v_mov_b32_e32 v157, 0
	s_waitcnt lgkmcnt(8)
	v_dot4c_i32_i8 v129, v193, v152
	s_waitcnt lgkmcnt(7)
	v_dot4c_i32_i8 v130, v195, v152
	;; [unrolled: 2-line block ×3, first 2 shown]
	ds_read_b128 v[171:174], v220 offset:33280
	v_lshlrev_b32_e32 v225, 2, v177
	s_waitcnt lgkmcnt(4)
	v_dot4c_i32_i8 v151, v200, v152
	v_dot4c_i32_i8 v129, v194, v153
	;; [unrolled: 1-line block ×4, first 2 shown]
	v_mov_b32_e32 v152, 0
	v_dot4c_i32_i8 v151, v201, v153
	v_mov_b32_e32 v153, 0
	v_dot4c_i32_i8 v129, v202, v154
	s_waitcnt lgkmcnt(1)
	v_dot4c_i32_i8 v149, v193, v160
	v_dot4c_i32_i8 v159, v195, v160
	;; [unrolled: 1-line block ×11, first 2 shown]
	v_or_b32_e32 v154, s15, v88
	v_dot4c_i32_i8 v149, v202, v162
	v_dot4c_i32_i8 v159, v204, v162
	;; [unrolled: 1-line block ×4, first 2 shown]
	v_lshlrev_b32_e32 v215, 2, v154
	v_dot4c_i32_i8 v149, v203, v163
	v_dot4c_i32_i8 v159, v205, v163
	;; [unrolled: 1-line block ×4, first 2 shown]
	ds_read_b128 v[161:164], v215 offset:33280
	ds_read_b128 v[180:183], v225 offset:33280
	v_mov_b32_e32 v160, 0
	v_dot4c_i32_i8 v129, v203, v155
	v_dot4c_i32_i8 v130, v205, v155
	;; [unrolled: 1-line block ×4, first 2 shown]
	v_mov_b32_e32 v155, 0
	v_mov_b32_e32 v170, 0
	;; [unrolled: 1-line block ×3, first 2 shown]
	v_or_b32_e32 v184, s15, v93
	v_mov_b32_e32 v168, 0
	s_waitcnt lgkmcnt(2)
	v_dot4c_i32_i8 v155, v193, v171
	v_dot4c_i32_i8 v170, v195, v171
	;; [unrolled: 1-line block ×3, first 2 shown]
	v_lshlrev_b32_e32 v227, 2, v184
	v_or_b32_e32 v169, s15, v91
	v_dot4c_i32_i8 v155, v194, v172
	v_dot4c_i32_i8 v170, v196, v172
	;; [unrolled: 1-line block ×3, first 2 shown]
	s_waitcnt lgkmcnt(1)
	v_dot4c_i32_i8 v152, v193, v161
	v_dot4c_i32_i8 v166, v195, v161
	;; [unrolled: 1-line block ×9, first 2 shown]
	v_mov_b32_e32 v162, 0
	v_dot4c_i32_i8 v152, v202, v163
	v_dot4c_i32_i8 v166, v204, v163
	v_dot4c_i32_i8 v160, v206, v163
	v_dot4c_i32_i8 v157, v208, v163
	v_dot4c_i32_i8 v162, v200, v171
	v_or_b32_e32 v163, s15, v90
	v_dot4c_i32_i8 v170, v204, v173
	v_dot4c_i32_i8 v167, v206, v173
	;; [unrolled: 1-line block ×4, first 2 shown]
	v_lshlrev_b32_e32 v223, 2, v163
	v_dot4c_i32_i8 v170, v205, v174
	v_dot4c_i32_i8 v167, v207, v174
	v_mov_b32_e32 v161, 0
	v_dot4c_i32_i8 v162, v208, v173
	v_mov_b32_e32 v172, 0
	v_mov_b32_e32 v171, 0
	ds_read_b128 v[186:189], v227 offset:33280
	v_lshlrev_b32_e32 v224, 2, v169
	v_dot4c_i32_i8 v162, v209, v174
	ds_read_b128 v[173:176], v223 offset:33280
	v_dot4c_i32_i8 v152, v203, v164
	v_dot4c_i32_i8 v166, v205, v164
	v_dot4c_i32_i8 v160, v207, v164
	v_dot4c_i32_i8 v157, v209, v164
	v_mov_b32_e32 v165, 0
	v_mov_b32_e32 v164, 0
	v_mov_b32_e32 v178, 0
	v_mov_b32_e32 v179, 0
	v_mov_b32_e32 v226, 0
	v_mov_b32_e32 v222, 0
	v_mov_b32_e32 v221, 0
	v_mov_b32_e32 v219, 0
	v_mov_b32_e32 v218, 0
	v_mov_b32_e32 v217, 0
	v_mov_b32_e32 v216, 0
	v_mov_b32_e32 v214, 0
	v_mov_b32_e32 v213, 0
	v_mov_b32_e32 v211, 0
	v_mov_b32_e32 v212, 0
	s_waitcnt lgkmcnt(0)
	v_dot4c_i32_i8 v161, v193, v173
	v_dot4c_i32_i8 v172, v195, v173
	;; [unrolled: 1-line block ×4, first 2 shown]
	s_lshr_b32 s14, s14, 2
	v_dot4c_i32_i8 v161, v194, v174
	v_dot4c_i32_i8 v172, v196, v174
	;; [unrolled: 1-line block ×4, first 2 shown]
	s_add_i32 s14, s14, 0xa200
	v_dot4c_i32_i8 v161, v202, v175
	v_dot4c_i32_i8 v172, v204, v175
	;; [unrolled: 1-line block ×4, first 2 shown]
	v_lshrrev_b32_e32 v150, 1, v150
	v_dot4c_i32_i8 v161, v203, v176
	v_dot4c_i32_i8 v172, v205, v176
	;; [unrolled: 1-line block ×4, first 2 shown]
	ds_read_b128 v[173:176], v224 offset:33280
	s_and_b32 vcc_lo, exec_lo, s1
	s_mov_b32 s1, 0
	s_waitcnt lgkmcnt(0)
	v_dot4c_i32_i8 v165, v193, v173
	v_dot4c_i32_i8 v164, v195, v173
	v_dot4c_i32_i8 v178, v197, v173
	v_dot4c_i32_i8 v179, v200, v173
	v_mov_b32_e32 v173, 0
	v_dot4c_i32_i8 v165, v194, v174
	v_dot4c_i32_i8 v164, v196, v174
	v_dot4c_i32_i8 v178, v198, v174
	v_dot4c_i32_i8 v179, v201, v174
	v_mov_b32_e32 v174, 0
	;; [unrolled: 5-line block ×4, first 2 shown]
	v_dot4c_i32_i8 v173, v193, v180
	v_dot4c_i32_i8 v174, v195, v180
	;; [unrolled: 1-line block ×7, first 2 shown]
	v_mov_b32_e32 v180, 0
	v_dot4c_i32_i8 v176, v201, v181
	v_dot4c_i32_i8 v173, v202, v182
	;; [unrolled: 1-line block ×4, first 2 shown]
	v_mov_b32_e32 v181, 0
	v_dot4c_i32_i8 v176, v208, v182
	v_dot4c_i32_i8 v173, v203, v183
	;; [unrolled: 1-line block ×4, first 2 shown]
	v_mov_b32_e32 v182, 0
	v_dot4c_i32_i8 v176, v209, v183
	v_mov_b32_e32 v183, 0
	v_dot4c_i32_i8 v181, v197, v186
	v_dot4c_i32_i8 v180, v200, v186
	v_dot4c_i32_i8 v182, v195, v186
	v_mov_b32_e32 v195, 0
	v_dot4c_i32_i8 v183, v193, v186
	v_dot4c_i32_i8 v181, v198, v187
	v_dot4c_i32_i8 v180, v201, v187
	v_dot4c_i32_i8 v182, v196, v187
	v_mov_b32_e32 v201, 0
	v_dot4c_i32_i8 v183, v194, v187
	;; [unrolled: 5-line block ×4, first 2 shown]
	ds_read2_b32 v[209:210], v128 offset0:8 offset1:9
	ds_read_b128 v[186:189], v185 offset:33312
	ds_read2_b32 v[232:233], v190 offset0:8 offset1:9
	ds_read2_b32 v[234:235], v191 offset0:8 offset1:9
	;; [unrolled: 1-line block ×7, first 2 shown]
	v_mov_b32_e32 v204, 0
	v_mov_b32_e32 v198, 0
	;; [unrolled: 1-line block ×3, first 2 shown]
	ds_read_b128 v[228:231], v225 offset:33312
	v_mov_b32_e32 v193, 0
	v_mov_b32_e32 v202, 0
	;; [unrolled: 1-line block ×8, first 2 shown]
	s_waitcnt lgkmcnt(8)
	v_dot4c_i32_i8 v226, v209, v186
	s_waitcnt lgkmcnt(7)
	v_dot4c_i32_i8 v222, v232, v186
	;; [unrolled: 2-line block ×4, first 2 shown]
	v_dot4c_i32_i8 v226, v210, v187
	v_dot4c_i32_i8 v222, v233, v187
	;; [unrolled: 1-line block ×6, first 2 shown]
	s_waitcnt lgkmcnt(1)
	v_dot4c_i32_i8 v221, v242, v188
	v_dot4c_i32_i8 v219, v244, v188
	v_dot4c_i32_i8 v226, v239, v189
	v_dot4c_i32_i8 v222, v241, v189
	v_dot4c_i32_i8 v221, v243, v189
	v_dot4c_i32_i8 v219, v245, v189
	ds_read_b128 v[186:189], v199 offset:33312
	s_waitcnt lgkmcnt(0)
	v_dot4c_i32_i8 v218, v209, v186
	v_dot4c_i32_i8 v217, v232, v186
	v_dot4c_i32_i8 v216, v234, v186
	v_dot4c_i32_i8 v214, v236, v186
	v_dot4c_i32_i8 v218, v210, v187
	v_dot4c_i32_i8 v217, v233, v187
	v_dot4c_i32_i8 v216, v235, v187
	v_dot4c_i32_i8 v214, v237, v187
	v_dot4c_i32_i8 v218, v238, v188
	v_dot4c_i32_i8 v217, v240, v188
	v_dot4c_i32_i8 v216, v242, v188
	v_dot4c_i32_i8 v214, v244, v188
	v_dot4c_i32_i8 v218, v239, v189
	v_dot4c_i32_i8 v217, v241, v189
	v_dot4c_i32_i8 v216, v243, v189
	v_dot4c_i32_i8 v214, v245, v189
	ds_read_b128 v[186:189], v215 offset:33312
	s_waitcnt lgkmcnt(0)
	v_dot4c_i32_i8 v213, v209, v186
	v_dot4c_i32_i8 v211, v232, v186
	v_dot4c_i32_i8 v208, v234, v186
	v_dot4c_i32_i8 v206, v236, v186
	v_dot4c_i32_i8 v213, v210, v187
	v_dot4c_i32_i8 v211, v233, v187
	v_dot4c_i32_i8 v208, v235, v187
	v_dot4c_i32_i8 v206, v237, v187
	v_dot4c_i32_i8 v213, v238, v188
	v_dot4c_i32_i8 v211, v240, v188
	;; [unrolled: 18-line block ×4, first 2 shown]
	v_dot4c_i32_i8 v202, v242, v188
	v_dot4c_i32_i8 v205, v244, v188
	;; [unrolled: 1-line block ×6, first 2 shown]
	ds_read_b128 v[186:189], v224 offset:33312
	s_waitcnt lgkmcnt(0)
	v_dot4c_i32_i8 v203, v209, v186
	v_dot4c_i32_i8 v200, v232, v186
	v_dot4c_i32_i8 v197, v234, v186
	v_dot4c_i32_i8 v196, v236, v186
	v_mov_b32_e32 v186, 0
	v_dot4c_i32_i8 v203, v210, v187
	v_dot4c_i32_i8 v200, v233, v187
	v_dot4c_i32_i8 v197, v235, v187
	v_dot4c_i32_i8 v196, v237, v187
	v_mov_b32_e32 v187, 0
	v_dot4c_i32_i8 v203, v238, v188
	v_dot4c_i32_i8 v200, v240, v188
	v_dot4c_i32_i8 v197, v242, v188
	v_dot4c_i32_i8 v196, v244, v188
	v_mov_b32_e32 v188, 0
	v_dot4c_i32_i8 v203, v239, v189
	v_dot4c_i32_i8 v200, v241, v189
	v_dot4c_i32_i8 v197, v243, v189
	v_dot4c_i32_i8 v196, v245, v189
	v_mov_b32_e32 v189, 0
	v_dot4c_i32_i8 v186, v209, v228
	v_dot4c_i32_i8 v187, v232, v228
	;; [unrolled: 1-line block ×16, first 2 shown]
	ds_read_b128 v[228:231], v227 offset:33312
	s_waitcnt lgkmcnt(0)
	v_dot4c_i32_i8 v212, v209, v228
	v_mov_b32_e32 v209, 0
	v_dot4c_i32_i8 v207, v236, v228
	v_dot4c_i32_i8 v212, v210, v229
	v_mov_b32_e32 v210, 0
	v_dot4c_i32_i8 v209, v234, v228
	v_dot4c_i32_i8 v207, v237, v229
	;; [unrolled: 1-line block ×13, first 2 shown]
	ds_read2_b32 v[232:233], v128 offset0:4 offset1:5
	ds_read_b128 v[228:231], v185 offset:33296
	ds_read2_b32 v[234:235], v190 offset0:4 offset1:5
	ds_read2_b32 v[236:237], v191 offset0:4 offset1:5
	ds_read2_b32 v[242:243], v190 offset0:6 offset1:7
	ds_read2_b32 v[240:241], v128 offset0:6 offset1:7
	ds_read2_b32 v[238:239], v192 offset0:4 offset1:5
	ds_read2_b32 v[246:247], v192 offset0:6 offset1:7
	ds_read2_b32 v[244:245], v191 offset0:6 offset1:7
	s_waitcnt lgkmcnt(7)
	v_dot4c_i32_i8 v129, v232, v228
	s_waitcnt lgkmcnt(6)
	v_dot4c_i32_i8 v130, v234, v228
	;; [unrolled: 2-line block ×4, first 2 shown]
	v_dot4c_i32_i8 v129, v233, v229
	v_dot4c_i32_i8 v130, v235, v229
	;; [unrolled: 1-line block ×6, first 2 shown]
	s_waitcnt lgkmcnt(0)
	v_dot4c_i32_i8 v131, v244, v230
	v_dot4c_i32_i8 v151, v246, v230
	v_dot4c_i32_i8 v129, v241, v231
	v_dot4c_i32_i8 v130, v243, v231
	v_dot4c_i32_i8 v131, v245, v231
	v_dot4c_i32_i8 v151, v247, v231
	ds_read_b128 v[228:231], v199 offset:33296
	s_waitcnt lgkmcnt(0)
	v_dot4c_i32_i8 v149, v232, v228
	v_dot4c_i32_i8 v159, v234, v228
	v_dot4c_i32_i8 v156, v236, v228
	v_dot4c_i32_i8 v153, v238, v228
	v_dot4c_i32_i8 v149, v233, v229
	v_dot4c_i32_i8 v159, v235, v229
	v_dot4c_i32_i8 v156, v237, v229
	v_dot4c_i32_i8 v153, v239, v229
	v_dot4c_i32_i8 v149, v240, v230
	v_dot4c_i32_i8 v159, v242, v230
	v_dot4c_i32_i8 v156, v244, v230
	v_dot4c_i32_i8 v153, v246, v230
	v_dot4c_i32_i8 v149, v241, v231
	v_dot4c_i32_i8 v159, v243, v231
	v_dot4c_i32_i8 v156, v245, v231
	v_dot4c_i32_i8 v153, v247, v231
	ds_read_b128 v[228:231], v215 offset:33296
	s_waitcnt lgkmcnt(0)
	v_dot4c_i32_i8 v152, v232, v228
	v_dot4c_i32_i8 v166, v234, v228
	v_dot4c_i32_i8 v160, v236, v228
	v_dot4c_i32_i8 v157, v238, v228
	v_dot4c_i32_i8 v152, v233, v229
	v_dot4c_i32_i8 v166, v235, v229
	v_dot4c_i32_i8 v160, v237, v229
	v_dot4c_i32_i8 v157, v239, v229
	v_dot4c_i32_i8 v152, v240, v230
	v_dot4c_i32_i8 v166, v242, v230
	v_dot4c_i32_i8 v160, v244, v230
	v_dot4c_i32_i8 v157, v246, v230
	v_dot4c_i32_i8 v152, v241, v231
	v_dot4c_i32_i8 v166, v243, v231
	v_dot4c_i32_i8 v160, v245, v231
	v_dot4c_i32_i8 v157, v247, v231
	ds_read_b128 v[228:231], v220 offset:33296
	s_waitcnt lgkmcnt(0)
	v_dot4c_i32_i8 v155, v232, v228
	v_dot4c_i32_i8 v170, v234, v228
	v_dot4c_i32_i8 v167, v236, v228
	v_dot4c_i32_i8 v162, v238, v228
	v_dot4c_i32_i8 v155, v233, v229
	v_dot4c_i32_i8 v170, v235, v229
	v_dot4c_i32_i8 v167, v237, v229
	v_dot4c_i32_i8 v162, v239, v229
	v_dot4c_i32_i8 v155, v240, v230
	v_dot4c_i32_i8 v170, v242, v230
	v_dot4c_i32_i8 v167, v244, v230
	v_dot4c_i32_i8 v162, v246, v230
	v_dot4c_i32_i8 v155, v241, v231
	v_dot4c_i32_i8 v170, v243, v231
	v_dot4c_i32_i8 v167, v245, v231
	v_dot4c_i32_i8 v162, v247, v231
	ds_read_b128 v[228:231], v223 offset:33296
	s_waitcnt lgkmcnt(0)
	v_dot4c_i32_i8 v161, v232, v228
	v_dot4c_i32_i8 v172, v234, v228
	v_dot4c_i32_i8 v171, v236, v228
	v_dot4c_i32_i8 v168, v238, v228
	v_dot4c_i32_i8 v161, v233, v229
	v_dot4c_i32_i8 v172, v235, v229
	v_dot4c_i32_i8 v171, v237, v229
	v_dot4c_i32_i8 v168, v239, v229
	v_dot4c_i32_i8 v161, v240, v230
	v_dot4c_i32_i8 v172, v242, v230
	v_dot4c_i32_i8 v171, v244, v230
	v_dot4c_i32_i8 v168, v246, v230
	v_dot4c_i32_i8 v161, v241, v231
	v_dot4c_i32_i8 v172, v243, v231
	v_dot4c_i32_i8 v171, v245, v231
	v_dot4c_i32_i8 v168, v247, v231
	ds_read_b128 v[228:231], v224 offset:33296
	s_waitcnt lgkmcnt(0)
	v_dot4c_i32_i8 v165, v232, v228
	v_dot4c_i32_i8 v164, v234, v228
	v_dot4c_i32_i8 v178, v236, v228
	v_dot4c_i32_i8 v179, v238, v228
	v_dot4c_i32_i8 v165, v233, v229
	v_dot4c_i32_i8 v164, v235, v229
	v_dot4c_i32_i8 v178, v237, v229
	v_dot4c_i32_i8 v179, v239, v229
	v_dot4c_i32_i8 v165, v240, v230
	v_dot4c_i32_i8 v164, v242, v230
	v_dot4c_i32_i8 v178, v244, v230
	v_dot4c_i32_i8 v179, v246, v230
	v_dot4c_i32_i8 v165, v241, v231
	v_dot4c_i32_i8 v164, v243, v231
	v_dot4c_i32_i8 v178, v245, v231
	v_dot4c_i32_i8 v179, v247, v231
	ds_read_b128 v[228:231], v225 offset:33296
	s_waitcnt lgkmcnt(0)
	v_dot4c_i32_i8 v173, v232, v228
	v_dot4c_i32_i8 v174, v234, v228
	v_dot4c_i32_i8 v175, v236, v228
	v_dot4c_i32_i8 v176, v238, v228
	v_dot4c_i32_i8 v173, v233, v229
	v_dot4c_i32_i8 v174, v235, v229
	v_dot4c_i32_i8 v175, v237, v229
	v_dot4c_i32_i8 v176, v239, v229
	v_dot4c_i32_i8 v173, v240, v230
	v_dot4c_i32_i8 v174, v242, v230
	v_dot4c_i32_i8 v175, v244, v230
	v_dot4c_i32_i8 v176, v246, v230
	v_dot4c_i32_i8 v173, v241, v231
	v_dot4c_i32_i8 v174, v243, v231
	v_dot4c_i32_i8 v175, v245, v231
	v_dot4c_i32_i8 v176, v247, v231
	ds_read_b128 v[228:231], v227 offset:33296
	s_waitcnt lgkmcnt(0)
	v_dot4c_i32_i8 v183, v232, v228
	v_dot4c_i32_i8 v182, v234, v228
	v_dot4c_i32_i8 v181, v236, v228
	v_dot4c_i32_i8 v180, v238, v228
	v_dot4c_i32_i8 v183, v233, v229
	v_dot4c_i32_i8 v182, v235, v229
	v_dot4c_i32_i8 v181, v237, v229
	v_dot4c_i32_i8 v180, v239, v229
	v_dot4c_i32_i8 v183, v240, v230
	v_dot4c_i32_i8 v182, v242, v230
	v_dot4c_i32_i8 v181, v244, v230
	v_dot4c_i32_i8 v180, v246, v230
	;; [unrolled: 1-line block ×6, first 2 shown]
	ds_read2_b32 v[232:233], v128 offset0:12 offset1:13
	ds_read_b128 v[228:231], v185 offset:33328
	ds_read2_b32 v[234:235], v190 offset0:12 offset1:13
	ds_read2_b32 v[236:237], v191 offset0:12 offset1:13
	;; [unrolled: 1-line block ×7, first 2 shown]
	v_lshrrev_b32_e32 v185, 1, v127
	v_lshlrev_b32_e32 v127, 2, v71
	v_lshlrev_b32_e32 v128, 2, v39
	v_add3_u32 v192, s14, v127, v128
	s_waitcnt lgkmcnt(7)
	v_dot4c_i32_i8 v226, v232, v228
	s_waitcnt lgkmcnt(6)
	v_dot4c_i32_i8 v222, v234, v228
	;; [unrolled: 2-line block ×4, first 2 shown]
	v_dot4c_i32_i8 v226, v233, v229
	v_dot4c_i32_i8 v222, v235, v229
	;; [unrolled: 1-line block ×6, first 2 shown]
	s_waitcnt lgkmcnt(0)
	v_dot4c_i32_i8 v221, v190, v230
	v_dot4c_i32_i8 v219, v244, v230
	v_dot4c_i32_i8 v226, v241, v231
	v_dot4c_i32_i8 v222, v243, v231
	v_dot4c_i32_i8 v221, v191, v231
	v_dot4c_i32_i8 v219, v245, v231
	ds_read_b128 v[228:231], v199 offset:33328
	s_waitcnt lgkmcnt(0)
	v_dot4c_i32_i8 v218, v232, v228
	v_dot4c_i32_i8 v217, v234, v228
	v_dot4c_i32_i8 v216, v236, v228
	v_dot4c_i32_i8 v214, v238, v228
	v_dot4c_i32_i8 v218, v233, v229
	v_dot4c_i32_i8 v217, v235, v229
	v_dot4c_i32_i8 v216, v237, v229
	v_dot4c_i32_i8 v214, v239, v229
	v_dot4c_i32_i8 v218, v240, v230
	v_dot4c_i32_i8 v217, v242, v230
	v_dot4c_i32_i8 v216, v190, v230
	v_dot4c_i32_i8 v214, v244, v230
	v_dot4c_i32_i8 v218, v241, v231
	v_dot4c_i32_i8 v217, v243, v231
	v_dot4c_i32_i8 v216, v191, v231
	v_dot4c_i32_i8 v214, v245, v231
	ds_read_b128 v[228:231], v215 offset:33328
	s_waitcnt lgkmcnt(0)
	v_dot4c_i32_i8 v213, v232, v228
	v_dot4c_i32_i8 v211, v234, v228
	v_dot4c_i32_i8 v208, v236, v228
	v_dot4c_i32_i8 v206, v238, v228
	v_dot4c_i32_i8 v213, v233, v229
	v_dot4c_i32_i8 v211, v235, v229
	v_dot4c_i32_i8 v208, v237, v229
	v_dot4c_i32_i8 v206, v239, v229
	v_dot4c_i32_i8 v213, v240, v230
	v_dot4c_i32_i8 v211, v242, v230
	;; [unrolled: 18-line block ×6, first 2 shown]
	v_dot4c_i32_i8 v188, v190, v230
	v_dot4c_i32_i8 v189, v244, v230
	ds_read_b128 v[227:230], v227 offset:33328
	v_dot4c_i32_i8 v186, v241, v231
	v_dot4c_i32_i8 v187, v243, v231
	;; [unrolled: 1-line block ×4, first 2 shown]
	s_waitcnt lgkmcnt(0)
	v_dot4c_i32_i8 v209, v236, v227
	v_dot4c_i32_i8 v212, v232, v227
	;; [unrolled: 1-line block ×9, first 2 shown]
	ds_read_u16 v190, v192
	v_dot4c_i32_i8 v212, v240, v229
	v_dot4c_i32_i8 v210, v242, v229
	;; [unrolled: 1-line block ×7, first 2 shown]
	s_waitcnt lgkmcnt(0)
	v_and_b32_sdwa v215, v123, v190 dst_sel:DWORD dst_unused:UNUSED_PAD src0_sel:DWORD src1_sel:BYTE_1
	v_and_b32_e32 v199, 0xff, v190
	v_mul_lo_u32 v190, v226, v215
	v_mul_lo_u32 v129, v129, v199
	;; [unrolled: 1-line block ×5, first 2 shown]
	v_cvt_f32_i32_e32 v220, v190
	ds_read_b64 v[190:191], v185 offset:43584
	v_cvt_f32_i32_e32 v129, v129
	v_cvt_f32_i32_e32 v173, v173
	;; [unrolled: 1-line block ×3, first 2 shown]
	s_waitcnt lgkmcnt(0)
	v_fma_mix_f32 v129, v190, v129, 0 op_sel_hi:[1,0,0]
	v_fma_mix_f32 v185, v191, v220, v129 op_sel_hi:[1,0,0]
	v_lshlrev_b32_e32 v129, 2, v80
	v_add3_u32 v220, s14, v129, v124
	ds_read_u16 v223, v220
	s_waitcnt lgkmcnt(0)
	v_and_b32_e32 v224, 0xff, v223
	v_and_b32_sdwa v223, v123, v223 dst_sel:DWORD dst_unused:UNUSED_PAD src0_sel:DWORD src1_sel:BYTE_1
	v_mul_lo_u32 v130, v130, v224
	v_mul_lo_u32 v222, v222, v223
	;; [unrolled: 1-line block ×8, first 2 shown]
	v_cvt_f32_i32_e32 v130, v130
	v_cvt_f32_i32_e32 v222, v222
	;; [unrolled: 1-line block ×5, first 2 shown]
	v_fma_mix_f32 v130, v190, v130, 0 op_sel_hi:[1,0,0]
	v_cvt_f32_i32_e32 v182, v182
	v_cvt_f32_i32_e32 v174, v174
	v_fma_mix_f32 v222, v191, v222, v130 op_sel_hi:[1,0,0]
	v_lshlrev_b32_e32 v130, 2, v81
	v_add3_u32 v225, s14, v130, v125
	ds_read_u16 v226, v225
	s_waitcnt lgkmcnt(0)
	v_and_b32_e32 v227, 0xff, v226
	v_and_b32_sdwa v226, v123, v226 dst_sel:DWORD dst_unused:UNUSED_PAD src0_sel:DWORD src1_sel:BYTE_1
	v_mul_lo_u32 v131, v131, v227
	v_mul_lo_u32 v221, v221, v226
	;; [unrolled: 1-line block ×8, first 2 shown]
	v_cvt_f32_i32_e32 v131, v131
	v_cvt_f32_i32_e32 v221, v221
	;; [unrolled: 1-line block ×5, first 2 shown]
	v_fma_mix_f32 v131, v190, v131, 0 op_sel_hi:[1,0,0]
	v_cvt_f32_i32_e32 v167, v167
	v_cvt_f32_i32_e32 v171, v171
	;; [unrolled: 1-line block ×3, first 2 shown]
	v_mul_lo_u32 v175, v175, v227
	v_fma_mix_f32 v221, v191, v221, v131 op_sel_hi:[1,0,0]
	v_lshlrev_b32_e32 v131, 2, v82
	v_mul_lo_u32 v188, v188, v226
	v_add3_u32 v228, s14, v131, v126
	v_cvt_f32_i32_e32 v175, v175
	s_mov_b32 s14, 8
	ds_read_u16 v229, v228
	s_waitcnt lgkmcnt(0)
	v_and_b32_e32 v230, 0xff, v229
	v_and_b32_sdwa v229, v123, v229 dst_sel:DWORD dst_unused:UNUSED_PAD src0_sel:DWORD src1_sel:BYTE_1
	v_mul_lo_u32 v151, v151, v230
	v_mul_lo_u32 v219, v219, v229
	;; [unrolled: 1-line block ×8, first 2 shown]
	v_cvt_f32_i32_e32 v151, v151
	v_cvt_f32_i32_e32 v219, v219
	;; [unrolled: 1-line block ×5, first 2 shown]
	v_fma_mix_f32 v151, v190, v151, 0 op_sel_hi:[1,0,0]
	v_cvt_f32_i32_e32 v162, v162
	v_cvt_f32_i32_e32 v168, v168
	;; [unrolled: 1-line block ×3, first 2 shown]
	v_mul_lo_u32 v176, v176, v230
	v_fma_mix_f32 v151, v191, v219, v151 op_sel_hi:[1,0,0]
	ds_read_u16 v219, v220 offset:8
	ds_read_u16 v220, v225 offset:8
	;; [unrolled: 1-line block ×4, first 2 shown]
	v_mul_lo_u32 v189, v189, v229
	v_cvt_f32_i32_e32 v176, v176
	s_waitcnt lgkmcnt(3)
	v_cvt_f32_ubyte0_e32 v228, v219
	s_waitcnt lgkmcnt(2)
	v_cvt_f32_ubyte0_e32 v231, v220
	;; [unrolled: 2-line block ×4, first 2 shown]
	v_cvt_f32_ubyte1_e32 v219, v219
	v_cvt_f32_ubyte1_e32 v220, v220
	;; [unrolled: 1-line block ×4, first 2 shown]
	v_fma_mix_f32 v234, v228, v190, 0 op_sel:[0,1,0] op_sel_hi:[0,1,0]
	v_fma_mix_f32 v235, v231, v190, 0 op_sel:[0,1,0] op_sel_hi:[0,1,0]
	;; [unrolled: 1-line block ×8, first 2 shown]
	v_mul_lo_u32 v191, v218, v215
	v_cvt_f32_i32_e32 v218, v149
	ds_read_b64 v[149:150], v150 offset:43584
	v_cvt_f32_i32_e32 v191, v191
	s_waitcnt lgkmcnt(0)
	v_fma_mix_f32 v159, v149, v159, 0 op_sel_hi:[1,0,0]
	v_fma_mix_f32 v156, v149, v156, 0 op_sel_hi:[1,0,0]
	v_fma_mix_f32 v153, v149, v153, 0 op_sel_hi:[1,0,0]
	v_fma_mix_f32 v218, v149, v218, 0 op_sel_hi:[1,0,0]
	v_fma_mix_f32 v159, v150, v217, v159 op_sel_hi:[1,0,0]
	v_fma_mix_f32 v156, v150, v216, v156 op_sel_hi:[1,0,0]
	v_fma_mix_f32 v153, v150, v214, v153 op_sel_hi:[1,0,0]
	v_fma_mix_f32 v214, v228, v149, 0 op_sel:[0,1,0] op_sel_hi:[0,1,0]
	v_fma_mix_f32 v216, v231, v149, 0 op_sel:[0,1,0] op_sel_hi:[0,1,0]
	;; [unrolled: 1-line block ×4, first 2 shown]
	v_fma_mix_f32 v191, v150, v191, v218 op_sel_hi:[1,0,0]
	v_fma_mix_f32 v214, v219, v150, v214 op_sel:[0,1,0] op_sel_hi:[0,1,0]
	v_fma_mix_f32 v216, v220, v150, v216 op_sel:[0,1,0] op_sel_hi:[0,1,0]
	;; [unrolled: 1-line block ×4, first 2 shown]
	v_mul_lo_u32 v150, v152, v199
	v_lshrrev_b32_e32 v149, 1, v154
	v_mul_lo_u32 v152, v213, v215
	v_cvt_f32_i32_e32 v154, v150
	ds_read_b64 v[149:150], v149 offset:43584
	v_cvt_f32_i32_e32 v152, v152
	s_waitcnt lgkmcnt(0)
	v_fma_mix_f32 v154, v154, v149, 0 op_sel_hi:[0,1,0]
	v_fma_mix_f32 v160, v160, v149, 0 op_sel_hi:[0,1,0]
	;; [unrolled: 1-line block ×4, first 2 shown]
	v_mul_lo_u32 v154, v166, v224
	v_mul_lo_u32 v166, v211, v223
	v_cvt_f32_i32_e32 v154, v154
	v_cvt_f32_i32_e32 v166, v166
	v_fma_mix_f32 v154, v154, v149, 0 op_sel_hi:[0,1,0]
	v_fma_mix_f32 v154, v166, v150, v154 op_sel_hi:[0,1,0]
	v_mul_lo_u32 v166, v208, v226
	v_fma_mix_f32 v208, v232, v149, 0 op_sel:[0,1,0] op_sel_hi:[0,1,0]
	v_fma_mix_f32 v208, v225, v150, v208 op_sel:[0,1,0] op_sel_hi:[0,1,0]
	v_cvt_f32_i32_e32 v166, v166
	v_fma_mix_f32 v160, v166, v150, v160 op_sel_hi:[0,1,0]
	v_mul_lo_u32 v166, v206, v229
	v_fma_mix_f32 v206, v231, v149, 0 op_sel:[0,1,0] op_sel_hi:[0,1,0]
	v_fma_mix_f32 v206, v220, v150, v206 op_sel:[0,1,0] op_sel_hi:[0,1,0]
	v_cvt_f32_i32_e32 v166, v166
	v_fma_mix_f32 v157, v166, v150, v157 op_sel_hi:[0,1,0]
	v_fma_mix_f32 v166, v228, v149, 0 op_sel:[0,1,0] op_sel_hi:[0,1,0]
	v_fma_mix_f32 v149, v233, v149, 0 op_sel:[0,1,0] op_sel_hi:[0,1,0]
	;; [unrolled: 1-line block ×4, first 2 shown]
	v_mul_lo_u32 v150, v155, v199
	v_lshrrev_b32_e32 v149, 1, v158
	v_mul_lo_u32 v155, v204, v215
	v_mul_f32_e32 v166, v166, v136
	v_cvt_f32_i32_e32 v158, v150
	ds_read_b64 v[149:150], v149 offset:43584
	v_cvt_f32_i32_e32 v155, v155
	v_fma_f32 v154, v154, v135, -v166
	v_add_f32_e32 v29, v29, v154
	s_waitcnt lgkmcnt(0)
	v_fma_mix_f32 v158, v158, v149, 0 op_sel_hi:[0,1,0]
	v_fma_mix_f32 v167, v167, v149, 0 op_sel_hi:[0,1,0]
	;; [unrolled: 1-line block ×4, first 2 shown]
	v_mul_lo_u32 v158, v170, v224
	v_mul_lo_u32 v170, v201, v223
	v_cvt_f32_i32_e32 v158, v158
	v_cvt_f32_i32_e32 v170, v170
	v_fma_mix_f32 v158, v158, v149, 0 op_sel_hi:[0,1,0]
	v_fma_mix_f32 v158, v170, v150, v158 op_sel_hi:[0,1,0]
	v_mul_lo_u32 v170, v198, v226
	v_fma_mix_f32 v198, v232, v149, 0 op_sel:[0,1,0] op_sel_hi:[0,1,0]
	v_fma_mix_f32 v198, v225, v150, v198 op_sel:[0,1,0] op_sel_hi:[0,1,0]
	v_cvt_f32_i32_e32 v170, v170
	v_fma_mix_f32 v167, v170, v150, v167 op_sel_hi:[0,1,0]
	v_mul_lo_u32 v170, v195, v229
	v_fma_mix_f32 v195, v231, v149, 0 op_sel:[0,1,0] op_sel_hi:[0,1,0]
	v_fma_mix_f32 v195, v220, v150, v195 op_sel:[0,1,0] op_sel_hi:[0,1,0]
	v_cvt_f32_i32_e32 v170, v170
	v_fma_mix_f32 v162, v170, v150, v162 op_sel_hi:[0,1,0]
	v_fma_mix_f32 v170, v228, v149, 0 op_sel:[0,1,0] op_sel_hi:[0,1,0]
	v_fma_mix_f32 v149, v233, v149, 0 op_sel:[0,1,0] op_sel_hi:[0,1,0]
	;; [unrolled: 1-line block ×4, first 2 shown]
	v_mul_lo_u32 v150, v161, v199
	v_lshrrev_b32_e32 v149, 1, v163
	v_mul_lo_u32 v161, v194, v215
	v_mul_f32_e32 v166, v170, v144
	v_cvt_f32_i32_e32 v163, v150
	ds_read_b64 v[149:150], v149 offset:43584
	v_cvt_f32_i32_e32 v161, v161
	v_fma_f32 v158, v158, v143, -v166
	v_mul_f32_e32 v166, v206, v138
	v_add_f32_e32 v30, v30, v158
	v_fma_f32 v160, v160, v137, -v166
	v_mul_f32_e32 v166, v195, v146
	v_add_f32_e32 v23, v23, v160
	;; [unrolled: 3-line block ×3, first 2 shown]
	s_waitcnt lgkmcnt(0)
	v_fma_mix_f32 v163, v163, v149, 0 op_sel_hi:[0,1,0]
	v_fma_mix_f32 v171, v171, v149, 0 op_sel_hi:[0,1,0]
	;; [unrolled: 1-line block ×3, first 2 shown]
	v_fma_mix_f32 v194, v232, v149, 0 op_sel:[0,1,0] op_sel_hi:[0,1,0]
	v_fma_f32 v157, v157, v139, -v167
	v_fma_mix_f32 v161, v161, v150, v163 op_sel_hi:[0,1,0]
	v_mul_lo_u32 v163, v172, v224
	v_mul_lo_u32 v172, v193, v223
	v_fma_mix_f32 v193, v231, v149, 0 op_sel:[0,1,0] op_sel_hi:[0,1,0]
	v_fma_mix_f32 v194, v225, v150, v194 op_sel:[0,1,0] op_sel_hi:[0,1,0]
	v_mul_f32_e32 v167, v198, v148
	v_add_f32_e32 v25, v25, v157
	v_fma_mix_f32 v193, v220, v150, v193 op_sel:[0,1,0] op_sel_hi:[0,1,0]
	v_cvt_f32_i32_e32 v163, v163
	v_cvt_f32_i32_e32 v172, v172
	v_fma_f32 v162, v162, v147, -v167
	v_fma_mix_f32 v163, v163, v149, 0 op_sel_hi:[0,1,0]
	v_add_f32_e32 v26, v26, v162
	v_fma_mix_f32 v163, v172, v150, v163 op_sel_hi:[0,1,0]
	v_mul_lo_u32 v172, v202, v226
	v_cvt_f32_i32_e32 v172, v172
	v_fma_mix_f32 v171, v172, v150, v171 op_sel_hi:[0,1,0]
	v_mul_lo_u32 v172, v205, v229
	v_cvt_f32_i32_e32 v172, v172
	v_fma_mix_f32 v168, v172, v150, v168 op_sel_hi:[0,1,0]
	v_fma_mix_f32 v172, v228, v149, 0 op_sel:[0,1,0] op_sel_hi:[0,1,0]
	v_fma_mix_f32 v149, v233, v149, 0 op_sel:[0,1,0] op_sel_hi:[0,1,0]
	;; [unrolled: 1-line block ×4, first 2 shown]
	v_mul_lo_u32 v150, v165, v199
	v_lshrrev_b32_e32 v149, 1, v169
	v_mul_lo_u32 v165, v203, v215
	v_mul_f32_e32 v167, v202, v134
	v_cvt_f32_i32_e32 v169, v150
	ds_read_b64 v[149:150], v149 offset:43584
	v_cvt_f32_i32_e32 v165, v165
	v_fma_f32 v161, v161, v133, -v167
	v_add_f32_e32 v17, v17, v161
	s_waitcnt lgkmcnt(0)
	v_fma_mix_f32 v169, v169, v149, 0 op_sel_hi:[0,1,0]
	v_fma_mix_f32 v164, v164, v149, 0 op_sel_hi:[0,1,0]
	;; [unrolled: 1-line block ×3, first 2 shown]
	v_mul_lo_u32 v169, v200, v223
	v_cvt_f32_i32_e32 v169, v169
	v_fma_mix_f32 v164, v169, v150, v164 op_sel_hi:[0,1,0]
	v_mul_lo_u32 v169, v178, v227
	v_mul_lo_u32 v178, v197, v226
	v_fma_mix_f32 v197, v232, v149, 0 op_sel:[0,1,0] op_sel_hi:[0,1,0]
	v_fma_mix_f32 v197, v225, v150, v197 op_sel:[0,1,0] op_sel_hi:[0,1,0]
	v_cvt_f32_i32_e32 v169, v169
	v_cvt_f32_i32_e32 v178, v178
	v_fma_mix_f32 v169, v169, v149, 0 op_sel_hi:[0,1,0]
	v_fma_mix_f32 v169, v178, v150, v169 op_sel_hi:[0,1,0]
	v_mul_lo_u32 v178, v179, v230
	v_mul_lo_u32 v179, v196, v229
	v_fma_mix_f32 v196, v231, v149, 0 op_sel:[0,1,0] op_sel_hi:[0,1,0]
	v_fma_mix_f32 v196, v220, v150, v196 op_sel:[0,1,0] op_sel_hi:[0,1,0]
	v_cvt_f32_i32_e32 v178, v178
	v_cvt_f32_i32_e32 v179, v179
	v_mul_f32_e32 v170, v196, v146
	v_fma_mix_f32 v178, v178, v149, 0 op_sel_hi:[0,1,0]
	v_fma_f32 v169, v169, v145, -v170
	v_fma_mix_f32 v178, v179, v150, v178 op_sel_hi:[0,1,0]
	v_fma_mix_f32 v179, v228, v149, 0 op_sel:[0,1,0] op_sel_hi:[0,1,0]
	v_fma_mix_f32 v149, v233, v149, 0 op_sel:[0,1,0] op_sel_hi:[0,1,0]
	v_mul_f32_e32 v170, v194, v140
	v_add_f32_e32 v22, v22, v169
	v_fma_mix_f32 v179, v219, v150, v179 op_sel:[0,1,0] op_sel_hi:[0,1,0]
	v_fma_mix_f32 v200, v192, v150, v149 op_sel:[0,1,0] op_sel_hi:[0,1,0]
	v_mul_lo_u32 v150, v183, v199
	v_lshrrev_b32_e32 v149, 1, v184
	v_mul_lo_u32 v183, v212, v215
	v_fma_f32 v168, v168, v139, -v170
	v_mul_f32_e32 v167, v200, v142
	v_mul_f32_e32 v170, v197, v148
	v_cvt_f32_i32_e32 v184, v150
	ds_read_b64 v[149:150], v149 offset:43584
	v_cvt_f32_i32_e32 v183, v183
	v_fma_f32 v165, v165, v141, -v167
	v_mul_f32_e32 v167, v172, v136
	v_fma_f32 v170, v178, v147, -v170
	v_add_f32_e32 v15, v15, v168
	v_add_f32_e32 v18, v18, v165
	v_fma_f32 v163, v163, v135, -v167
	v_mul_f32_e32 v167, v179, v144
	v_add_f32_e32 v16, v16, v170
	v_add_f32_e32 v19, v19, v163
	v_fma_f32 v164, v164, v143, -v167
	v_mul_f32_e32 v167, v193, v138
	v_add_f32_e32 v20, v20, v164
	s_waitcnt lgkmcnt(0)
	v_fma_mix_f32 v184, v184, v149, 0 op_sel_hi:[0,1,0]
	v_fma_mix_f32 v182, v182, v149, 0 op_sel_hi:[0,1,0]
	;; [unrolled: 1-line block ×4, first 2 shown]
	v_fma_mix_f32 v203, v231, v149, 0 op_sel:[0,1,0] op_sel_hi:[0,1,0]
	v_fma_mix_f32 v183, v183, v150, v184 op_sel_hi:[0,1,0]
	v_mul_lo_u32 v184, v210, v223
	v_fma_mix_f32 v204, v232, v149, 0 op_sel:[0,1,0] op_sel_hi:[0,1,0]
	v_fma_f32 v167, v171, v137, -v167
	v_fma_mix_f32 v203, v220, v150, v203 op_sel:[0,1,0] op_sel_hi:[0,1,0]
	v_fma_mix_f32 v204, v225, v150, v204 op_sel:[0,1,0] op_sel_hi:[0,1,0]
	v_add_f32_e32 v21, v21, v167
	v_cvt_f32_i32_e32 v184, v184
	v_fma_mix_f32 v182, v184, v150, v182 op_sel_hi:[0,1,0]
	v_mul_lo_u32 v184, v209, v226
	v_cvt_f32_i32_e32 v184, v184
	v_fma_mix_f32 v181, v184, v150, v181 op_sel_hi:[0,1,0]
	v_mul_lo_u32 v184, v207, v229
	v_cvt_f32_i32_e32 v184, v184
	v_fma_mix_f32 v180, v184, v150, v180 op_sel_hi:[0,1,0]
	v_fma_mix_f32 v184, v228, v149, 0 op_sel:[0,1,0] op_sel_hi:[0,1,0]
	v_fma_mix_f32 v149, v233, v149, 0 op_sel:[0,1,0] op_sel_hi:[0,1,0]
	;; [unrolled: 1-line block ×4, first 2 shown]
	v_lshrrev_b32_e32 v149, 1, v177
	v_mul_f32_e32 v172, v205, v142
	ds_read_b64 v[149:150], v149 offset:43584
	v_fma_f32 v172, v183, v141, -v172
	v_add_f32_e32 v6, v6, v172
	s_waitcnt lgkmcnt(0)
	v_fma_mix_f32 v173, v173, v149, 0 op_sel_hi:[0,1,0]
	v_fma_mix_f32 v210, v233, v149, 0 op_sel:[0,1,0] op_sel_hi:[0,1,0]
	v_fma_mix_f32 v174, v174, v149, 0 op_sel_hi:[0,1,0]
	v_fma_mix_f32 v177, v228, v149, 0 op_sel:[0,1,0] op_sel_hi:[0,1,0]
	v_fma_mix_f32 v207, v231, v149, 0 op_sel:[0,1,0] op_sel_hi:[0,1,0]
	v_fma_mix_f32 v173, v186, v150, v173 op_sel_hi:[0,1,0]
	v_cvt_f32_i32_e32 v186, v187
	v_mul_f32_e32 v187, v216, v146
	v_fma_mix_f32 v209, v232, v149, 0 op_sel:[0,1,0] op_sel_hi:[0,1,0]
	v_fma_mix_f32 v192, v192, v150, v210 op_sel:[0,1,0] op_sel_hi:[0,1,0]
	v_fma_mix_f32 v175, v175, v149, 0 op_sel_hi:[0,1,0]
	v_fma_mix_f32 v174, v186, v150, v174 op_sel_hi:[0,1,0]
	v_cvt_f32_i32_e32 v186, v188
	v_fma_f32 v156, v156, v145, -v187
	v_mul_f32_e32 v187, v236, v140
	v_fma_mix_f32 v177, v219, v150, v177 op_sel:[0,1,0] op_sel_hi:[0,1,0]
	v_fma_mix_f32 v207, v220, v150, v207 op_sel:[0,1,0] op_sel_hi:[0,1,0]
	;; [unrolled: 1-line block ×3, first 2 shown]
	v_fma_mix_f32 v175, v186, v150, v175 op_sel_hi:[0,1,0]
	v_cvt_f32_i32_e32 v186, v189
	v_fma_mix_f32 v149, v176, v149, 0 op_sel_hi:[0,1,0]
	v_fma_f32 v151, v151, v139, -v187
	v_mul_f32_e32 v187, v217, v148
	v_mul_f32_e32 v171, v192, v134
	;; [unrolled: 1-line block ×3, first 2 shown]
	v_fma_mix_f32 v149, v186, v150, v149 op_sel_hi:[0,1,0]
	v_mul_f32_e32 v150, v190, v134
	v_mul_f32_e32 v186, v214, v144
	v_fma_f32 v153, v153, v147, -v187
	v_mul_f32_e32 v187, v211, v134
	v_fma_f32 v171, v173, v133, -v171
	v_mul_f32_e32 v173, v177, v136
	v_mul_f32_e32 v177, v207, v138
	v_fma_f32 v150, v185, v133, -v150
	v_mul_f32_e32 v176, v218, v142
	;; [unrolled: 3-line block ×3, first 2 shown]
	v_fma_f32 v152, v152, v133, -v187
	v_mul_f32_e32 v187, v201, v142
	v_fma_f32 v173, v174, v135, -v173
	v_mul_f32_e32 v174, v184, v144
	;; [unrolled: 2-line block ×4, first 2 shown]
	v_fma_f32 v176, v191, v141, -v176
	v_fma_f32 v185, v222, v135, -v185
	;; [unrolled: 1-line block ×7, first 2 shown]
	v_add_f32_e32 v3, v3, v176
	v_add_f32_e32 v2, v2, v150
	v_add_f32_e32 v32, v32, v159
	v_add_f32_e32 v31, v31, v185
	v_add_f32_e32 v34, v34, v156
	v_add_f32_e32 v33, v33, v186
	v_add_f32_e32 v36, v36, v153
	v_add_f32_e32 v35, v35, v151
	v_add_f32_e32 v28, v28, v155
	v_add_f32_e32 v27, v27, v152
	v_add_f32_e32 v5, v5, v171
	v_add_f32_e32 v8, v8, v174
	v_add_f32_e32 v7, v7, v173
	v_add_f32_e32 v10, v10, v177
	v_add_f32_e32 v9, v9, v175
	v_add_f32_e32 v12, v12, v178
	v_add_f32_e32 v11, v11, v149
	s_cbranch_vccnz .LBB153_6
; %bb.7:                                ;   in Loop: Header=BB153_5 Depth=1
	v_add_nc_u32_e32 v145, s0, v80
	v_add_nc_u32_e32 v132, 4, v132
	s_barrier
	buffer_gl0_inv
	v_add_nc_u32_e32 v133, v145, v72
	v_add_nc_u32_e32 v135, v145, v73
	;; [unrolled: 1-line block ×5, first 2 shown]
	v_mad_u64_u32 v[143:144], null, v132, 36, s[2:3]
	v_mad_i64_i32 v[133:134], null, v133, 36, v[13:14]
	v_add_nc_u32_e32 v146, v145, v77
	v_mad_i64_i32 v[135:136], null, v135, 36, v[13:14]
	v_add_nc_u32_e32 v147, v145, v78
	;; [unrolled: 2-line block ×3, first 2 shown]
	v_mad_i64_i32 v[139:140], null, v139, 36, v[13:14]
	v_mad_i64_i32 v[141:142], null, v141, 36, v[13:14]
	;; [unrolled: 1-line block ×5, first 2 shown]
	s_clause 0x8
	global_load_dword v132, v[143:144], off
	global_load_dword v133, v[133:134], off offset:4
	global_load_dword v134, v[135:136], off offset:4
	;; [unrolled: 1-line block ×8, first 2 shown]
	s_mov_b32 s0, 16
	s_waitcnt vmcnt(8)
	ds_write_b32 v70, v132
	s_waitcnt vmcnt(7)
	ds_write_b32 v100, v133
	;; [unrolled: 2-line block ×9, first 2 shown]
	s_waitcnt lgkmcnt(0)
	s_barrier
	buffer_gl0_inv
	ds_read_b32 v133, v83
	ds_read_b32 v135, v84 offset:128
	ds_read_b32 v137, v85 offset:256
	;; [unrolled: 1-line block ×3, first 2 shown]
	s_waitcnt lgkmcnt(3)
	v_cvt_f32_f16_e32 v132, v133
	v_cvt_f32_f16_sdwa v133, v133 dst_sel:DWORD dst_unused:UNUSED_PAD src0_sel:WORD_1
	s_waitcnt lgkmcnt(2)
	v_cvt_f32_f16_e32 v134, v135
	v_cvt_f32_f16_sdwa v135, v135 dst_sel:DWORD dst_unused:UNUSED_PAD src0_sel:WORD_1
	;; [unrolled: 3-line block ×4, first 2 shown]
	v_mov_b32_e32 v140, v132
	v_mov_b32_e32 v141, v133
	;; [unrolled: 1-line block ×8, first 2 shown]
.LBB153_8:                              ;   Parent Loop BB153_5 Depth=1
                                        ; =>  This Inner Loop Header: Depth=2
	s_lshl_b32 s14, s0, 1
	s_lshl_b32 s1, s0, 3
	s_and_b32 s14, s14, 16
	v_add_nc_u32_e32 v188, s1, v94
	v_or_b32_e32 v161, s14, v42
	v_add_nc_u32_e32 v190, s1, v95
	v_add_nc_u32_e32 v191, s1, v96
	;; [unrolled: 1-line block ×3, first 2 shown]
	v_or_b32_e32 v149, s14, v87
	v_lshlrev_b32_e32 v189, 2, v161
	v_mov_b32_e32 v160, 0
	v_mov_b32_e32 v157, 0
	;; [unrolled: 1-line block ×3, first 2 shown]
	ds_read2_b32 v[199:200], v188 offset1:1
	ds_read_b128 v[151:154], v189 offset:33280
	ds_read2_b32 v[201:202], v190 offset1:1
	ds_read2_b32 v[203:204], v191 offset1:1
	ds_read2_b32 v[209:210], v190 offset0:2 offset1:3
	ds_read2_b32 v[207:208], v188 offset0:2 offset1:3
	ds_read2_b32 v[205:206], v192 offset1:1
	ds_read2_b32 v[213:214], v192 offset0:2 offset1:3
	ds_read2_b32 v[211:212], v191 offset0:2 offset1:3
	v_mov_b32_e32 v150, 0
	v_lshlrev_b32_e32 v193, 2, v149
	v_mov_b32_e32 v148, 0
	v_mov_b32_e32 v156, 0
	v_mov_b32_e32 v158, 0
	v_mov_b32_e32 v159, 0
	ds_read_b128 v[162:165], v193 offset:33280
	v_or_b32_e32 v187, s14, v89
	v_mov_b32_e32 v186, 0
	v_mov_b32_e32 v185, 0
	v_mov_b32_e32 v184, 0
	v_mov_b32_e32 v179, 0
	s_waitcnt lgkmcnt(8)
	v_dot4c_i32_i8 v160, v199, v151
	s_waitcnt lgkmcnt(7)
	v_dot4c_i32_i8 v157, v201, v151
	;; [unrolled: 2-line block ×3, first 2 shown]
	v_lshlrev_b32_e32 v226, 2, v187
	v_or_b32_e32 v182, s14, v90
	s_waitcnt lgkmcnt(3)
	v_dot4c_i32_i8 v150, v205, v151
	v_dot4c_i32_i8 v160, v200, v152
	;; [unrolled: 1-line block ×4, first 2 shown]
	v_mov_b32_e32 v151, 0
	v_dot4c_i32_i8 v150, v206, v152
	v_dot4c_i32_i8 v160, v207, v153
	;; [unrolled: 1-line block ×3, first 2 shown]
	s_waitcnt lgkmcnt(1)
	v_dot4c_i32_i8 v155, v211, v153
	v_mov_b32_e32 v152, 0
	v_dot4c_i32_i8 v150, v213, v153
	v_dot4c_i32_i8 v160, v208, v154
	;; [unrolled: 1-line block ×4, first 2 shown]
	s_waitcnt lgkmcnt(0)
	v_dot4c_i32_i8 v148, v199, v162
	v_dot4c_i32_i8 v150, v214, v154
	v_mov_b32_e32 v154, 0
	v_dot4c_i32_i8 v156, v201, v162
	v_dot4c_i32_i8 v152, v205, v162
	;; [unrolled: 1-line block ×3, first 2 shown]
	v_or_b32_e32 v153, s14, v88
	v_dot4c_i32_i8 v154, v203, v162
	v_dot4c_i32_i8 v156, v202, v163
	;; [unrolled: 1-line block ×4, first 2 shown]
	v_lshlrev_b32_e32 v194, 2, v153
	v_dot4c_i32_i8 v154, v204, v163
	v_dot4c_i32_i8 v156, v209, v164
	;; [unrolled: 1-line block ×4, first 2 shown]
	v_mov_b32_e32 v163, 0
	v_dot4c_i32_i8 v154, v211, v164
	v_dot4c_i32_i8 v156, v210, v165
	;; [unrolled: 1-line block ×3, first 2 shown]
	v_lshlrev_b32_e32 v227, 2, v182
	v_mov_b32_e32 v180, 0
	v_dot4c_i32_i8 v154, v212, v165
	ds_read_b128 v[164:167], v194 offset:33280
	v_mov_b32_e32 v177, 0
	v_mov_b32_e32 v175, 0
	;; [unrolled: 1-line block ×3, first 2 shown]
	v_or_b32_e32 v173, s14, v91
	v_mov_b32_e32 v171, 0
	v_mov_b32_e32 v170, 0
	;; [unrolled: 1-line block ×4, first 2 shown]
	v_lshlrev_b32_e32 v228, 2, v173
	v_mov_b32_e32 v162, 0
	v_or_b32_e32 v183, s14, v93
	v_mov_b32_e32 v181, 0
	v_mov_b32_e32 v178, 0
	;; [unrolled: 1-line block ×4, first 2 shown]
	v_lshlrev_b32_e32 v231, 2, v183
	v_mov_b32_e32 v230, 0
	v_mov_b32_e32 v220, 0
	;; [unrolled: 1-line block ×3, first 2 shown]
	s_waitcnt lgkmcnt(0)
	v_dot4c_i32_i8 v151, v199, v164
	v_dot4c_i32_i8 v158, v201, v164
	v_dot4c_i32_i8 v159, v203, v164
	v_dot4c_i32_i8 v163, v205, v164
	v_mov_b32_e32 v225, 0
	v_dot4c_i32_i8 v151, v200, v165
	v_dot4c_i32_i8 v158, v202, v165
	v_dot4c_i32_i8 v159, v204, v165
	v_dot4c_i32_i8 v163, v206, v165
	v_mov_b32_e32 v224, 0
	;; [unrolled: 5-line block ×3, first 2 shown]
	v_dot4c_i32_i8 v151, v208, v167
	v_dot4c_i32_i8 v158, v210, v167
	;; [unrolled: 1-line block ×4, first 2 shown]
	ds_read_b128 v[164:167], v226 offset:33280
	v_mov_b32_e32 v221, 0
	v_mov_b32_e32 v222, 0
	;; [unrolled: 1-line block ×6, first 2 shown]
	s_lshr_b32 s1, s0, 2
	v_lshrrev_b32_e32 v161, 1, v161
	s_and_b32 s1, s1, 0x3ffffffe
	v_lshrrev_b32_e32 v149, 1, v149
	s_add_i32 s1, s1, 0xa200
	s_waitcnt lgkmcnt(0)
	v_dot4c_i32_i8 v186, v199, v164
	v_dot4c_i32_i8 v185, v201, v164
	;; [unrolled: 1-line block ×16, first 2 shown]
	ds_read_b128 v[164:167], v227 offset:33280
	s_waitcnt lgkmcnt(0)
	v_dot4c_i32_i8 v180, v199, v164
	v_dot4c_i32_i8 v177, v201, v164
	;; [unrolled: 1-line block ×16, first 2 shown]
	ds_read_b128 v[164:167], v228 offset:33280
	s_waitcnt lgkmcnt(0)
	v_dot4c_i32_i8 v171, v199, v164
	v_dot4c_i32_i8 v170, v201, v164
	v_dot4c_i32_i8 v169, v203, v164
	v_dot4c_i32_i8 v168, v205, v164
	v_mov_b32_e32 v164, 0
	v_dot4c_i32_i8 v171, v200, v165
	v_dot4c_i32_i8 v170, v202, v165
	v_dot4c_i32_i8 v169, v204, v165
	v_dot4c_i32_i8 v168, v206, v165
	v_mov_b32_e32 v165, 0
	;; [unrolled: 5-line block ×3, first 2 shown]
	v_dot4c_i32_i8 v171, v208, v167
	v_dot4c_i32_i8 v170, v210, v167
	;; [unrolled: 1-line block ×4, first 2 shown]
	v_or_b32_e32 v167, s14, v92
	v_lshlrev_b32_e32 v229, 2, v167
	ds_read_b128 v[195:198], v229 offset:33280
	s_waitcnt lgkmcnt(0)
	v_dot4c_i32_i8 v162, v199, v195
	v_dot4c_i32_i8 v164, v201, v195
	;; [unrolled: 1-line block ×16, first 2 shown]
	ds_read_b128 v[195:198], v231 offset:33280
	s_waitcnt lgkmcnt(0)
	v_dot4c_i32_i8 v181, v199, v195
	v_dot4c_i32_i8 v178, v201, v195
	v_dot4c_i32_i8 v176, v203, v195
	v_dot4c_i32_i8 v174, v205, v195
	v_mov_b32_e32 v205, 0
	v_dot4c_i32_i8 v181, v200, v196
	v_dot4c_i32_i8 v178, v202, v196
	v_dot4c_i32_i8 v176, v204, v196
	v_dot4c_i32_i8 v174, v206, v196
	v_mov_b32_e32 v203, 0
	v_dot4c_i32_i8 v181, v207, v197
	v_dot4c_i32_i8 v178, v209, v197
	v_dot4c_i32_i8 v176, v211, v197
	v_dot4c_i32_i8 v174, v213, v197
	v_mov_b32_e32 v211, 0
	v_dot4c_i32_i8 v181, v208, v198
	v_dot4c_i32_i8 v178, v210, v198
	;; [unrolled: 1-line block ×4, first 2 shown]
	ds_read2_b32 v[236:237], v188 offset0:8 offset1:9
	ds_read_b128 v[195:198], v189 offset:33312
	ds_read2_b32 v[238:239], v190 offset0:8 offset1:9
	ds_read2_b32 v[240:241], v191 offset0:8 offset1:9
	;; [unrolled: 1-line block ×7, first 2 shown]
	v_mov_b32_e32 v202, 0
	v_mov_b32_e32 v201, 0
	ds_read_b128 v[232:235], v229 offset:33312
	v_mov_b32_e32 v200, 0
	v_mov_b32_e32 v199, 0
	;; [unrolled: 1-line block ×9, first 2 shown]
	s_waitcnt lgkmcnt(8)
	v_dot4c_i32_i8 v230, v236, v195
	s_waitcnt lgkmcnt(7)
	v_dot4c_i32_i8 v220, v238, v195
	;; [unrolled: 2-line block ×3, first 2 shown]
	v_mov_b32_e32 v214, 0
	v_mov_b32_e32 v210, 0
	s_waitcnt lgkmcnt(3)
	v_dot4c_i32_i8 v211, v242, v195
	v_dot4c_i32_i8 v230, v237, v196
	;; [unrolled: 1-line block ×7, first 2 shown]
	s_waitcnt lgkmcnt(1)
	v_dot4c_i32_i8 v217, v248, v197
	v_dot4c_i32_i8 v211, v250, v197
	v_dot4c_i32_i8 v230, v245, v198
	v_dot4c_i32_i8 v220, v247, v198
	v_dot4c_i32_i8 v217, v249, v198
	v_dot4c_i32_i8 v211, v251, v198
	ds_read_b128 v[195:198], v193 offset:33312
	s_waitcnt lgkmcnt(0)
	v_dot4c_i32_i8 v205, v236, v195
	v_dot4c_i32_i8 v203, v238, v195
	v_dot4c_i32_i8 v202, v240, v195
	v_dot4c_i32_i8 v201, v242, v195
	v_dot4c_i32_i8 v205, v237, v196
	v_dot4c_i32_i8 v203, v239, v196
	v_dot4c_i32_i8 v202, v241, v196
	v_dot4c_i32_i8 v201, v243, v196
	v_dot4c_i32_i8 v205, v244, v197
	v_dot4c_i32_i8 v203, v246, v197
	v_dot4c_i32_i8 v202, v248, v197
	v_dot4c_i32_i8 v201, v250, v197
	v_dot4c_i32_i8 v205, v245, v198
	v_dot4c_i32_i8 v203, v247, v198
	v_dot4c_i32_i8 v202, v249, v198
	v_dot4c_i32_i8 v201, v251, v198
	ds_read_b128 v[195:198], v194 offset:33312
	s_waitcnt lgkmcnt(0)
	v_dot4c_i32_i8 v200, v236, v195
	v_dot4c_i32_i8 v199, v238, v195
	v_dot4c_i32_i8 v206, v240, v195
	v_dot4c_i32_i8 v209, v242, v195
	v_dot4c_i32_i8 v200, v237, v196
	v_dot4c_i32_i8 v199, v239, v196
	v_dot4c_i32_i8 v206, v241, v196
	v_dot4c_i32_i8 v209, v243, v196
	v_dot4c_i32_i8 v200, v244, v197
	v_dot4c_i32_i8 v199, v246, v197
	;; [unrolled: 18-line block ×4, first 2 shown]
	v_dot4c_i32_i8 v215, v248, v197
	v_dot4c_i32_i8 v213, v250, v197
	;; [unrolled: 1-line block ×6, first 2 shown]
	ds_read_b128 v[195:198], v228 offset:33312
	s_waitcnt lgkmcnt(0)
	v_dot4c_i32_i8 v212, v236, v195
	v_dot4c_i32_i8 v208, v238, v195
	v_dot4c_i32_i8 v207, v240, v195
	v_dot4c_i32_i8 v204, v242, v195
	v_mov_b32_e32 v195, 0
	v_dot4c_i32_i8 v212, v237, v196
	v_dot4c_i32_i8 v208, v239, v196
	v_dot4c_i32_i8 v207, v241, v196
	v_dot4c_i32_i8 v204, v243, v196
	v_mov_b32_e32 v196, 0
	;; [unrolled: 5-line block ×4, first 2 shown]
	v_dot4c_i32_i8 v195, v236, v232
	v_dot4c_i32_i8 v196, v238, v232
	;; [unrolled: 1-line block ×16, first 2 shown]
	ds_read_b128 v[232:235], v231 offset:33312
	s_waitcnt lgkmcnt(0)
	v_dot4c_i32_i8 v218, v236, v232
	v_dot4c_i32_i8 v216, v238, v232
	;; [unrolled: 1-line block ×16, first 2 shown]
	ds_read2_b32 v[236:237], v188 offset0:4 offset1:5
	ds_read_b128 v[232:235], v189 offset:33296
	ds_read2_b32 v[238:239], v190 offset0:4 offset1:5
	ds_read2_b32 v[240:241], v191 offset0:4 offset1:5
	;; [unrolled: 1-line block ×7, first 2 shown]
	s_waitcnt lgkmcnt(7)
	v_dot4c_i32_i8 v160, v236, v232
	s_waitcnt lgkmcnt(6)
	v_dot4c_i32_i8 v157, v238, v232
	;; [unrolled: 2-line block ×4, first 2 shown]
	v_dot4c_i32_i8 v160, v237, v233
	v_dot4c_i32_i8 v157, v239, v233
	v_dot4c_i32_i8 v155, v241, v233
	v_dot4c_i32_i8 v150, v243, v233
	v_dot4c_i32_i8 v160, v244, v234
	v_dot4c_i32_i8 v157, v246, v234
	s_waitcnt lgkmcnt(0)
	v_dot4c_i32_i8 v155, v248, v234
	v_dot4c_i32_i8 v150, v250, v234
	v_dot4c_i32_i8 v160, v245, v235
	v_dot4c_i32_i8 v157, v247, v235
	v_dot4c_i32_i8 v155, v249, v235
	v_dot4c_i32_i8 v150, v251, v235
	ds_read_b128 v[232:235], v193 offset:33296
	s_waitcnt lgkmcnt(0)
	v_dot4c_i32_i8 v148, v236, v232
	v_dot4c_i32_i8 v156, v238, v232
	v_dot4c_i32_i8 v154, v240, v232
	v_dot4c_i32_i8 v152, v242, v232
	v_dot4c_i32_i8 v148, v237, v233
	v_dot4c_i32_i8 v156, v239, v233
	v_dot4c_i32_i8 v154, v241, v233
	v_dot4c_i32_i8 v152, v243, v233
	v_dot4c_i32_i8 v148, v244, v234
	v_dot4c_i32_i8 v156, v246, v234
	v_dot4c_i32_i8 v154, v248, v234
	v_dot4c_i32_i8 v152, v250, v234
	v_dot4c_i32_i8 v148, v245, v235
	v_dot4c_i32_i8 v156, v247, v235
	v_dot4c_i32_i8 v154, v249, v235
	v_dot4c_i32_i8 v152, v251, v235
	ds_read_b128 v[232:235], v194 offset:33296
	s_waitcnt lgkmcnt(0)
	v_dot4c_i32_i8 v151, v236, v232
	v_dot4c_i32_i8 v158, v238, v232
	v_dot4c_i32_i8 v159, v240, v232
	v_dot4c_i32_i8 v163, v242, v232
	v_dot4c_i32_i8 v151, v237, v233
	v_dot4c_i32_i8 v158, v239, v233
	v_dot4c_i32_i8 v159, v241, v233
	v_dot4c_i32_i8 v163, v243, v233
	v_dot4c_i32_i8 v151, v244, v234
	v_dot4c_i32_i8 v158, v246, v234
	;; [unrolled: 18-line block ×7, first 2 shown]
	v_dot4c_i32_i8 v176, v248, v234
	v_dot4c_i32_i8 v174, v250, v234
	;; [unrolled: 1-line block ×6, first 2 shown]
	ds_read2_b32 v[236:237], v188 offset0:12 offset1:13
	ds_read_b128 v[232:235], v189 offset:33328
	ds_read2_b32 v[238:239], v190 offset0:12 offset1:13
	ds_read2_b32 v[240:241], v191 offset0:12 offset1:13
	;; [unrolled: 1-line block ×6, first 2 shown]
	s_waitcnt lgkmcnt(6)
	v_dot4c_i32_i8 v230, v236, v232
	s_waitcnt lgkmcnt(5)
	v_dot4c_i32_i8 v220, v238, v232
	s_waitcnt lgkmcnt(4)
	v_dot4c_i32_i8 v217, v240, v232
	s_waitcnt lgkmcnt(3)
	v_dot4c_i32_i8 v211, v242, v232
	v_dot4c_i32_i8 v230, v237, v233
	v_dot4c_i32_i8 v220, v239, v233
	;; [unrolled: 1-line block ×4, first 2 shown]
	ds_read2_b32 v[232:233], v188 offset0:14 offset1:15
	ds_read_b128 v[188:191], v193 offset:33328
	s_waitcnt lgkmcnt(4)
	v_dot4c_i32_i8 v220, v244, v234
	s_waitcnt lgkmcnt(3)
	v_dot4c_i32_i8 v217, v246, v234
	;; [unrolled: 2-line block ×3, first 2 shown]
	v_dot4c_i32_i8 v220, v245, v235
	v_dot4c_i32_i8 v217, v247, v235
	;; [unrolled: 1-line block ×3, first 2 shown]
	s_waitcnt lgkmcnt(1)
	v_dot4c_i32_i8 v230, v232, v234
	s_waitcnt lgkmcnt(0)
	v_dot4c_i32_i8 v205, v236, v188
	v_dot4c_i32_i8 v203, v238, v188
	;; [unrolled: 1-line block ×17, first 2 shown]
	ds_read_b128 v[188:191], v194 offset:33328
	s_waitcnt lgkmcnt(0)
	v_dot4c_i32_i8 v200, v236, v188
	v_dot4c_i32_i8 v199, v238, v188
	v_dot4c_i32_i8 v206, v240, v188
	v_dot4c_i32_i8 v209, v242, v188
	v_dot4c_i32_i8 v200, v237, v189
	v_dot4c_i32_i8 v199, v239, v189
	v_dot4c_i32_i8 v206, v241, v189
	v_dot4c_i32_i8 v209, v243, v189
	v_dot4c_i32_i8 v200, v232, v190
	v_dot4c_i32_i8 v199, v244, v190
	v_dot4c_i32_i8 v206, v246, v190
	v_dot4c_i32_i8 v209, v248, v190
	v_dot4c_i32_i8 v200, v233, v191
	v_dot4c_i32_i8 v199, v245, v191
	v_dot4c_i32_i8 v206, v247, v191
	v_dot4c_i32_i8 v209, v249, v191
	ds_read_b128 v[188:191], v226 offset:33328
	s_waitcnt lgkmcnt(0)
	v_dot4c_i32_i8 v225, v236, v188
	v_dot4c_i32_i8 v224, v238, v188
	v_dot4c_i32_i8 v223, v240, v188
	v_dot4c_i32_i8 v221, v242, v188
	v_dot4c_i32_i8 v225, v237, v189
	v_dot4c_i32_i8 v224, v239, v189
	v_dot4c_i32_i8 v223, v241, v189
	v_dot4c_i32_i8 v221, v243, v189
	v_dot4c_i32_i8 v225, v232, v190
	v_dot4c_i32_i8 v224, v244, v190
	v_dot4c_i32_i8 v223, v246, v190
	v_dot4c_i32_i8 v221, v248, v190
	v_dot4c_i32_i8 v225, v233, v191
	v_dot4c_i32_i8 v224, v245, v191
	v_dot4c_i32_i8 v223, v247, v191
	v_dot4c_i32_i8 v221, v249, v191
	;; [unrolled: 18-line block ×5, first 2 shown]
	ds_read_b128 v[188:191], v231 offset:33328
	s_waitcnt lgkmcnt(0)
	v_dot4c_i32_i8 v218, v236, v188
	v_dot4c_i32_i8 v216, v238, v188
	;; [unrolled: 1-line block ×4, first 2 shown]
	v_add3_u32 v188, s1, v127, v128
	v_dot4c_i32_i8 v218, v237, v189
	v_dot4c_i32_i8 v216, v239, v189
	;; [unrolled: 1-line block ×4, first 2 shown]
	ds_read_u16 v189, v188
	v_dot4c_i32_i8 v218, v232, v190
	v_dot4c_i32_i8 v216, v244, v190
	;; [unrolled: 1-line block ×8, first 2 shown]
	s_waitcnt lgkmcnt(0)
	v_and_b32_e32 v190, 0xff, v189
	v_and_b32_sdwa v189, v123, v189 dst_sel:DWORD dst_unused:UNUSED_PAD src0_sel:DWORD src1_sel:BYTE_1
	v_mul_lo_u32 v160, v160, v190
	v_mul_lo_u32 v191, v230, v189
	;; [unrolled: 1-line block ×4, first 2 shown]
	v_cvt_f32_i32_e32 v192, v160
	ds_read_b64 v[160:161], v161 offset:43584
	v_cvt_f32_i32_e32 v191, v191
	v_cvt_f32_i32_e32 v162, v162
	s_waitcnt lgkmcnt(0)
	v_fma_mix_f32 v192, v160, v192, 0 op_sel_hi:[1,0,0]
	v_fma_mix_f32 v191, v161, v191, v192 op_sel_hi:[1,0,0]
	v_add3_u32 v192, s1, v129, v124
	ds_read_u16 v193, v192
	s_waitcnt lgkmcnt(0)
	v_and_b32_e32 v194, 0xff, v193
	v_and_b32_sdwa v193, v123, v193 dst_sel:DWORD dst_unused:UNUSED_PAD src0_sel:DWORD src1_sel:BYTE_1
	v_mul_lo_u32 v157, v157, v194
	v_mul_lo_u32 v220, v220, v193
	;; [unrolled: 1-line block ×8, first 2 shown]
	v_cvt_f32_i32_e32 v157, v157
	v_cvt_f32_i32_e32 v220, v220
	;; [unrolled: 1-line block ×5, first 2 shown]
	v_fma_mix_f32 v157, v160, v157, 0 op_sel_hi:[1,0,0]
	v_cvt_f32_i32_e32 v177, v177
	v_cvt_f32_i32_e32 v170, v170
	;; [unrolled: 1-line block ×3, first 2 shown]
	v_mul_lo_u32 v164, v164, v194
	v_fma_mix_f32 v157, v161, v220, v157 op_sel_hi:[1,0,0]
	v_add3_u32 v220, s1, v130, v125
	ds_read_u16 v226, v220
	v_cvt_f32_i32_e32 v164, v164
	s_waitcnt lgkmcnt(0)
	v_and_b32_e32 v227, 0xff, v226
	v_and_b32_sdwa v226, v123, v226 dst_sel:DWORD dst_unused:UNUSED_PAD src0_sel:DWORD src1_sel:BYTE_1
	v_mul_lo_u32 v155, v155, v227
	v_mul_lo_u32 v217, v217, v226
	;; [unrolled: 1-line block ×8, first 2 shown]
	v_cvt_f32_i32_e32 v155, v155
	v_cvt_f32_i32_e32 v217, v217
	;; [unrolled: 1-line block ×5, first 2 shown]
	v_fma_mix_f32 v155, v160, v155, 0 op_sel_hi:[1,0,0]
	v_cvt_f32_i32_e32 v175, v175
	v_cvt_f32_i32_e32 v169, v169
	;; [unrolled: 1-line block ×3, first 2 shown]
	v_mul_lo_u32 v165, v165, v227
	v_fma_mix_f32 v155, v161, v217, v155 op_sel_hi:[1,0,0]
	v_add3_u32 v217, s1, v131, v126
	s_add_i32 s1, s0, 8
	s_cmp_lt_u32 s0, 24
	s_mov_b32 s0, s1
	ds_read_u16 v228, v217
	v_cvt_f32_i32_e32 v165, v165
	s_waitcnt lgkmcnt(0)
	v_and_b32_e32 v229, 0xff, v228
	v_and_b32_sdwa v228, v123, v228 dst_sel:DWORD dst_unused:UNUSED_PAD src0_sel:DWORD src1_sel:BYTE_1
	v_mul_lo_u32 v150, v150, v229
	v_mul_lo_u32 v211, v211, v228
	;; [unrolled: 1-line block ×8, first 2 shown]
	v_cvt_f32_i32_e32 v150, v150
	v_cvt_f32_i32_e32 v211, v211
	v_cvt_f32_i32_e32 v152, v152
	v_cvt_f32_i32_e32 v201, v201
	v_cvt_f32_i32_e32 v179, v179
	v_fma_mix_f32 v150, v160, v150, 0 op_sel_hi:[1,0,0]
	v_cvt_f32_i32_e32 v172, v172
	v_cvt_f32_i32_e32 v168, v168
	;; [unrolled: 1-line block ×3, first 2 shown]
	v_mul_lo_u32 v166, v166, v229
	v_fma_mix_f32 v150, v161, v211, v150 op_sel_hi:[1,0,0]
	ds_read_u16 v188, v188 offset:8
	ds_read_u16 v192, v192 offset:8
	;; [unrolled: 1-line block ×4, first 2 shown]
	v_cvt_f32_i32_e32 v166, v166
	s_waitcnt lgkmcnt(3)
	v_cvt_f32_ubyte0_e32 v220, v188
	s_waitcnt lgkmcnt(2)
	v_cvt_f32_ubyte0_e32 v230, v192
	;; [unrolled: 2-line block ×4, first 2 shown]
	v_cvt_f32_ubyte1_e32 v188, v188
	v_cvt_f32_ubyte1_e32 v192, v192
	;; [unrolled: 1-line block ×4, first 2 shown]
	v_fma_mix_f32 v233, v220, v160, 0 op_sel:[0,1,0] op_sel_hi:[0,1,0]
	v_fma_mix_f32 v234, v230, v160, 0 op_sel:[0,1,0] op_sel_hi:[0,1,0]
	;; [unrolled: 1-line block ×8, first 2 shown]
	v_mul_lo_u32 v161, v205, v189
	v_cvt_f32_i32_e32 v205, v148
	ds_read_b64 v[148:149], v149 offset:43584
	v_mul_f32_e32 v160, v160, v139
	v_cvt_f32_i32_e32 v161, v161
	v_fma_f32 v150, v150, v138, -v160
	v_add_f32_e32 v35, v35, v150
	s_waitcnt lgkmcnt(0)
	v_fma_mix_f32 v156, v148, v156, 0 op_sel_hi:[1,0,0]
	v_fma_mix_f32 v154, v148, v154, 0 op_sel_hi:[1,0,0]
	v_fma_mix_f32 v152, v148, v152, 0 op_sel_hi:[1,0,0]
	v_fma_mix_f32 v205, v148, v205, 0 op_sel_hi:[1,0,0]
	v_fma_mix_f32 v156, v149, v203, v156 op_sel_hi:[1,0,0]
	v_fma_mix_f32 v154, v149, v202, v154 op_sel_hi:[1,0,0]
	v_fma_mix_f32 v152, v149, v201, v152 op_sel_hi:[1,0,0]
	v_fma_mix_f32 v201, v220, v148, 0 op_sel:[0,1,0] op_sel_hi:[0,1,0]
	v_fma_mix_f32 v202, v230, v148, 0 op_sel:[0,1,0] op_sel_hi:[0,1,0]
	;; [unrolled: 1-line block ×4, first 2 shown]
	v_fma_mix_f32 v161, v149, v161, v205 op_sel_hi:[1,0,0]
	v_fma_mix_f32 v201, v188, v149, v201 op_sel:[0,1,0] op_sel_hi:[0,1,0]
	v_fma_mix_f32 v202, v192, v149, v202 op_sel:[0,1,0] op_sel_hi:[0,1,0]
	;; [unrolled: 1-line block ×4, first 2 shown]
	v_mul_lo_u32 v149, v151, v190
	v_lshrrev_b32_e32 v148, 1, v153
	v_mul_lo_u32 v151, v200, v189
	v_mul_f32_e32 v160, v205, v147
	v_cvt_f32_i32_e32 v153, v149
	ds_read_b64 v[148:149], v148 offset:43584
	v_cvt_f32_i32_e32 v151, v151
	v_fma_f32 v152, v152, v146, -v160
	v_add_f32_e32 v36, v36, v152
	s_waitcnt lgkmcnt(0)
	v_fma_mix_f32 v153, v153, v148, 0 op_sel_hi:[0,1,0]
	v_fma_mix_f32 v200, v231, v148, 0 op_sel:[0,1,0] op_sel_hi:[0,1,0]
	v_fma_mix_f32 v151, v151, v149, v153 op_sel_hi:[0,1,0]
	v_mul_lo_u32 v153, v158, v194
	v_mul_lo_u32 v158, v199, v193
	v_fma_mix_f32 v199, v230, v148, 0 op_sel:[0,1,0] op_sel_hi:[0,1,0]
	v_fma_mix_f32 v200, v211, v149, v200 op_sel:[0,1,0] op_sel_hi:[0,1,0]
	v_mul_lo_u32 v194, v198, v228
	v_fma_mix_f32 v199, v192, v149, v199 op_sel:[0,1,0] op_sel_hi:[0,1,0]
	v_cvt_f32_i32_e32 v153, v153
	v_cvt_f32_i32_e32 v158, v158
	v_fma_mix_f32 v153, v153, v148, 0 op_sel_hi:[0,1,0]
	v_fma_mix_f32 v153, v158, v149, v153 op_sel_hi:[0,1,0]
	v_mul_lo_u32 v158, v159, v227
	v_mul_lo_u32 v159, v206, v226
	v_cvt_f32_i32_e32 v158, v158
	v_cvt_f32_i32_e32 v159, v159
	v_fma_mix_f32 v158, v158, v148, 0 op_sel_hi:[0,1,0]
	v_fma_mix_f32 v158, v159, v149, v158 op_sel_hi:[0,1,0]
	v_mul_lo_u32 v159, v163, v229
	v_mul_lo_u32 v163, v209, v228
	v_cvt_f32_i32_e32 v159, v159
	v_cvt_f32_i32_e32 v163, v163
	v_fma_mix_f32 v159, v159, v148, 0 op_sel_hi:[0,1,0]
	v_fma_mix_f32 v159, v163, v149, v159 op_sel_hi:[0,1,0]
	v_fma_mix_f32 v163, v220, v148, 0 op_sel:[0,1,0] op_sel_hi:[0,1,0]
	v_fma_mix_f32 v148, v232, v148, 0 op_sel:[0,1,0] op_sel_hi:[0,1,0]
	;; [unrolled: 1-line block ×4, first 2 shown]
	v_mul_lo_u32 v149, v186, v190
	v_lshrrev_b32_e32 v148, 1, v187
	v_mul_lo_u32 v186, v225, v189
	v_mul_f32_e32 v160, v163, v133
	v_mul_f32_e32 v163, v199, v135
	v_cvt_f32_i32_e32 v187, v149
	ds_read_b64 v[148:149], v148 offset:43584
	v_cvt_f32_i32_e32 v186, v186
	v_fma_f32 v151, v151, v132, -v160
	v_fma_f32 v153, v153, v134, -v163
	v_add_f32_e32 v27, v27, v151
	v_add_f32_e32 v29, v29, v153
	s_waitcnt lgkmcnt(0)
	v_fma_mix_f32 v187, v187, v148, 0 op_sel_hi:[0,1,0]
	v_fma_mix_f32 v185, v185, v148, 0 op_sel_hi:[0,1,0]
	;; [unrolled: 1-line block ×4, first 2 shown]
	v_fma_mix_f32 v209, v230, v148, 0 op_sel:[0,1,0] op_sel_hi:[0,1,0]
	v_fma_mix_f32 v186, v186, v149, v187 op_sel_hi:[0,1,0]
	v_mul_lo_u32 v187, v224, v193
	v_fma_mix_f32 v209, v192, v149, v209 op_sel:[0,1,0] op_sel_hi:[0,1,0]
	v_cvt_f32_i32_e32 v187, v187
	v_mul_f32_e32 v163, v209, v143
	v_fma_mix_f32 v185, v187, v149, v185 op_sel_hi:[0,1,0]
	v_mul_lo_u32 v187, v223, v226
	v_fma_f32 v163, v185, v142, -v163
	v_cvt_f32_i32_e32 v187, v187
	v_add_f32_e32 v30, v30, v163
	v_fma_mix_f32 v184, v187, v149, v184 op_sel_hi:[0,1,0]
	v_mul_lo_u32 v187, v221, v228
	v_fma_mix_f32 v221, v231, v148, 0 op_sel:[0,1,0] op_sel_hi:[0,1,0]
	v_fma_mix_f32 v221, v211, v149, v221 op_sel:[0,1,0] op_sel_hi:[0,1,0]
	v_cvt_f32_i32_e32 v187, v187
	v_fma_mix_f32 v179, v187, v149, v179 op_sel_hi:[0,1,0]
	v_fma_mix_f32 v187, v220, v148, 0 op_sel:[0,1,0] op_sel_hi:[0,1,0]
	v_fma_mix_f32 v148, v232, v148, 0 op_sel:[0,1,0] op_sel_hi:[0,1,0]
	;; [unrolled: 1-line block ×4, first 2 shown]
	v_mul_lo_u32 v149, v180, v190
	v_lshrrev_b32_e32 v148, 1, v182
	v_mul_lo_u32 v180, v222, v189
	v_mul_f32_e32 v160, v187, v141
	v_cvt_f32_i32_e32 v182, v149
	ds_read_b64 v[148:149], v148 offset:43584
	v_cvt_f32_i32_e32 v180, v180
	v_fma_f32 v160, v186, v140, -v160
	v_add_f32_e32 v28, v28, v160
	s_waitcnt lgkmcnt(0)
	v_fma_mix_f32 v182, v182, v148, 0 op_sel_hi:[0,1,0]
	v_fma_mix_f32 v177, v177, v148, 0 op_sel_hi:[0,1,0]
	;; [unrolled: 1-line block ×5, first 2 shown]
	v_mul_lo_u32 v182, v219, v193
	v_cvt_f32_i32_e32 v182, v182
	v_fma_mix_f32 v177, v182, v149, v177 op_sel_hi:[0,1,0]
	v_mul_lo_u32 v182, v215, v226
	v_fma_mix_f32 v215, v231, v148, 0 op_sel:[0,1,0] op_sel_hi:[0,1,0]
	v_fma_mix_f32 v215, v211, v149, v215 op_sel:[0,1,0] op_sel_hi:[0,1,0]
	v_cvt_f32_i32_e32 v182, v182
	v_fma_mix_f32 v175, v182, v149, v175 op_sel_hi:[0,1,0]
	v_mul_lo_u32 v182, v213, v228
	v_fma_mix_f32 v213, v230, v148, 0 op_sel:[0,1,0] op_sel_hi:[0,1,0]
	v_fma_mix_f32 v213, v192, v149, v213 op_sel:[0,1,0] op_sel_hi:[0,1,0]
	v_cvt_f32_i32_e32 v182, v182
	v_fma_mix_f32 v172, v182, v149, v172 op_sel_hi:[0,1,0]
	v_fma_mix_f32 v182, v220, v148, 0 op_sel:[0,1,0] op_sel_hi:[0,1,0]
	v_fma_mix_f32 v148, v232, v148, 0 op_sel:[0,1,0] op_sel_hi:[0,1,0]
	;; [unrolled: 1-line block ×4, first 2 shown]
	v_mul_lo_u32 v149, v171, v190
	v_lshrrev_b32_e32 v148, 1, v173
	v_mul_lo_u32 v171, v212, v189
	v_mul_f32_e32 v182, v182, v133
	v_cvt_f32_i32_e32 v173, v149
	ds_read_b64 v[148:149], v148 offset:43584
	v_cvt_f32_i32_e32 v171, v171
	v_fma_f32 v180, v180, v132, -v182
	v_add_f32_e32 v17, v17, v180
	s_waitcnt lgkmcnt(0)
	v_fma_mix_f32 v173, v173, v148, 0 op_sel_hi:[0,1,0]
	v_fma_mix_f32 v170, v170, v148, 0 op_sel_hi:[0,1,0]
	;; [unrolled: 1-line block ×5, first 2 shown]
	v_mul_lo_u32 v173, v208, v193
	v_cvt_f32_i32_e32 v173, v173
	v_fma_mix_f32 v170, v173, v149, v170 op_sel_hi:[0,1,0]
	v_mul_lo_u32 v173, v207, v226
	v_fma_mix_f32 v207, v231, v148, 0 op_sel:[0,1,0] op_sel_hi:[0,1,0]
	v_fma_mix_f32 v207, v211, v149, v207 op_sel:[0,1,0] op_sel_hi:[0,1,0]
	v_cvt_f32_i32_e32 v173, v173
	v_fma_mix_f32 v169, v173, v149, v169 op_sel_hi:[0,1,0]
	v_mul_lo_u32 v173, v204, v228
	v_fma_mix_f32 v204, v230, v148, 0 op_sel:[0,1,0] op_sel_hi:[0,1,0]
	v_fma_mix_f32 v204, v192, v149, v204 op_sel:[0,1,0] op_sel_hi:[0,1,0]
	v_cvt_f32_i32_e32 v173, v173
	v_fma_mix_f32 v168, v173, v149, v168 op_sel_hi:[0,1,0]
	v_fma_mix_f32 v173, v220, v148, 0 op_sel:[0,1,0] op_sel_hi:[0,1,0]
	v_fma_mix_f32 v148, v232, v148, 0 op_sel:[0,1,0] op_sel_hi:[0,1,0]
	;; [unrolled: 1-line block ×4, first 2 shown]
	v_mul_lo_u32 v149, v181, v190
	v_lshrrev_b32_e32 v148, 1, v183
	v_mul_lo_u32 v181, v218, v189
	v_mul_f32_e32 v173, v173, v141
	v_mul_lo_u32 v189, v195, v189
	v_mul_lo_u32 v190, v196, v193
	v_cvt_f32_i32_e32 v183, v149
	ds_read_b64 v[148:149], v148 offset:43584
	v_cvt_f32_i32_e32 v181, v181
	v_fma_f32 v171, v171, v140, -v173
	v_mul_f32_e32 v173, v213, v135
	v_cvt_f32_i32_e32 v189, v189
	v_add_f32_e32 v18, v18, v171
	v_fma_f32 v173, v177, v134, -v173
	v_mul_f32_e32 v177, v204, v143
	v_add_f32_e32 v19, v19, v173
	v_fma_f32 v170, v170, v142, -v177
	v_mul_f32_e32 v177, v215, v137
	v_add_f32_e32 v20, v20, v170
	s_waitcnt lgkmcnt(0)
	v_fma_mix_f32 v183, v183, v148, 0 op_sel_hi:[0,1,0]
	v_fma_mix_f32 v178, v178, v148, 0 op_sel_hi:[0,1,0]
	;; [unrolled: 1-line block ×4, first 2 shown]
	v_fma_mix_f32 v212, v231, v148, 0 op_sel:[0,1,0] op_sel_hi:[0,1,0]
	v_fma_mix_f32 v181, v181, v149, v183 op_sel_hi:[0,1,0]
	v_mul_lo_u32 v183, v216, v193
	v_fma_f32 v175, v175, v136, -v177
	v_mul_f32_e32 v177, v207, v145
	v_fma_mix_f32 v212, v211, v149, v212 op_sel:[0,1,0] op_sel_hi:[0,1,0]
	v_mul_lo_u32 v193, v197, v226
	v_add_f32_e32 v21, v21, v175
	v_fma_f32 v169, v169, v144, -v177
	v_cvt_f32_i32_e32 v183, v183
	v_mul_f32_e32 v177, v219, v139
	v_add_f32_e32 v22, v22, v169
	v_fma_mix_f32 v178, v183, v149, v178 op_sel_hi:[0,1,0]
	v_mul_lo_u32 v183, v214, v226
	v_fma_f32 v172, v172, v138, -v177
	v_mul_f32_e32 v177, v208, v147
	v_add_f32_e32 v15, v15, v172
	v_fma_f32 v168, v168, v146, -v177
	v_cvt_f32_i32_e32 v183, v183
	v_add_f32_e32 v16, v16, v168
	v_fma_mix_f32 v176, v183, v149, v176 op_sel_hi:[0,1,0]
	v_mul_lo_u32 v183, v210, v228
	v_fma_mix_f32 v210, v230, v148, 0 op_sel:[0,1,0] op_sel_hi:[0,1,0]
	v_fma_mix_f32 v210, v192, v149, v210 op_sel:[0,1,0] op_sel_hi:[0,1,0]
	v_cvt_f32_i32_e32 v183, v183
	v_fma_mix_f32 v174, v183, v149, v174 op_sel_hi:[0,1,0]
	v_fma_mix_f32 v183, v220, v148, 0 op_sel:[0,1,0] op_sel_hi:[0,1,0]
	v_fma_mix_f32 v148, v232, v148, 0 op_sel:[0,1,0] op_sel_hi:[0,1,0]
	;; [unrolled: 1-line block ×4, first 2 shown]
	v_lshrrev_b32_e32 v148, 1, v167
	ds_read_b64 v[148:149], v148 offset:43584
	s_waitcnt lgkmcnt(0)
	v_fma_mix_f32 v167, v220, v148, 0 op_sel:[0,1,0] op_sel_hi:[0,1,0]
	v_fma_mix_f32 v162, v162, v148, 0 op_sel_hi:[0,1,0]
	v_fma_mix_f32 v164, v164, v148, 0 op_sel_hi:[0,1,0]
	;; [unrolled: 1-line block ×3, first 2 shown]
	v_fma_mix_f32 v167, v188, v149, v167 op_sel:[0,1,0] op_sel_hi:[0,1,0]
	v_fma_mix_f32 v188, v230, v148, 0 op_sel:[0,1,0] op_sel_hi:[0,1,0]
	v_fma_mix_f32 v162, v189, v149, v162 op_sel_hi:[0,1,0]
	v_cvt_f32_i32_e32 v189, v190
	v_mul_f32_e32 v167, v167, v133
	v_fma_mix_f32 v188, v192, v149, v188 op_sel:[0,1,0] op_sel_hi:[0,1,0]
	v_fma_mix_f32 v192, v231, v148, 0 op_sel:[0,1,0] op_sel_hi:[0,1,0]
	v_fma_mix_f32 v164, v189, v149, v164 op_sel_hi:[0,1,0]
	v_cvt_f32_i32_e32 v189, v193
	v_fma_f32 v162, v162, v132, -v167
	v_mul_f32_e32 v177, v188, v135
	v_fma_mix_f32 v192, v211, v149, v192 op_sel:[0,1,0] op_sel_hi:[0,1,0]
	v_fma_mix_f32 v211, v232, v148, 0 op_sel:[0,1,0] op_sel_hi:[0,1,0]
	v_fma_mix_f32 v148, v166, v148, 0 op_sel_hi:[0,1,0]
	v_mul_f32_e32 v166, v201, v141
	v_fma_f32 v164, v164, v134, -v177
	v_mul_f32_e32 v177, v210, v143
	v_fma_mix_f32 v165, v189, v149, v165 op_sel_hi:[0,1,0]
	v_fma_mix_f32 v211, v217, v149, v211 op_sel:[0,1,0] op_sel_hi:[0,1,0]
	v_fma_f32 v161, v161, v140, -v166
	v_mul_f32_e32 v166, v234, v135
	v_fma_f32 v177, v178, v142, -v177
	v_mul_f32_e32 v178, v192, v137
	v_cvt_f32_i32_e32 v189, v194
	v_mul_f32_e32 v167, v183, v141
	v_fma_f32 v157, v157, v134, -v166
	v_mul_f32_e32 v166, v202, v143
	v_fma_f32 v165, v165, v136, -v178
	v_mul_f32_e32 v178, v212, v145
	v_fma_mix_f32 v148, v189, v149, v148 op_sel_hi:[0,1,0]
	v_mul_f32_e32 v149, v233, v133
	v_fma_f32 v156, v156, v142, -v166
	v_mul_f32_e32 v166, v235, v137
	v_fma_f32 v176, v176, v144, -v178
	;; [unrolled: 2-line block ×3, first 2 shown]
	v_fma_f32 v167, v181, v140, -v167
	v_fma_f32 v155, v155, v136, -v166
	v_mul_f32_e32 v166, v203, v145
	v_fma_f32 v148, v148, v138, -v178
	v_mul_f32_e32 v178, v214, v147
	v_add_f32_e32 v3, v3, v161
	v_add_f32_e32 v2, v2, v149
	v_fma_f32 v154, v154, v144, -v166
	v_mul_f32_e32 v166, v200, v137
	v_fma_f32 v174, v174, v146, -v178
	v_add_f32_e32 v32, v32, v156
	v_add_f32_e32 v31, v31, v157
	v_add_f32_e32 v34, v34, v154
	v_fma_f32 v158, v158, v136, -v166
	v_mul_f32_e32 v166, v221, v145
	v_add_f32_e32 v33, v33, v155
	v_add_f32_e32 v6, v6, v167
	v_add_f32_e32 v5, v5, v162
	v_add_f32_e32 v23, v23, v158
	v_fma_f32 v166, v184, v144, -v166
	v_mul_f32_e32 v184, v206, v139
	v_add_f32_e32 v8, v8, v177
	;; [unrolled: 6-line block ×3, first 2 shown]
	v_add_f32_e32 v12, v12, v174
	v_add_f32_e32 v11, v11, v148
	;; [unrolled: 1-line block ×3, first 2 shown]
	v_fma_f32 v179, v179, v146, -v184
	v_add_f32_e32 v26, v26, v179
	s_cbranch_scc1 .LBB153_8
; %bb.9:                                ;   in Loop: Header=BB153_5 Depth=1
	s_add_i32 s11, s11, 1
	s_cmp_eq_u32 s11, s4
	s_barrier
	buffer_gl0_inv
	s_cbranch_scc0 .LBB153_5
; %bb.10:
	v_cvt_f16_f32_e32 v3, v3
	v_cvt_f16_f32_e32 v2, v2
	;; [unrolled: 1-line block ×6, first 2 shown]
	v_pack_b32_f16 v32, v2, v3
	v_cvt_f16_f32_e32 v2, v33
	v_cvt_f16_f32_e32 v3, v36
	;; [unrolled: 1-line block ×4, first 2 shown]
	v_pack_b32_f16 v31, v13, v4
	v_pack_b32_f16 v30, v2, v14
	v_cvt_f16_f32_e32 v2, v24
	v_pack_b32_f16 v29, v33, v3
	v_cvt_f16_f32_e32 v3, v23
	v_cvt_f16_f32_e32 v4, v26
	;; [unrolled: 1-line block ×11, first 2 shown]
	v_pack_b32_f16 v19, v3, v2
	v_pack_b32_f16 v18, v13, v4
	v_cvt_f16_f32_e32 v2, v16
	v_cvt_f16_f32_e32 v3, v15
	;; [unrolled: 1-line block ×10, first 2 shown]
	v_pack_b32_f16 v28, v27, v28
	v_pack_b32_f16 v27, v35, v34
	;; [unrolled: 1-line block ×10, first 2 shown]
	v_mov_b32_e32 v6, v37
.LBB153_11:
	s_mov_b32 s0, exec_lo
	v_cmpx_gt_u32_e64 s8, v6
	s_cbranch_execz .LBB153_62
; %bb.12:
	v_add_nc_u32_e32 v0, s6, v0
	v_mul_lo_u32 v10, v6, s10
	v_cmp_gt_u32_e32 vcc_lo, s10, v0
	s_and_saveexec_b32 s1, vcc_lo
	s_cbranch_execz .LBB153_14
; %bb.13:
	v_add_nc_u32_e32 v6, v0, v10
	v_mov_b32_e32 v7, 0
	v_lshlrev_b64 v[6:7], 1, v[6:7]
	s_waitcnt lgkmcnt(0)
	v_add_co_u32 v6, s0, s12, v6
	v_add_co_ci_u32_e64 v7, null, s13, v7, s0
	global_store_short v[6:7], v32, off
.LBB153_14:
	s_or_b32 exec_lo, exec_lo, s1
	v_add_nc_u32_e32 v6, 32, v0
	v_cmp_gt_u32_e64 s0, s10, v6
	s_and_saveexec_b32 s2, s0
	s_cbranch_execz .LBB153_16
; %bb.15:
	v_add_nc_u32_e32 v7, v6, v10
	v_mov_b32_e32 v8, 0
	v_lshlrev_b64 v[7:8], 1, v[7:8]
	s_waitcnt lgkmcnt(0)
	v_add_co_u32 v7, s1, s12, v7
	v_add_co_ci_u32_e64 v8, null, s13, v8, s1
	global_store_short v[7:8], v31, off
.LBB153_16:
	s_or_b32 exec_lo, exec_lo, s2
	v_add_nc_u32_e32 v7, 64, v0
	v_cmp_gt_u32_e64 s1, s10, v7
	s_and_saveexec_b32 s3, s1
	;; [unrolled: 14-line block ×3, first 2 shown]
	s_cbranch_execz .LBB153_20
; %bb.19:
	v_add_nc_u32_e32 v10, v8, v10
	v_mov_b32_e32 v11, 0
	v_lshlrev_b64 v[10:11], 1, v[10:11]
	s_waitcnt lgkmcnt(0)
	v_add_co_u32 v10, s3, s12, v10
	v_add_co_ci_u32_e64 v11, null, s13, v11, s3
	global_store_short v[10:11], v29, off
.LBB153_20:
	s_or_b32 exec_lo, exec_lo, s4
	v_add3_u32 v10, v1, s7, 8
	v_cmp_gt_u32_e64 s3, s8, v10
	s_and_b32 exec_lo, exec_lo, s3
	s_cbranch_execz .LBB153_62
; %bb.21:
	v_mul_lo_u32 v10, v10, s10
	s_and_saveexec_b32 s4, vcc_lo
	s_cbranch_execnz .LBB153_63
; %bb.22:
	s_or_b32 exec_lo, exec_lo, s4
	s_and_saveexec_b32 s4, s0
	s_cbranch_execnz .LBB153_64
.LBB153_23:
	s_or_b32 exec_lo, exec_lo, s4
	s_and_saveexec_b32 s4, s1
	s_cbranch_execnz .LBB153_65
.LBB153_24:
	s_or_b32 exec_lo, exec_lo, s4
	s_and_saveexec_b32 s4, s2
	s_cbranch_execz .LBB153_26
.LBB153_25:
	v_add_nc_u32_e32 v10, v10, v8
	v_mov_b32_e32 v11, 0
	v_lshlrev_b64 v[10:11], 1, v[10:11]
	s_waitcnt lgkmcnt(0)
	v_add_co_u32 v10, s3, s12, v10
	v_add_co_ci_u32_e64 v11, null, s13, v11, s3
	global_store_short_d16_hi v[10:11], v29, off
.LBB153_26:
	s_or_b32 exec_lo, exec_lo, s4
	v_add3_u32 v10, v1, s7, 16
	v_cmp_gt_u32_e64 s3, s8, v10
	s_and_b32 exec_lo, exec_lo, s3
	s_cbranch_execz .LBB153_62
; %bb.27:
	v_mul_lo_u32 v10, v10, s10
	s_and_saveexec_b32 s4, vcc_lo
	s_cbranch_execnz .LBB153_66
; %bb.28:
	s_or_b32 exec_lo, exec_lo, s4
	s_and_saveexec_b32 s4, s0
	s_cbranch_execnz .LBB153_67
.LBB153_29:
	s_or_b32 exec_lo, exec_lo, s4
	s_and_saveexec_b32 s4, s1
	s_cbranch_execnz .LBB153_68
.LBB153_30:
	s_or_b32 exec_lo, exec_lo, s4
	s_and_saveexec_b32 s4, s2
	s_cbranch_execz .LBB153_32
.LBB153_31:
	v_add_nc_u32_e32 v10, v10, v8
	v_mov_b32_e32 v11, 0
	v_lshlrev_b64 v[10:11], 1, v[10:11]
	s_waitcnt lgkmcnt(0)
	v_add_co_u32 v10, s3, s12, v10
	v_add_co_ci_u32_e64 v11, null, s13, v11, s3
	global_store_short v[10:11], v18, off
.LBB153_32:
	s_or_b32 exec_lo, exec_lo, s4
	v_add3_u32 v10, v1, s7, 24
	v_cmp_gt_u32_e64 s3, s8, v10
	s_and_b32 exec_lo, exec_lo, s3
	s_cbranch_execz .LBB153_62
; %bb.33:
	v_mul_lo_u32 v10, v10, s10
	s_and_saveexec_b32 s4, vcc_lo
	s_cbranch_execnz .LBB153_69
; %bb.34:
	s_or_b32 exec_lo, exec_lo, s4
	s_and_saveexec_b32 s4, s0
	s_cbranch_execnz .LBB153_70
.LBB153_35:
	s_or_b32 exec_lo, exec_lo, s4
	s_and_saveexec_b32 s4, s1
	s_cbranch_execnz .LBB153_71
.LBB153_36:
	s_or_b32 exec_lo, exec_lo, s4
	s_and_saveexec_b32 s4, s2
	s_cbranch_execz .LBB153_38
.LBB153_37:
	v_add_nc_u32_e32 v10, v10, v8
	v_mov_b32_e32 v11, 0
	v_lshlrev_b64 v[10:11], 1, v[10:11]
	s_waitcnt lgkmcnt(0)
	v_add_co_u32 v10, s3, s12, v10
	v_add_co_ci_u32_e64 v11, null, s13, v11, s3
	global_store_short_d16_hi v[10:11], v18, off
.LBB153_38:
	s_or_b32 exec_lo, exec_lo, s4
	v_add3_u32 v10, v1, s7, 32
	v_cmp_gt_u32_e64 s3, s8, v10
	s_and_b32 exec_lo, exec_lo, s3
	s_cbranch_execz .LBB153_62
; %bb.39:
	v_mul_lo_u32 v10, v10, s10
	s_and_saveexec_b32 s4, vcc_lo
	s_cbranch_execnz .LBB153_72
; %bb.40:
	s_or_b32 exec_lo, exec_lo, s4
	s_and_saveexec_b32 s4, s0
	s_cbranch_execnz .LBB153_73
.LBB153_41:
	s_or_b32 exec_lo, exec_lo, s4
	s_and_saveexec_b32 s4, s1
	s_cbranch_execnz .LBB153_74
.LBB153_42:
	s_or_b32 exec_lo, exec_lo, s4
	s_and_saveexec_b32 s4, s2
	s_cbranch_execz .LBB153_44
.LBB153_43:
	v_add_nc_u32_e32 v10, v10, v8
	v_mov_b32_e32 v11, 0
	v_lshlrev_b64 v[10:11], 1, v[10:11]
	s_waitcnt lgkmcnt(0)
	v_add_co_u32 v10, s3, s12, v10
	v_add_co_ci_u32_e64 v11, null, s13, v11, s3
	global_store_short v[10:11], v9, off
.LBB153_44:
	s_or_b32 exec_lo, exec_lo, s4
	v_add3_u32 v10, v1, s7, 40
	v_cmp_gt_u32_e64 s3, s8, v10
	s_and_b32 exec_lo, exec_lo, s3
	s_cbranch_execz .LBB153_62
; %bb.45:
	v_mul_lo_u32 v10, v10, s10
	s_and_saveexec_b32 s4, vcc_lo
	s_cbranch_execnz .LBB153_75
; %bb.46:
	s_or_b32 exec_lo, exec_lo, s4
	s_and_saveexec_b32 s4, s0
	s_cbranch_execnz .LBB153_76
.LBB153_47:
	s_or_b32 exec_lo, exec_lo, s4
	s_and_saveexec_b32 s4, s1
	s_cbranch_execnz .LBB153_77
.LBB153_48:
	s_or_b32 exec_lo, exec_lo, s4
	s_and_saveexec_b32 s4, s2
	s_cbranch_execz .LBB153_50
.LBB153_49:
	v_add_nc_u32_e32 v10, v10, v8
	v_mov_b32_e32 v11, 0
	v_lshlrev_b64 v[10:11], 1, v[10:11]
	s_waitcnt lgkmcnt(0)
	v_add_co_u32 v10, s3, s12, v10
	v_add_co_ci_u32_e64 v11, null, s13, v11, s3
	global_store_short_d16_hi v[10:11], v9, off
.LBB153_50:
	s_or_b32 exec_lo, exec_lo, s4
	v_add3_u32 v9, v1, s7, 48
	v_cmp_gt_u32_e64 s3, s8, v9
	s_and_b32 exec_lo, exec_lo, s3
	s_cbranch_execz .LBB153_62
; %bb.51:
	v_mul_lo_u32 v9, v9, s10
	s_and_saveexec_b32 s4, vcc_lo
	s_cbranch_execnz .LBB153_78
; %bb.52:
	s_or_b32 exec_lo, exec_lo, s4
	s_and_saveexec_b32 s4, s0
	s_cbranch_execnz .LBB153_79
.LBB153_53:
	s_or_b32 exec_lo, exec_lo, s4
	s_and_saveexec_b32 s4, s1
	s_cbranch_execnz .LBB153_80
.LBB153_54:
	s_or_b32 exec_lo, exec_lo, s4
	s_and_saveexec_b32 s4, s2
	s_cbranch_execz .LBB153_56
.LBB153_55:
	v_add_nc_u32_e32 v9, v9, v8
	v_mov_b32_e32 v10, 0
	v_lshlrev_b64 v[9:10], 1, v[9:10]
	s_waitcnt lgkmcnt(0)
	v_add_co_u32 v9, s3, s12, v9
	v_add_co_ci_u32_e64 v10, null, s13, v10, s3
	global_store_short v[9:10], v2, off
.LBB153_56:
	s_or_b32 exec_lo, exec_lo, s4
	v_add3_u32 v1, v1, s7, 56
	v_cmp_gt_u32_e64 s3, s8, v1
	s_and_b32 exec_lo, exec_lo, s3
	s_cbranch_execz .LBB153_62
; %bb.57:
	v_mul_lo_u32 v1, v1, s10
	s_and_saveexec_b32 s3, vcc_lo
	s_cbranch_execnz .LBB153_81
; %bb.58:
	s_or_b32 exec_lo, exec_lo, s3
	s_and_saveexec_b32 s3, s0
	s_cbranch_execnz .LBB153_82
.LBB153_59:
	s_or_b32 exec_lo, exec_lo, s3
	s_and_saveexec_b32 s0, s1
	s_cbranch_execnz .LBB153_83
.LBB153_60:
	s_or_b32 exec_lo, exec_lo, s0
	s_and_b32 exec_lo, exec_lo, s2
	s_cbranch_execz .LBB153_62
.LBB153_61:
	v_add_nc_u32_e32 v0, v1, v8
	v_mov_b32_e32 v1, 0
	v_lshlrev_b64 v[0:1], 1, v[0:1]
	s_waitcnt lgkmcnt(0)
	v_add_co_u32 v0, vcc_lo, s12, v0
	v_add_co_ci_u32_e64 v1, null, s13, v1, vcc_lo
	global_store_short_d16_hi v[0:1], v2, off
.LBB153_62:
	s_endpgm
.LBB153_63:
	v_add_nc_u32_e32 v11, v10, v0
	v_mov_b32_e32 v12, 0
	v_lshlrev_b64 v[11:12], 1, v[11:12]
	s_waitcnt lgkmcnt(0)
	v_add_co_u32 v11, s3, s12, v11
	v_add_co_ci_u32_e64 v12, null, s13, v12, s3
	global_store_short_d16_hi v[11:12], v32, off
	s_or_b32 exec_lo, exec_lo, s4
	s_and_saveexec_b32 s4, s0
	s_cbranch_execz .LBB153_23
.LBB153_64:
	v_add_nc_u32_e32 v11, v10, v6
	v_mov_b32_e32 v12, 0
	v_lshlrev_b64 v[11:12], 1, v[11:12]
	s_waitcnt lgkmcnt(0)
	v_add_co_u32 v11, s3, s12, v11
	v_add_co_ci_u32_e64 v12, null, s13, v12, s3
	global_store_short_d16_hi v[11:12], v31, off
	s_or_b32 exec_lo, exec_lo, s4
	s_and_saveexec_b32 s4, s1
	s_cbranch_execz .LBB153_24
.LBB153_65:
	v_add_nc_u32_e32 v11, v10, v7
	v_mov_b32_e32 v12, 0
	v_lshlrev_b64 v[11:12], 1, v[11:12]
	s_waitcnt lgkmcnt(0)
	v_add_co_u32 v11, s3, s12, v11
	v_add_co_ci_u32_e64 v12, null, s13, v12, s3
	global_store_short_d16_hi v[11:12], v30, off
	s_or_b32 exec_lo, exec_lo, s4
	s_and_saveexec_b32 s4, s2
	s_cbranch_execnz .LBB153_25
	s_branch .LBB153_26
.LBB153_66:
	v_add_nc_u32_e32 v11, v10, v0
	v_mov_b32_e32 v12, 0
	v_lshlrev_b64 v[11:12], 1, v[11:12]
	s_waitcnt lgkmcnt(0)
	v_add_co_u32 v11, s3, s12, v11
	v_add_co_ci_u32_e64 v12, null, s13, v12, s3
	global_store_short v[11:12], v28, off
	s_or_b32 exec_lo, exec_lo, s4
	s_and_saveexec_b32 s4, s0
	s_cbranch_execz .LBB153_29
.LBB153_67:
	v_add_nc_u32_e32 v11, v10, v6
	v_mov_b32_e32 v12, 0
	v_lshlrev_b64 v[11:12], 1, v[11:12]
	s_waitcnt lgkmcnt(0)
	v_add_co_u32 v11, s3, s12, v11
	v_add_co_ci_u32_e64 v12, null, s13, v12, s3
	global_store_short v[11:12], v27, off
	s_or_b32 exec_lo, exec_lo, s4
	s_and_saveexec_b32 s4, s1
	s_cbranch_execz .LBB153_30
.LBB153_68:
	v_add_nc_u32_e32 v11, v10, v7
	v_mov_b32_e32 v12, 0
	v_lshlrev_b64 v[11:12], 1, v[11:12]
	s_waitcnt lgkmcnt(0)
	v_add_co_u32 v11, s3, s12, v11
	v_add_co_ci_u32_e64 v12, null, s13, v12, s3
	global_store_short v[11:12], v19, off
	s_or_b32 exec_lo, exec_lo, s4
	s_and_saveexec_b32 s4, s2
	s_cbranch_execnz .LBB153_31
	s_branch .LBB153_32
.LBB153_69:
	v_add_nc_u32_e32 v11, v10, v0
	v_mov_b32_e32 v12, 0
	v_lshlrev_b64 v[11:12], 1, v[11:12]
	s_waitcnt lgkmcnt(0)
	v_add_co_u32 v11, s3, s12, v11
	v_add_co_ci_u32_e64 v12, null, s13, v12, s3
	global_store_short_d16_hi v[11:12], v28, off
	s_or_b32 exec_lo, exec_lo, s4
	s_and_saveexec_b32 s4, s0
	s_cbranch_execz .LBB153_35
.LBB153_70:
	v_add_nc_u32_e32 v11, v10, v6
	v_mov_b32_e32 v12, 0
	v_lshlrev_b64 v[11:12], 1, v[11:12]
	s_waitcnt lgkmcnt(0)
	v_add_co_u32 v11, s3, s12, v11
	v_add_co_ci_u32_e64 v12, null, s13, v12, s3
	global_store_short_d16_hi v[11:12], v27, off
	s_or_b32 exec_lo, exec_lo, s4
	s_and_saveexec_b32 s4, s1
	s_cbranch_execz .LBB153_36
.LBB153_71:
	v_add_nc_u32_e32 v11, v10, v7
	v_mov_b32_e32 v12, 0
	v_lshlrev_b64 v[11:12], 1, v[11:12]
	s_waitcnt lgkmcnt(0)
	v_add_co_u32 v11, s3, s12, v11
	v_add_co_ci_u32_e64 v12, null, s13, v12, s3
	global_store_short_d16_hi v[11:12], v19, off
	s_or_b32 exec_lo, exec_lo, s4
	s_and_saveexec_b32 s4, s2
	s_cbranch_execnz .LBB153_37
	s_branch .LBB153_38
.LBB153_72:
	v_add_nc_u32_e32 v11, v10, v0
	v_mov_b32_e32 v12, 0
	v_lshlrev_b64 v[11:12], 1, v[11:12]
	s_waitcnt lgkmcnt(0)
	v_add_co_u32 v11, s3, s12, v11
	v_add_co_ci_u32_e64 v12, null, s13, v12, s3
	global_store_short v[11:12], v17, off
	s_or_b32 exec_lo, exec_lo, s4
	s_and_saveexec_b32 s4, s0
	s_cbranch_execz .LBB153_41
.LBB153_73:
	v_add_nc_u32_e32 v11, v10, v6
	v_mov_b32_e32 v12, 0
	v_lshlrev_b64 v[11:12], 1, v[11:12]
	s_waitcnt lgkmcnt(0)
	v_add_co_u32 v11, s3, s12, v11
	v_add_co_ci_u32_e64 v12, null, s13, v12, s3
	global_store_short v[11:12], v14, off
	s_or_b32 exec_lo, exec_lo, s4
	s_and_saveexec_b32 s4, s1
	s_cbranch_execz .LBB153_42
.LBB153_74:
	v_add_nc_u32_e32 v11, v10, v7
	v_mov_b32_e32 v12, 0
	v_lshlrev_b64 v[11:12], 1, v[11:12]
	s_waitcnt lgkmcnt(0)
	v_add_co_u32 v11, s3, s12, v11
	v_add_co_ci_u32_e64 v12, null, s13, v12, s3
	global_store_short v[11:12], v13, off
	s_or_b32 exec_lo, exec_lo, s4
	s_and_saveexec_b32 s4, s2
	s_cbranch_execnz .LBB153_43
	s_branch .LBB153_44
.LBB153_75:
	v_add_nc_u32_e32 v11, v10, v0
	v_mov_b32_e32 v12, 0
	v_lshlrev_b64 v[11:12], 1, v[11:12]
	s_waitcnt lgkmcnt(0)
	v_add_co_u32 v11, s3, s12, v11
	v_add_co_ci_u32_e64 v12, null, s13, v12, s3
	global_store_short_d16_hi v[11:12], v17, off
	s_or_b32 exec_lo, exec_lo, s4
	s_and_saveexec_b32 s4, s0
	s_cbranch_execz .LBB153_47
.LBB153_76:
	v_add_nc_u32_e32 v11, v10, v6
	v_mov_b32_e32 v12, 0
	v_lshlrev_b64 v[11:12], 1, v[11:12]
	s_waitcnt lgkmcnt(0)
	v_add_co_u32 v11, s3, s12, v11
	v_add_co_ci_u32_e64 v12, null, s13, v12, s3
	global_store_short_d16_hi v[11:12], v14, off
	s_or_b32 exec_lo, exec_lo, s4
	s_and_saveexec_b32 s4, s1
	s_cbranch_execz .LBB153_48
.LBB153_77:
	v_add_nc_u32_e32 v11, v10, v7
	v_mov_b32_e32 v12, 0
	v_lshlrev_b64 v[11:12], 1, v[11:12]
	s_waitcnt lgkmcnt(0)
	v_add_co_u32 v11, s3, s12, v11
	v_add_co_ci_u32_e64 v12, null, s13, v12, s3
	global_store_short_d16_hi v[11:12], v13, off
	s_or_b32 exec_lo, exec_lo, s4
	s_and_saveexec_b32 s4, s2
	s_cbranch_execnz .LBB153_49
	s_branch .LBB153_50
.LBB153_78:
	v_add_nc_u32_e32 v10, v9, v0
	v_mov_b32_e32 v11, 0
	v_lshlrev_b64 v[10:11], 1, v[10:11]
	s_waitcnt lgkmcnt(0)
	v_add_co_u32 v10, s3, s12, v10
	v_add_co_ci_u32_e64 v11, null, s13, v11, s3
	global_store_short v[10:11], v5, off
	s_or_b32 exec_lo, exec_lo, s4
	s_and_saveexec_b32 s4, s0
	s_cbranch_execz .LBB153_53
.LBB153_79:
	v_add_nc_u32_e32 v10, v9, v6
	v_mov_b32_e32 v11, 0
	v_lshlrev_b64 v[10:11], 1, v[10:11]
	s_waitcnt lgkmcnt(0)
	v_add_co_u32 v10, s3, s12, v10
	v_add_co_ci_u32_e64 v11, null, s13, v11, s3
	global_store_short v[10:11], v4, off
	s_or_b32 exec_lo, exec_lo, s4
	s_and_saveexec_b32 s4, s1
	s_cbranch_execz .LBB153_54
.LBB153_80:
	v_add_nc_u32_e32 v10, v9, v7
	v_mov_b32_e32 v11, 0
	v_lshlrev_b64 v[10:11], 1, v[10:11]
	s_waitcnt lgkmcnt(0)
	v_add_co_u32 v10, s3, s12, v10
	v_add_co_ci_u32_e64 v11, null, s13, v11, s3
	global_store_short v[10:11], v3, off
	s_or_b32 exec_lo, exec_lo, s4
	s_and_saveexec_b32 s4, s2
	s_cbranch_execnz .LBB153_55
	s_branch .LBB153_56
.LBB153_81:
	v_add_nc_u32_e32 v9, v1, v0
	v_mov_b32_e32 v10, 0
	v_lshlrev_b64 v[9:10], 1, v[9:10]
	s_waitcnt lgkmcnt(0)
	v_add_co_u32 v9, vcc_lo, s12, v9
	v_add_co_ci_u32_e64 v10, null, s13, v10, vcc_lo
	global_store_short_d16_hi v[9:10], v5, off
	s_or_b32 exec_lo, exec_lo, s3
	s_and_saveexec_b32 s3, s0
	s_cbranch_execz .LBB153_59
.LBB153_82:
	v_add_nc_u32_e32 v5, v1, v6
	v_mov_b32_e32 v6, 0
	v_lshlrev_b64 v[5:6], 1, v[5:6]
	s_waitcnt lgkmcnt(0)
	v_add_co_u32 v5, vcc_lo, s12, v5
	v_add_co_ci_u32_e64 v6, null, s13, v6, vcc_lo
	global_store_short_d16_hi v[5:6], v4, off
	s_or_b32 exec_lo, exec_lo, s3
	s_and_saveexec_b32 s0, s1
	s_cbranch_execz .LBB153_60
.LBB153_83:
	v_add_nc_u32_e32 v4, v1, v7
	v_mov_b32_e32 v5, 0
	v_lshlrev_b64 v[4:5], 1, v[4:5]
	s_waitcnt lgkmcnt(0)
	v_add_co_u32 v4, vcc_lo, s12, v4
	v_add_co_ci_u32_e64 v5, null, s13, v5, vcc_lo
	global_store_short_d16_hi v[4:5], v3, off
	s_or_b32 exec_lo, exec_lo, s0
	s_and_b32 exec_lo, exec_lo, s2
	s_cbranch_execnz .LBB153_61
	s_branch .LBB153_62
	.section	.rodata,"a",@progbits
	.p2align	6, 0x0
	.amdhsa_kernel _ZL12mul_mat_q5_KIN3c104HalfELb0EEvPKvS3_PT_iiiii
		.amdhsa_group_segment_fixed_size 45136
		.amdhsa_private_segment_fixed_size 0
		.amdhsa_kernarg_size 44
		.amdhsa_user_sgpr_count 6
		.amdhsa_user_sgpr_private_segment_buffer 1
		.amdhsa_user_sgpr_dispatch_ptr 0
		.amdhsa_user_sgpr_queue_ptr 0
		.amdhsa_user_sgpr_kernarg_segment_ptr 1
		.amdhsa_user_sgpr_dispatch_id 0
		.amdhsa_user_sgpr_flat_scratch_init 0
		.amdhsa_user_sgpr_private_segment_size 0
		.amdhsa_wavefront_size32 1
		.amdhsa_uses_dynamic_stack 0
		.amdhsa_system_sgpr_private_segment_wavefront_offset 0
		.amdhsa_system_sgpr_workgroup_id_x 1
		.amdhsa_system_sgpr_workgroup_id_y 1
		.amdhsa_system_sgpr_workgroup_id_z 0
		.amdhsa_system_sgpr_workgroup_info 0
		.amdhsa_system_vgpr_workitem_id 1
		.amdhsa_next_free_vgpr 252
		.amdhsa_next_free_sgpr 17
		.amdhsa_reserve_vcc 1
		.amdhsa_reserve_flat_scratch 0
		.amdhsa_float_round_mode_32 0
		.amdhsa_float_round_mode_16_64 0
		.amdhsa_float_denorm_mode_32 3
		.amdhsa_float_denorm_mode_16_64 3
		.amdhsa_dx10_clamp 1
		.amdhsa_ieee_mode 1
		.amdhsa_fp16_overflow 0
		.amdhsa_workgroup_processor_mode 1
		.amdhsa_memory_ordered 1
		.amdhsa_forward_progress 1
		.amdhsa_shared_vgpr_count 0
		.amdhsa_exception_fp_ieee_invalid_op 0
		.amdhsa_exception_fp_denorm_src 0
		.amdhsa_exception_fp_ieee_div_zero 0
		.amdhsa_exception_fp_ieee_overflow 0
		.amdhsa_exception_fp_ieee_underflow 0
		.amdhsa_exception_fp_ieee_inexact 0
		.amdhsa_exception_int_div_zero 0
	.end_amdhsa_kernel
	.section	.text._ZL12mul_mat_q5_KIN3c104HalfELb0EEvPKvS3_PT_iiiii,"axG",@progbits,_ZL12mul_mat_q5_KIN3c104HalfELb0EEvPKvS3_PT_iiiii,comdat
.Lfunc_end153:
	.size	_ZL12mul_mat_q5_KIN3c104HalfELb0EEvPKvS3_PT_iiiii, .Lfunc_end153-_ZL12mul_mat_q5_KIN3c104HalfELb0EEvPKvS3_PT_iiiii
                                        ; -- End function
	.set _ZL12mul_mat_q5_KIN3c104HalfELb0EEvPKvS3_PT_iiiii.num_vgpr, 252
	.set _ZL12mul_mat_q5_KIN3c104HalfELb0EEvPKvS3_PT_iiiii.num_agpr, 0
	.set _ZL12mul_mat_q5_KIN3c104HalfELb0EEvPKvS3_PT_iiiii.numbered_sgpr, 17
	.set _ZL12mul_mat_q5_KIN3c104HalfELb0EEvPKvS3_PT_iiiii.num_named_barrier, 0
	.set _ZL12mul_mat_q5_KIN3c104HalfELb0EEvPKvS3_PT_iiiii.private_seg_size, 0
	.set _ZL12mul_mat_q5_KIN3c104HalfELb0EEvPKvS3_PT_iiiii.uses_vcc, 1
	.set _ZL12mul_mat_q5_KIN3c104HalfELb0EEvPKvS3_PT_iiiii.uses_flat_scratch, 0
	.set _ZL12mul_mat_q5_KIN3c104HalfELb0EEvPKvS3_PT_iiiii.has_dyn_sized_stack, 0
	.set _ZL12mul_mat_q5_KIN3c104HalfELb0EEvPKvS3_PT_iiiii.has_recursion, 0
	.set _ZL12mul_mat_q5_KIN3c104HalfELb0EEvPKvS3_PT_iiiii.has_indirect_call, 0
	.section	.AMDGPU.csdata,"",@progbits
; Kernel info:
; codeLenInByte = 19036
; TotalNumSgprs: 19
; NumVgprs: 252
; ScratchSize: 0
; MemoryBound: 0
; FloatMode: 240
; IeeeMode: 1
; LDSByteSize: 45136 bytes/workgroup (compile time only)
; SGPRBlocks: 0
; VGPRBlocks: 31
; NumSGPRsForWavesPerEU: 19
; NumVGPRsForWavesPerEU: 252
; Occupancy: 4
; WaveLimiterHint : 0
; COMPUTE_PGM_RSRC2:SCRATCH_EN: 0
; COMPUTE_PGM_RSRC2:USER_SGPR: 6
; COMPUTE_PGM_RSRC2:TRAP_HANDLER: 0
; COMPUTE_PGM_RSRC2:TGID_X_EN: 1
; COMPUTE_PGM_RSRC2:TGID_Y_EN: 1
; COMPUTE_PGM_RSRC2:TGID_Z_EN: 0
; COMPUTE_PGM_RSRC2:TIDIG_COMP_CNT: 1
	.section	.text._ZL12mul_mat_q5_KIN3c104HalfELb1EEvPKvS3_PT_iiiii,"axG",@progbits,_ZL12mul_mat_q5_KIN3c104HalfELb1EEvPKvS3_PT_iiiii,comdat
	.globl	_ZL12mul_mat_q5_KIN3c104HalfELb1EEvPKvS3_PT_iiiii ; -- Begin function _ZL12mul_mat_q5_KIN3c104HalfELb1EEvPKvS3_PT_iiiii
	.p2align	8
	.type	_ZL12mul_mat_q5_KIN3c104HalfELb1EEvPKvS3_PT_iiiii,@function
_ZL12mul_mat_q5_KIN3c104HalfELb1EEvPKvS3_PT_iiiii: ; @_ZL12mul_mat_q5_KIN3c104HalfELb1EEvPKvS3_PT_iiiii
; %bb.0:
	s_clause 0x1
	s_load_dwordx4 s[8:11], s[4:5], 0x18
	s_load_dword s14, s[4:5], 0x28
	s_lshl_b32 s7, s7, 6
	v_add_nc_u32_e32 v53, s7, v1
	s_waitcnt lgkmcnt(0)
	s_cmpk_gt_i32 s8, 0xff
	s_cbranch_scc1 .LBB154_2
; %bb.1:
	v_add_nc_u32_e32 v6, s7, v1
	s_mov_b32 s0, 0
	s_branch .LBB154_3
.LBB154_2:
	s_mov_b32 s0, -1
                                        ; implicit-def: $vgpr6
.LBB154_3:
	s_load_dwordx2 s[12:13], s[4:5], 0x10
	v_mov_b32_e32 v2, 0
	v_mov_b32_e32 v9, 0
	;; [unrolled: 1-line block ×16, first 2 shown]
	s_lshl_b32 s6, s6, 7
	s_andn2_b32 vcc_lo, exec_lo, s0
	s_mov_b32 s15, 0
	s_cbranch_vccnz .LBB154_11
; %bb.4:
	s_load_dwordx4 s[0:3], s[4:5], 0x0
	s_ashr_i32 s4, s8, 31
	s_ashr_i32 s5, s11, 31
	s_lshr_b32 s4, s4, 24
	s_lshr_b32 s5, s5, 27
	s_add_i32 s4, s8, s4
	v_lshlrev_b32_e32 v3, 1, v0
	s_ashr_i32 s4, s4, 8
	v_and_b32_e32 v4, 7, v0
	v_lshlrev_b32_e32 v68, 5, v1
	s_add_i32 s5, s11, s5
	s_mul_i32 s8, s4, s6
	s_ashr_i32 s11, s5, 5
	s_mul_i32 s5, s8, 0xb0
	s_mul_hi_i32 s8, s8, 0xb0
	v_and_or_b32 v3, v3, 48, v4
	v_add_nc_u32_e32 v16, v68, v0
	v_add_nc_u32_e32 v40, 8, v1
	;; [unrolled: 1-line block ×4, first 2 shown]
	s_waitcnt lgkmcnt(0)
	s_add_u32 s5, s0, s5
	s_addc_u32 s8, s1, s8
	s_not_b32 s0, s6
	v_lshlrev_b32_e32 v3, 2, v3
	s_add_i32 s0, s9, s0
	v_and_b32_e32 v16, 0x7f, v16
	v_min_i32_e32 v4, s0, v1
	v_add_nc_u32_e32 v43, 32, v1
	v_add_nc_u32_e32 v44, 40, v1
	v_min_i32_e32 v6, s0, v40
	v_min_i32_e32 v22, s0, v16
	v_mul_lo_u32 v60, v4, s4
	v_mad_u64_u32 v[4:5], null, 0x104, v4, v[3:4]
	v_add_nc_u32_e32 v45, 48, v1
	v_min_i32_e32 v7, s0, v41
	v_add_nc_u32_e32 v46, 56, v1
	v_min_i32_e32 v8, s0, v42
	v_add_nc_u32_e32 v13, 64, v1
	v_ashrrev_i32_e32 v21, 31, v22
	v_min_i32_e32 v9, s0, v43
	v_add_nc_u32_e32 v14, 0x48, v1
	v_min_i32_e32 v10, s0, v44
	v_add_nc_u32_e32 v15, 0x50, v1
	v_mul_lo_u32 v61, v6, s4
	v_mad_u64_u32 v[5:6], null, 0x104, v6, v[3:4]
	v_min_i32_e32 v11, s0, v45
	v_add_nc_u32_e32 v17, 0x58, v1
	v_mul_lo_u32 v62, v7, s4
	v_mad_u64_u32 v[6:7], null, 0x104, v7, v[3:4]
	;; [unrolled: 4-line block ×3, first 2 shown]
	v_min_i32_e32 v13, s0, v13
	v_add_nc_u32_e32 v20, 0x68, v1
	v_lshrrev_b32_e32 v21, 27, v21
	v_mul_lo_u32 v64, v9, s4
	v_mad_u64_u32 v[8:9], null, 0x104, v9, v[3:4]
	v_min_i32_e32 v14, s0, v14
	v_mul_lo_u32 v65, v10, s4
	v_mad_u64_u32 v[9:10], null, 0x104, v10, v[3:4]
	v_min_i32_e32 v15, s0, v15
	;; [unrolled: 3-line block ×4, first 2 shown]
	v_lshrrev_b32_e32 v19, 2, v0
	v_mul_lo_u32 v69, v13, s4
	v_mad_u64_u32 v[12:13], null, 0x104, v13, v[3:4]
	v_min_i32_e32 v20, s0, v20
	v_add_nc_u32_e32 v23, 0x70, v1
	v_add_nc_u32_e32 v24, 0x78, v1
	;; [unrolled: 1-line block ×3, first 2 shown]
	v_mul_lo_u32 v70, v14, s4
	v_mad_u64_u32 v[13:14], null, 0x104, v14, v[3:4]
	v_mul_lo_u32 v71, v15, s4
	v_mad_u64_u32 v[14:15], null, 0x104, v15, v[3:4]
	v_mad_u64_u32 v[15:16], null, 0x104, v17, v[3:4]
	v_mul_lo_u32 v72, v17, s4
	v_mad_u64_u32 v[16:17], null, 0x104, v18, v[3:4]
	v_mul_lo_u32 v73, v18, s4
	v_mul_lo_u32 v74, v20, s4
	v_min_i32_e32 v23, s0, v23
	v_mad_u64_u32 v[17:18], null, 0x104, v20, v[3:4]
	v_min_i32_e32 v20, s0, v24
	v_lshl_add_u32 v47, v1, 3, v19
	v_ashrrev_i32_e32 v24, 5, v21
	v_and_b32_e32 v21, 3, v0
	v_and_b32_e32 v56, 6, v19
	v_mul_lo_u32 v75, v23, s4
	v_mad_u64_u32 v[18:19], null, 0x104, v23, v[3:4]
	v_and_b32_e32 v23, 0x7f, v47
	v_add_nc_u32_e32 v26, 0xfe, v21
	v_mul_lo_u32 v76, v20, s4
	v_lshlrev_b32_e32 v24, 2, v24
	v_lshlrev_b32_e32 v25, 2, v22
	v_mad_u64_u32 v[19:20], null, 0x104, v20, v[3:4]
	v_and_b32_e32 v3, 0xff, v26
	v_xor_b32_e32 v32, 64, v23
	v_add_nc_u32_e32 v26, 8, v53
	v_add_nc_u32_e32 v28, 16, v53
	;; [unrolled: 1-line block ×7, first 2 shown]
	s_add_i32 s1, s10, -1
	v_min_i32_e32 v48, s0, v23
	v_mul_lo_u32 v77, v22, s4
	v_add3_u32 v78, v24, v25, 0xae40
	v_cvt_f64_i32_e32 v[22:23], s1
	v_cvt_f64_u32_e32 v[24:25], v53
	v_cvt_f64_u32_e32 v[26:27], v26
	;; [unrolled: 1-line block ×4, first 2 shown]
	v_min_i32_e32 v49, s0, v32
	v_cvt_f64_u32_e32 v[32:33], v33
	v_cvt_f64_u32_e32 v[34:35], v34
	;; [unrolled: 1-line block ×4, first 2 shown]
	v_ashrrev_i32_e32 v50, 31, v49
	v_ashrrev_i32_e32 v20, 31, v48
	v_cmp_gt_u32_e32 vcc_lo, 2, v21
	v_lshlrev_b32_e32 v83, 2, v21
	v_lshrrev_b32_e32 v54, 5, v0
	v_lshrrev_b32_e32 v50, 29, v50
	;; [unrolled: 1-line block ×3, first 2 shown]
	v_cndmask_b32_e32 v3, v3, v21, vcc_lo
	v_cmp_ne_u32_e32 vcc_lo, 0, v21
	v_lshlrev_b32_e32 v55, 2, v0
	v_add_nc_u32_e32 v50, v49, v50
	v_add_nc_u32_e32 v20, v48, v20
	v_lshlrev_b32_e32 v80, 1, v3
	v_min_f64 v[24:25], v[24:25], v[22:23]
	v_min_f64 v[26:27], v[26:27], v[22:23]
	;; [unrolled: 1-line block ×4, first 2 shown]
	v_ashrrev_i32_e32 v50, 3, v50
	v_min_f64 v[32:33], v[32:33], v[22:23]
	v_min_f64 v[34:35], v[34:35], v[22:23]
	;; [unrolled: 1-line block ×4, first 2 shown]
	v_ashrrev_i32_e32 v20, 3, v20
	v_add_co_ci_u32_e64 v51, null, 0, v3, vcc_lo
	v_lshlrev_b32_e32 v3, 2, v50
	v_cmp_lt_u32_e32 vcc_lo, 1, v21
	v_lshlrev_b32_e32 v20, 2, v20
	v_mov_b32_e32 v2, 0
	v_and_b32_e32 v52, 4, v55
	v_and_b32_e32 v58, 28, v55
	v_mul_lo_u32 v81, v48, s4
	v_add3_u32 v39, v20, v83, 0xa200
	v_and_b32_e32 v20, 63, v47
	v_cndmask_b32_e32 v79, 0, v52, vcc_lo
	v_cvt_i32_f64_e32 v24, v[24:25]
	v_cvt_i32_f64_e32 v25, v[26:27]
	v_add3_u32 v27, v3, v83, 0xa200
	v_cvt_i32_f64_e32 v3, v[30:31]
	v_cvt_i32_f64_e32 v26, v[28:29]
	;; [unrolled: 1-line block ×6, first 2 shown]
	v_or_b32_e32 v30, s7, v20
	v_lshl_or_b32 v34, v20, 4, v83
	v_and_b32_e32 v28, 31, v0
	v_cndmask_b32_e64 v52, 0, 1, vcc_lo
	v_lshlrev_b32_e32 v48, 4, v48
	v_min_i32_e32 v30, s1, v30
	v_lshlrev_b32_e32 v32, 4, v49
	v_lshl_or_b32 v28, v28, 2, 0x8200
	v_add_nc_u32_e32 v83, 0xaa40, v34
	v_lshlrev_b32_e32 v23, 7, v40
	v_lshlrev_b32_e32 v34, 7, v46
	s_movk_i32 s0, 0x2080
	v_mul_lo_u32 v82, v49, s4
	v_mul_lo_u32 v85, s11, v24
	v_mul_lo_u32 v86, s11, v25
	v_lshlrev_b32_e32 v24, 7, v41
	v_mul_lo_u32 v88, s11, v3
	v_add_nc_u32_e32 v3, 32, v0
	v_mul_lo_u32 v87, s11, v26
	v_mul_lo_u32 v90, s11, v31
	v_add_nc_u32_e32 v31, 64, v0
	v_mad_u64_u32 v[20:21], null, v30, s11, v[21:22]
	v_mul_lo_u32 v92, s11, v22
	v_add_nc_u32_e32 v22, 0x60, v0
	v_mul_lo_u32 v91, s11, v33
	v_lshrrev_b32_e32 v93, 3, v3
	v_lshlrev_b32_e32 v33, 2, v54
	v_lshrrev_b32_e32 v94, 3, v31
	v_lshrrev_b32_e32 v95, 3, v22
	v_lshlrev_b32_e32 v36, 2, v3
	v_lshlrev_b32_e32 v21, 7, v1
	v_lshlrev_b32_e32 v25, 7, v42
	v_mul_lo_u32 v89, s11, v29
	v_and_b32_e32 v3, 60, v95
	v_lshlrev_b32_e32 v26, 7, v43
	v_lshlrev_b32_e32 v29, 7, v44
	;; [unrolled: 1-line block ×3, first 2 shown]
	v_and_b32_e32 v35, 60, v93
	v_add3_u32 v96, v55, v33, 0xae40
	v_and_b32_e32 v33, 60, v94
	v_lshlrev_b32_e32 v31, 2, v31
	v_lshlrev_b32_e32 v22, 2, v22
	v_add3_u32 v99, v55, v3, 0xae40
	v_mov_b32_e32 v3, v2
	v_mad_u32_u24 v108, 0x104, v0, s0
	s_movk_i32 s0, 0x4100
	s_movk_i32 s1, 0x6180
	v_mad_u32_u24 v109, 0x104, v0, s0
	v_add_co_u32 v37, s0, s2, v58
	v_add3_u32 v97, v55, v35, 0xae40
	v_add3_u32 v98, v55, v33, 0xae40
	v_lshlrev_b32_e32 v100, 5, v40
	v_lshlrev_b32_e32 v101, 5, v41
	;; [unrolled: 1-line block ×9, first 2 shown]
	v_add_nc_u32_e32 v113, v39, v48
	v_add_nc_u32_e32 v114, v27, v32
	;; [unrolled: 1-line block ×10, first 2 shown]
	v_lshlrev_b32_e32 v124, 2, v36
	v_lshlrev_b32_e32 v125, 2, v31
	;; [unrolled: 1-line block ×3, first 2 shown]
	v_mov_b32_e32 v44, v3
	v_mov_b32_e32 v32, v3
	;; [unrolled: 1-line block ×15, first 2 shown]
	v_and_b32_e32 v57, 0x7c, v55
	v_or_b32_e32 v59, 1, v56
	v_lshrrev_b32_e32 v84, 3, v0
	v_mul_u32_u24_e32 v107, 0x104, v0
	v_mad_u32_u24 v110, 0x104, v0, s1
	v_add_co_ci_u32_e64 v38, null, s3, 0, s0
	v_mov_b32_e32 v123, 0xffff
	v_mov_b32_e32 v43, v2
	;; [unrolled: 1-line block ×16, first 2 shown]
.LBB154_5:                              ; =>This Loop Header: Depth=1
                                        ;     Child Loop BB154_6 Depth 2
                                        ;     Child Loop BB154_8 Depth 2
	s_mul_i32 s0, s15, 0xb0
	s_mul_hi_u32 s1, s15, 0xb0
	s_add_u32 s0, s5, s0
	s_addc_u32 s1, s8, s1
	s_mov_b32 s9, 0
	v_mad_u64_u32 v[127:128], null, 0xb0, v54, s[0:1]
	v_mad_i64_i32 v[129:130], null, 0xb0, v60, v[127:128]
	v_mad_i64_i32 v[131:132], null, 0xb0, v61, v[127:128]
	;; [unrolled: 1-line block ×4, first 2 shown]
	v_add_co_u32 v133, vcc_lo, v129, v57
	v_add_co_ci_u32_e64 v134, null, 0, v130, vcc_lo
	v_add_co_u32 v129, vcc_lo, v129, v58
	v_add_co_ci_u32_e64 v130, null, 0, v130, vcc_lo
	;; [unrolled: 2-line block ×6, first 2 shown]
	v_add_co_u32 v143, vcc_lo, v139, v57
	v_mad_i64_i32 v[145:146], null, 0xb0, v64, v[127:128]
	v_add_co_ci_u32_e64 v144, null, 0, v140, vcc_lo
	v_add_co_u32 v139, vcc_lo, v139, v58
	v_add_co_ci_u32_e64 v140, null, 0, v140, vcc_lo
	s_clause 0x7
	global_load_dword v151, v[133:134], off offset:48
	global_load_dword v152, v[129:130], off offset:16
	global_load_dword v153, v[135:136], off offset:48
	global_load_dword v154, v[131:132], off offset:16
	global_load_dword v155, v[141:142], off offset:48
	global_load_dword v156, v[137:138], off offset:16
	global_load_dword v157, v[143:144], off offset:48
	global_load_dword v158, v[139:140], off offset:16
	v_mad_i64_i32 v[131:132], null, 0xb0, v65, v[127:128]
	v_add_co_u32 v129, vcc_lo, v145, v57
	v_mad_i64_i32 v[135:136], null, 0xb0, v66, v[127:128]
	v_add_co_ci_u32_e64 v130, null, 0, v146, vcc_lo
	v_add_co_u32 v133, vcc_lo, v145, v58
	v_add_co_ci_u32_e64 v134, null, 0, v146, vcc_lo
	v_add_co_u32 v137, vcc_lo, v131, v57
	v_mad_i64_i32 v[141:142], null, 0xb0, v67, v[127:128]
	v_add_co_ci_u32_e64 v138, null, 0, v132, vcc_lo
	v_add_co_u32 v131, vcc_lo, v131, v58
	v_add_co_ci_u32_e64 v132, null, 0, v132, vcc_lo
	;; [unrolled: 5-line block ×3, first 2 shown]
	v_add_co_u32 v145, vcc_lo, v141, v57
	v_add_co_ci_u32_e64 v146, null, 0, v142, vcc_lo
	v_add_co_u32 v141, vcc_lo, v141, v58
	v_add_co_ci_u32_e64 v142, null, 0, v142, vcc_lo
	v_add_co_u32 v147, vcc_lo, v143, v57
	v_mad_i64_i32 v[149:150], null, 0xb0, v70, v[127:128]
	v_add_co_ci_u32_e64 v148, null, 0, v144, vcc_lo
	v_add_co_u32 v143, vcc_lo, v143, v58
	v_add_co_ci_u32_e64 v144, null, 0, v144, vcc_lo
	s_clause 0x9
	global_load_dword v159, v[129:130], off offset:48
	global_load_dword v160, v[133:134], off offset:16
	;; [unrolled: 1-line block ×10, first 2 shown]
	v_mad_i64_i32 v[129:130], null, 0xb0, v71, v[127:128]
	v_add_co_u32 v131, vcc_lo, v149, v57
	v_add_co_ci_u32_e64 v132, null, 0, v150, vcc_lo
	v_add_co_u32 v133, vcc_lo, v149, v58
	v_add_co_ci_u32_e64 v134, null, 0, v150, vcc_lo
	v_add_co_u32 v135, vcc_lo, v129, v57
	v_add_co_ci_u32_e64 v136, null, 0, v130, vcc_lo
	v_add_co_u32 v129, vcc_lo, v129, v58
	v_add_co_ci_u32_e64 v130, null, 0, v130, vcc_lo
	s_clause 0x3
	global_load_dword v149, v[131:132], off offset:48
	global_load_dword v150, v[133:134], off offset:16
	;; [unrolled: 1-line block ×4, first 2 shown]
	v_mad_i64_i32 v[129:130], null, 0xb0, v72, v[127:128]
	v_mad_i64_i32 v[133:134], null, 0xb0, v73, v[127:128]
	;; [unrolled: 1-line block ×4, first 2 shown]
	v_add_co_u32 v131, vcc_lo, v129, v57
	v_add_co_ci_u32_e64 v132, null, 0, v130, vcc_lo
	v_add_co_u32 v129, vcc_lo, v129, v58
	v_add_co_ci_u32_e64 v130, null, 0, v130, vcc_lo
	s_clause 0x1
	global_load_dword v169, v[131:132], off offset:48
	global_load_dword v170, v[129:130], off offset:16
	v_mad_i64_i32 v[129:130], null, 0xb0, v74, v[127:128]
	v_add_co_u32 v131, vcc_lo, v133, v57
	v_add_co_ci_u32_e64 v132, null, 0, v134, vcc_lo
	v_add_co_u32 v133, vcc_lo, v133, v58
	v_add_co_ci_u32_e64 v134, null, 0, v134, vcc_lo
	v_add_co_u32 v135, vcc_lo, v129, v57
	v_mad_i64_i32 v[127:128], null, 0xb0, v76, v[127:128]
	v_add_co_ci_u32_e64 v136, null, 0, v130, vcc_lo
	v_add_co_u32 v129, vcc_lo, v129, v58
	v_add_co_ci_u32_e64 v130, null, 0, v130, vcc_lo
	v_add_co_u32 v139, vcc_lo, v137, v57
	;; [unrolled: 2-line block ×5, first 2 shown]
	v_add_co_ci_u32_e64 v128, null, 0, v128, vcc_lo
	s_clause 0x7
	global_load_dword v171, v[131:132], off offset:48
	global_load_dword v172, v[133:134], off offset:16
	;; [unrolled: 1-line block ×8, first 2 shown]
	v_mad_i64_i32 v[129:130], null, 0xb0, v82, s[0:1]
	v_mad_i64_i32 v[127:128], null, 0xb0, v77, s[0:1]
	v_add_co_u32 v131, vcc_lo, v143, v111
	s_lshl_b32 s0, s15, 3
	v_add_co_ci_u32_e64 v132, null, 0, v144, vcc_lo
	v_add_co_u32 v133, vcc_lo, v143, v112
	v_add_nc_u32_e32 v139, s0, v84
	v_add_co_ci_u32_e64 v134, null, 0, v144, vcc_lo
	v_add_co_u32 v135, vcc_lo, v129, v111
	v_add_co_ci_u32_e64 v136, null, 0, v130, vcc_lo
	v_add_co_u32 v129, vcc_lo, v129, v112
	v_add_nc_u32_e32 v137, v139, v85
	v_add_co_ci_u32_e64 v130, null, 0, v130, vcc_lo
	s_clause 0x4
	global_load_dword v179, v[127:128], off
	global_load_dword v131, v[131:132], off offset:4
	global_load_dword v180, v[133:134], off offset:4
	;; [unrolled: 1-line block ×4, first 2 shown]
	v_add_nc_u32_e32 v129, v139, v86
	v_add_nc_u32_e32 v133, v139, v87
	;; [unrolled: 1-line block ×3, first 2 shown]
	v_mad_i64_i32 v[127:128], null, v137, 36, v[37:38]
	v_add_nc_u32_e32 v137, v139, v89
	v_add_nc_u32_e32 v140, v139, v90
	v_mad_i64_i32 v[129:130], null, v129, 36, v[37:38]
	v_add_nc_u32_e32 v141, v139, v91
	v_mad_i64_i32 v[133:134], null, v133, 36, v[37:38]
	v_add_nc_u32_e32 v143, v139, v92
	v_add_nc_u32_e32 v132, s0, v20
	v_mad_i64_i32 v[135:136], null, v135, 36, v[37:38]
	v_mad_i64_i32 v[137:138], null, v137, 36, v[37:38]
	;; [unrolled: 1-line block ×5, first 2 shown]
	v_mad_u64_u32 v[145:146], null, v132, 36, s[2:3]
	s_clause 0x8
	global_load_dword v127, v[127:128], off offset:4
	global_load_dword v128, v[129:130], off offset:4
	;; [unrolled: 1-line block ×8, first 2 shown]
	global_load_dword v137, v[145:146], off
	s_mov_b32 s1, -1
	s_waitcnt vmcnt(45)
	v_lshrrev_b32_e32 v139, 4, v151
	s_waitcnt vmcnt(44)
	v_ashrrev_i32_e32 v140, v56, v152
	v_ashrrev_i32_e32 v141, v59, v152
	s_waitcnt vmcnt(43)
	v_lshrrev_b32_e32 v143, 4, v153
	s_waitcnt vmcnt(42)
	v_ashrrev_i32_e32 v144, v56, v154
	v_ashrrev_i32_e32 v145, v59, v154
	v_and_b32_e32 v138, 0xf0f0f0f, v151
	v_and_b32_e32 v142, 0xf0f0f0f, v153
	s_waitcnt vmcnt(41)
	v_lshrrev_b32_e32 v151, 4, v155
	s_waitcnt vmcnt(40)
	v_ashrrev_i32_e32 v152, v56, v156
	v_ashrrev_i32_e32 v153, v59, v156
	v_and_b32_e32 v146, 0xf0f0f0f, v155
	s_waitcnt vmcnt(39)
	v_and_b32_e32 v154, 0xf0f0f0f, v157
	v_lshrrev_b32_e32 v155, 4, v157
	s_waitcnt vmcnt(38)
	v_ashrrev_i32_e32 v156, v56, v158
	v_ashrrev_i32_e32 v157, v59, v158
	v_and_b32_e32 v139, 0xf0f0f0f, v139
	v_lshlrev_b32_e32 v140, 4, v140
	v_lshlrev_b32_e32 v141, 4, v141
	v_and_b32_e32 v143, 0xf0f0f0f, v143
	v_lshlrev_b32_e32 v144, 4, v144
	v_lshlrev_b32_e32 v145, 4, v145
	;; [unrolled: 3-line block ×4, first 2 shown]
	v_and_or_b32 v138, 0x10101010, v140, v138
	v_and_or_b32 v139, 0x10101010, v141, v139
	;; [unrolled: 1-line block ×8, first 2 shown]
	s_waitcnt vmcnt(37)
	v_and_b32_e32 v158, 0xf0f0f0f, v159
	v_lshrrev_b32_e32 v159, 4, v159
	s_waitcnt vmcnt(36)
	v_ashrrev_i32_e32 v183, v56, v160
	v_ashrrev_i32_e32 v160, v59, v160
	s_waitcnt vmcnt(35)
	v_and_b32_e32 v184, 0xf0f0f0f, v161
	v_lshrrev_b32_e32 v161, 4, v161
	s_waitcnt vmcnt(34)
	v_ashrrev_i32_e32 v185, v56, v162
	v_ashrrev_i32_e32 v162, v59, v162
	;; [unrolled: 6-line block ×5, first 2 shown]
	v_and_b32_e32 v159, 0xf0f0f0f, v159
	v_lshlrev_b32_e32 v183, 4, v183
	v_lshlrev_b32_e32 v160, 4, v160
	v_and_b32_e32 v161, 0xf0f0f0f, v161
	v_lshlrev_b32_e32 v185, 4, v185
	s_waitcnt vmcnt(27)
	v_and_b32_e32 v192, 0xf0f0f0f, v149
	v_lshrrev_b32_e32 v149, 4, v149
	s_waitcnt vmcnt(26)
	v_ashrrev_i32_e32 v193, v56, v150
	v_ashrrev_i32_e32 v150, v59, v150
	s_waitcnt vmcnt(24)
	v_ashrrev_i32_e32 v195, v56, v168
	v_lshlrev_b32_e32 v162, 4, v162
	v_and_b32_e32 v163, 0xf0f0f0f, v163
	v_lshlrev_b32_e32 v187, 4, v187
	v_lshlrev_b32_e32 v164, 4, v164
	v_and_b32_e32 v165, 0xf0f0f0f, v165
	v_lshlrev_b32_e32 v189, 4, v189
	;; [unrolled: 3-line block ×3, first 2 shown]
	v_lshlrev_b32_e32 v148, 4, v148
	v_lshrrev_b32_e32 v194, 4, v167
	v_ashrrev_i32_e32 v168, v59, v168
	v_and_or_b32 v146, 0x10101010, v183, v158
	v_and_or_b32 v151, 0x10101010, v160, v159
	v_and_b32_e32 v149, 0xf0f0f0f, v149
	v_lshlrev_b32_e32 v193, 4, v193
	v_and_or_b32 v152, 0x10101010, v185, v184
	v_and_or_b32 v153, 0x10101010, v162, v161
	v_and_or_b32 v154, 0x10101010, v187, v186
	v_and_or_b32 v155, 0x10101010, v164, v163
	v_and_or_b32 v156, 0x10101010, v189, v188
	v_and_or_b32 v157, 0x10101010, v166, v165
	v_and_or_b32 v158, 0x10101010, v191, v190
	v_and_or_b32 v147, 0x10101010, v148, v147
	ds_write2_b32 v4, v138, v139 offset1:8
	ds_write2_b32 v5, v140, v141 offset1:8
	;; [unrolled: 1-line block ×9, first 2 shown]
	v_lshlrev_b32_e32 v138, 4, v150
	v_and_b32_e32 v139, 0xf0f0f0f, v167
	v_lshlrev_b32_e32 v140, 4, v195
	v_and_b32_e32 v141, 0xf0f0f0f, v194
	v_lshlrev_b32_e32 v142, 4, v168
	v_and_or_b32 v143, 0x10101010, v193, v192
	v_and_or_b32 v138, 0x10101010, v138, v149
	;; [unrolled: 1-line block ×3, first 2 shown]
	s_waitcnt vmcnt(22)
	v_ashrrev_i32_e32 v140, v56, v170
	v_lshrrev_b32_e32 v144, 4, v169
	v_ashrrev_i32_e32 v145, v59, v170
	v_and_or_b32 v141, 0x10101010, v142, v141
	v_and_b32_e32 v142, 0xf0f0f0f, v169
	v_lshlrev_b32_e32 v140, 4, v140
	ds_write2_b32 v13, v143, v138 offset1:8
	ds_write2_b32 v14, v139, v141 offset1:8
	v_and_b32_e32 v138, 0xf0f0f0f, v144
	v_lshlrev_b32_e32 v139, 4, v145
	v_and_or_b32 v140, 0x10101010, v140, v142
	s_waitcnt vmcnt(21)
	v_lshrrev_b32_e32 v142, 4, v171
	s_waitcnt vmcnt(20)
	v_ashrrev_i32_e32 v141, v56, v172
	v_ashrrev_i32_e32 v143, v59, v172
	v_and_or_b32 v138, 0x10101010, v139, v138
	v_and_b32_e32 v139, 0xf0f0f0f, v171
	v_and_b32_e32 v142, 0xf0f0f0f, v142
	v_lshlrev_b32_e32 v141, 4, v141
	v_lshlrev_b32_e32 v143, 4, v143
	ds_write2_b32 v15, v140, v138 offset1:8
	s_waitcnt vmcnt(18)
	v_ashrrev_i32_e32 v140, v56, v174
	s_waitcnt vmcnt(17)
	v_lshrrev_b32_e32 v144, 4, v175
	s_waitcnt vmcnt(16)
	v_ashrrev_i32_e32 v145, v56, v176
	v_ashrrev_i32_e32 v146, v59, v176
	v_lshrrev_b32_e32 v138, 4, v173
	v_and_or_b32 v139, 0x10101010, v141, v139
	v_and_or_b32 v141, 0x10101010, v143, v142
	v_and_b32_e32 v142, 0xf0f0f0f, v173
	v_ashrrev_i32_e32 v143, v59, v174
	v_lshlrev_b32_e32 v140, 4, v140
	v_and_b32_e32 v147, 0xf0f0f0f, v175
	v_and_b32_e32 v144, 0xf0f0f0f, v144
	v_lshlrev_b32_e32 v145, 4, v145
	v_lshlrev_b32_e32 v146, 4, v146
	v_and_b32_e32 v138, 0xf0f0f0f, v138
	v_lshlrev_b32_e32 v143, 4, v143
	ds_write2_b32 v16, v139, v141 offset1:8
	v_and_or_b32 v139, 0x10101010, v140, v142
	v_and_or_b32 v140, 0x10101010, v145, v147
	;; [unrolled: 1-line block ×3, first 2 shown]
	s_waitcnt vmcnt(15)
	v_lshrrev_b32_e32 v142, 4, v177
	s_waitcnt vmcnt(14)
	v_ashrrev_i32_e32 v144, v56, v178
	v_ashrrev_i32_e32 v145, v59, v178
	s_waitcnt vmcnt(12)
	v_ashrrev_i32_e32 v131, v79, v131
	s_waitcnt vmcnt(10)
	v_ashrrev_i32_e32 v146, v79, v181
	v_and_or_b32 v138, 0x10101010, v143, v138
	v_and_b32_e32 v143, 0xf0f0f0f, v177
	v_and_b32_e32 v142, 0xf0f0f0f, v142
	v_lshlrev_b32_e32 v144, 4, v144
	v_lshlrev_b32_e32 v145, 4, v145
	v_and_b32_e32 v131, 0xf0f0f0f, v131
	v_ashrrev_i32_e32 v147, v80, v180
	v_and_b32_e32 v146, 0xf0f0f0f, v146
	s_waitcnt vmcnt(9)
	v_ashrrev_i32_e32 v148, v80, v182
	v_and_or_b32 v143, 0x10101010, v144, v143
	v_and_or_b32 v142, 0x10101010, v145, v142
	;; [unrolled: 1-line block ×3, first 2 shown]
	ds_write2_b32 v17, v139, v138 offset1:8
	v_and_or_b32 v138, 0x30303030, v148, v146
	ds_write2_b32 v18, v140, v141 offset1:8
	ds_write2_b32 v19, v143, v142 offset1:8
	ds_write_b32 v78, v179
	ds_write_b32 v113, v131
	;; [unrolled: 1-line block ×3, first 2 shown]
	s_waitcnt vmcnt(8)
	ds_write_b32 v115, v127
	s_waitcnt vmcnt(7)
	ds_write_b32 v116, v128
	;; [unrolled: 2-line block ×9, first 2 shown]
	s_waitcnt lgkmcnt(0)
	s_barrier
	buffer_gl0_inv
	ds_read_b32 v127, v96
	ds_read_b32 v128, v97 offset:128
	ds_read_b32 v129, v98 offset:256
	;; [unrolled: 1-line block ×3, first 2 shown]
	s_waitcnt lgkmcnt(3)
	v_cvt_f32_f16_e32 v133, v127
	v_cvt_f32_f16_sdwa v134, v127 dst_sel:DWORD dst_unused:UNUSED_PAD src0_sel:WORD_1
	s_waitcnt lgkmcnt(2)
	v_cvt_f32_f16_e32 v135, v128
	v_cvt_f32_f16_sdwa v136, v128 dst_sel:DWORD dst_unused:UNUSED_PAD src0_sel:WORD_1
	s_waitcnt lgkmcnt(1)
	v_cvt_f32_f16_e32 v137, v129
	v_cvt_f32_f16_sdwa v138, v129 dst_sel:DWORD dst_unused:UNUSED_PAD src0_sel:WORD_1
	s_waitcnt lgkmcnt(0)
	v_cvt_f32_f16_e32 v139, v130
	v_cvt_f32_f16_sdwa v140, v130 dst_sel:DWORD dst_unused:UNUSED_PAD src0_sel:WORD_1
	v_mov_b32_e32 v141, v133
	v_mov_b32_e32 v142, v134
	;; [unrolled: 1-line block ×8, first 2 shown]
.LBB154_6:                              ;   Parent Loop BB154_5 Depth=1
                                        ; =>  This Inner Loop Header: Depth=2
	s_lshl_b32 s11, s9, 1
	s_lshl_b32 s16, s9, 3
	v_or_b32_e32 v127, s11, v68
	v_add_nc_u32_e32 v128, s16, v107
	v_add_nc_u32_e32 v190, s16, v108
	;; [unrolled: 1-line block ×4, first 2 shown]
	v_lshlrev_b32_e32 v185, 2, v127
	v_or_b32_e32 v150, s11, v100
	v_mov_b32_e32 v129, 0
	v_mov_b32_e32 v130, 0
	ds_read2_b32 v[193:194], v128 offset1:1
	ds_read_b128 v[152:155], v185 offset:33280
	ds_read2_b32 v[195:196], v190 offset1:1
	ds_read2_b32 v[197:198], v191 offset1:1
	ds_read2_b32 v[204:205], v190 offset0:2 offset1:3
	ds_read2_b32 v[202:203], v128 offset0:2 offset1:3
	ds_read2_b32 v[200:201], v192 offset1:1
	ds_read2_b32 v[208:209], v192 offset0:2 offset1:3
	ds_read2_b32 v[206:207], v191 offset0:2 offset1:3
	v_lshlrev_b32_e32 v199, 2, v150
	v_mov_b32_e32 v131, 0
	v_mov_b32_e32 v151, 0
	v_or_b32_e32 v158, s11, v102
	v_mov_b32_e32 v149, 0
	ds_read_b128 v[160:163], v199 offset:33280
	v_mov_b32_e32 v159, 0
	v_mov_b32_e32 v156, 0
	v_lshlrev_b32_e32 v220, 2, v158
	v_or_b32_e32 v177, s11, v105
	v_mov_b32_e32 v166, 0
	v_mov_b32_e32 v157, 0
	s_waitcnt lgkmcnt(8)
	v_dot4c_i32_i8 v129, v193, v152
	s_waitcnt lgkmcnt(7)
	v_dot4c_i32_i8 v130, v195, v152
	;; [unrolled: 2-line block ×3, first 2 shown]
	ds_read_b128 v[171:174], v220 offset:33280
	v_lshlrev_b32_e32 v225, 2, v177
	s_waitcnt lgkmcnt(4)
	v_dot4c_i32_i8 v151, v200, v152
	v_dot4c_i32_i8 v129, v194, v153
	;; [unrolled: 1-line block ×4, first 2 shown]
	v_mov_b32_e32 v152, 0
	v_dot4c_i32_i8 v151, v201, v153
	v_mov_b32_e32 v153, 0
	v_dot4c_i32_i8 v129, v202, v154
	s_waitcnt lgkmcnt(1)
	v_dot4c_i32_i8 v149, v193, v160
	v_dot4c_i32_i8 v159, v195, v160
	;; [unrolled: 1-line block ×11, first 2 shown]
	v_or_b32_e32 v154, s11, v101
	v_dot4c_i32_i8 v149, v202, v162
	v_dot4c_i32_i8 v159, v204, v162
	;; [unrolled: 1-line block ×4, first 2 shown]
	v_lshlrev_b32_e32 v215, 2, v154
	v_dot4c_i32_i8 v149, v203, v163
	v_dot4c_i32_i8 v159, v205, v163
	;; [unrolled: 1-line block ×4, first 2 shown]
	ds_read_b128 v[161:164], v215 offset:33280
	ds_read_b128 v[180:183], v225 offset:33280
	v_mov_b32_e32 v160, 0
	v_dot4c_i32_i8 v129, v203, v155
	v_dot4c_i32_i8 v130, v205, v155
	;; [unrolled: 1-line block ×4, first 2 shown]
	v_mov_b32_e32 v155, 0
	v_mov_b32_e32 v170, 0
	v_mov_b32_e32 v167, 0
	v_or_b32_e32 v184, s11, v106
	v_mov_b32_e32 v168, 0
	s_waitcnt lgkmcnt(2)
	v_dot4c_i32_i8 v155, v193, v171
	v_dot4c_i32_i8 v170, v195, v171
	;; [unrolled: 1-line block ×3, first 2 shown]
	v_lshlrev_b32_e32 v227, 2, v184
	v_or_b32_e32 v169, s11, v104
	v_dot4c_i32_i8 v155, v194, v172
	v_dot4c_i32_i8 v170, v196, v172
	;; [unrolled: 1-line block ×3, first 2 shown]
	s_waitcnt lgkmcnt(1)
	v_dot4c_i32_i8 v152, v193, v161
	v_dot4c_i32_i8 v166, v195, v161
	v_dot4c_i32_i8 v160, v197, v161
	v_dot4c_i32_i8 v157, v200, v161
	v_dot4c_i32_i8 v155, v202, v173
	v_dot4c_i32_i8 v152, v194, v162
	v_dot4c_i32_i8 v166, v196, v162
	v_dot4c_i32_i8 v160, v198, v162
	v_dot4c_i32_i8 v157, v201, v162
	v_mov_b32_e32 v162, 0
	v_dot4c_i32_i8 v152, v202, v163
	v_dot4c_i32_i8 v166, v204, v163
	;; [unrolled: 1-line block ×5, first 2 shown]
	v_or_b32_e32 v163, s11, v103
	v_dot4c_i32_i8 v170, v204, v173
	v_dot4c_i32_i8 v167, v206, v173
	;; [unrolled: 1-line block ×4, first 2 shown]
	v_lshlrev_b32_e32 v223, 2, v163
	v_dot4c_i32_i8 v170, v205, v174
	v_dot4c_i32_i8 v167, v207, v174
	v_mov_b32_e32 v161, 0
	v_dot4c_i32_i8 v162, v208, v173
	v_mov_b32_e32 v172, 0
	v_mov_b32_e32 v171, 0
	ds_read_b128 v[186:189], v227 offset:33280
	v_lshlrev_b32_e32 v224, 2, v169
	v_dot4c_i32_i8 v162, v209, v174
	ds_read_b128 v[173:176], v223 offset:33280
	v_dot4c_i32_i8 v152, v203, v164
	v_dot4c_i32_i8 v166, v205, v164
	;; [unrolled: 1-line block ×4, first 2 shown]
	v_mov_b32_e32 v165, 0
	v_mov_b32_e32 v164, 0
	;; [unrolled: 1-line block ×15, first 2 shown]
	s_waitcnt lgkmcnt(0)
	v_dot4c_i32_i8 v161, v193, v173
	v_dot4c_i32_i8 v172, v195, v173
	;; [unrolled: 1-line block ×4, first 2 shown]
	s_lshr_b32 s9, s9, 2
	v_dot4c_i32_i8 v161, v194, v174
	v_dot4c_i32_i8 v172, v196, v174
	;; [unrolled: 1-line block ×4, first 2 shown]
	s_add_i32 s9, s9, 0xa200
	v_dot4c_i32_i8 v161, v202, v175
	v_dot4c_i32_i8 v172, v204, v175
	;; [unrolled: 1-line block ×4, first 2 shown]
	v_lshrrev_b32_e32 v150, 1, v150
	v_dot4c_i32_i8 v161, v203, v176
	v_dot4c_i32_i8 v172, v205, v176
	;; [unrolled: 1-line block ×4, first 2 shown]
	ds_read_b128 v[173:176], v224 offset:33280
	s_and_b32 vcc_lo, exec_lo, s1
	s_mov_b32 s1, 0
	s_waitcnt lgkmcnt(0)
	v_dot4c_i32_i8 v165, v193, v173
	v_dot4c_i32_i8 v164, v195, v173
	v_dot4c_i32_i8 v178, v197, v173
	v_dot4c_i32_i8 v179, v200, v173
	v_mov_b32_e32 v173, 0
	v_dot4c_i32_i8 v165, v194, v174
	v_dot4c_i32_i8 v164, v196, v174
	v_dot4c_i32_i8 v178, v198, v174
	v_dot4c_i32_i8 v179, v201, v174
	v_mov_b32_e32 v174, 0
	;; [unrolled: 5-line block ×4, first 2 shown]
	v_dot4c_i32_i8 v173, v193, v180
	v_dot4c_i32_i8 v174, v195, v180
	;; [unrolled: 1-line block ×7, first 2 shown]
	v_mov_b32_e32 v180, 0
	v_dot4c_i32_i8 v176, v201, v181
	v_dot4c_i32_i8 v173, v202, v182
	v_dot4c_i32_i8 v174, v204, v182
	v_dot4c_i32_i8 v175, v206, v182
	v_mov_b32_e32 v181, 0
	v_dot4c_i32_i8 v176, v208, v182
	v_dot4c_i32_i8 v173, v203, v183
	;; [unrolled: 1-line block ×4, first 2 shown]
	v_mov_b32_e32 v182, 0
	v_dot4c_i32_i8 v176, v209, v183
	v_mov_b32_e32 v183, 0
	v_dot4c_i32_i8 v181, v197, v186
	v_dot4c_i32_i8 v180, v200, v186
	v_dot4c_i32_i8 v182, v195, v186
	v_mov_b32_e32 v195, 0
	v_dot4c_i32_i8 v183, v193, v186
	v_dot4c_i32_i8 v181, v198, v187
	v_dot4c_i32_i8 v180, v201, v187
	v_dot4c_i32_i8 v182, v196, v187
	v_mov_b32_e32 v201, 0
	v_dot4c_i32_i8 v183, v194, v187
	;; [unrolled: 5-line block ×4, first 2 shown]
	ds_read2_b32 v[209:210], v128 offset0:8 offset1:9
	ds_read_b128 v[186:189], v185 offset:33312
	ds_read2_b32 v[232:233], v190 offset0:8 offset1:9
	ds_read2_b32 v[234:235], v191 offset0:8 offset1:9
	;; [unrolled: 1-line block ×7, first 2 shown]
	v_mov_b32_e32 v204, 0
	v_mov_b32_e32 v198, 0
	;; [unrolled: 1-line block ×3, first 2 shown]
	ds_read_b128 v[228:231], v225 offset:33312
	v_mov_b32_e32 v193, 0
	v_mov_b32_e32 v202, 0
	;; [unrolled: 1-line block ×8, first 2 shown]
	s_waitcnt lgkmcnt(8)
	v_dot4c_i32_i8 v226, v209, v186
	s_waitcnt lgkmcnt(7)
	v_dot4c_i32_i8 v222, v232, v186
	;; [unrolled: 2-line block ×4, first 2 shown]
	v_dot4c_i32_i8 v226, v210, v187
	v_dot4c_i32_i8 v222, v233, v187
	;; [unrolled: 1-line block ×6, first 2 shown]
	s_waitcnt lgkmcnt(1)
	v_dot4c_i32_i8 v221, v242, v188
	v_dot4c_i32_i8 v219, v244, v188
	v_dot4c_i32_i8 v226, v239, v189
	v_dot4c_i32_i8 v222, v241, v189
	v_dot4c_i32_i8 v221, v243, v189
	v_dot4c_i32_i8 v219, v245, v189
	ds_read_b128 v[186:189], v199 offset:33312
	s_waitcnt lgkmcnt(0)
	v_dot4c_i32_i8 v218, v209, v186
	v_dot4c_i32_i8 v217, v232, v186
	v_dot4c_i32_i8 v216, v234, v186
	v_dot4c_i32_i8 v214, v236, v186
	v_dot4c_i32_i8 v218, v210, v187
	v_dot4c_i32_i8 v217, v233, v187
	v_dot4c_i32_i8 v216, v235, v187
	v_dot4c_i32_i8 v214, v237, v187
	v_dot4c_i32_i8 v218, v238, v188
	v_dot4c_i32_i8 v217, v240, v188
	v_dot4c_i32_i8 v216, v242, v188
	v_dot4c_i32_i8 v214, v244, v188
	v_dot4c_i32_i8 v218, v239, v189
	v_dot4c_i32_i8 v217, v241, v189
	v_dot4c_i32_i8 v216, v243, v189
	v_dot4c_i32_i8 v214, v245, v189
	ds_read_b128 v[186:189], v215 offset:33312
	s_waitcnt lgkmcnt(0)
	v_dot4c_i32_i8 v213, v209, v186
	v_dot4c_i32_i8 v211, v232, v186
	v_dot4c_i32_i8 v208, v234, v186
	v_dot4c_i32_i8 v206, v236, v186
	v_dot4c_i32_i8 v213, v210, v187
	v_dot4c_i32_i8 v211, v233, v187
	v_dot4c_i32_i8 v208, v235, v187
	v_dot4c_i32_i8 v206, v237, v187
	v_dot4c_i32_i8 v213, v238, v188
	v_dot4c_i32_i8 v211, v240, v188
	;; [unrolled: 18-line block ×4, first 2 shown]
	v_dot4c_i32_i8 v202, v242, v188
	v_dot4c_i32_i8 v205, v244, v188
	;; [unrolled: 1-line block ×6, first 2 shown]
	ds_read_b128 v[186:189], v224 offset:33312
	s_waitcnt lgkmcnt(0)
	v_dot4c_i32_i8 v203, v209, v186
	v_dot4c_i32_i8 v200, v232, v186
	v_dot4c_i32_i8 v197, v234, v186
	v_dot4c_i32_i8 v196, v236, v186
	v_mov_b32_e32 v186, 0
	v_dot4c_i32_i8 v203, v210, v187
	v_dot4c_i32_i8 v200, v233, v187
	v_dot4c_i32_i8 v197, v235, v187
	v_dot4c_i32_i8 v196, v237, v187
	v_mov_b32_e32 v187, 0
	;; [unrolled: 5-line block ×4, first 2 shown]
	v_dot4c_i32_i8 v186, v209, v228
	v_dot4c_i32_i8 v187, v232, v228
	;; [unrolled: 1-line block ×16, first 2 shown]
	ds_read_b128 v[228:231], v227 offset:33312
	s_waitcnt lgkmcnt(0)
	v_dot4c_i32_i8 v212, v209, v228
	v_mov_b32_e32 v209, 0
	v_dot4c_i32_i8 v207, v236, v228
	v_dot4c_i32_i8 v212, v210, v229
	v_mov_b32_e32 v210, 0
	v_dot4c_i32_i8 v209, v234, v228
	v_dot4c_i32_i8 v207, v237, v229
	v_dot4c_i32_i8 v212, v238, v230
	v_dot4c_i32_i8 v210, v232, v228
	v_dot4c_i32_i8 v209, v235, v229
	v_dot4c_i32_i8 v207, v244, v230
	v_dot4c_i32_i8 v212, v239, v231
	v_dot4c_i32_i8 v210, v233, v229
	v_dot4c_i32_i8 v209, v242, v230
	v_dot4c_i32_i8 v207, v245, v231
	v_dot4c_i32_i8 v210, v240, v230
	v_dot4c_i32_i8 v209, v243, v231
	v_dot4c_i32_i8 v210, v241, v231
	ds_read2_b32 v[232:233], v128 offset0:4 offset1:5
	ds_read_b128 v[228:231], v185 offset:33296
	ds_read2_b32 v[234:235], v190 offset0:4 offset1:5
	ds_read2_b32 v[236:237], v191 offset0:4 offset1:5
	;; [unrolled: 1-line block ×7, first 2 shown]
	s_waitcnt lgkmcnt(7)
	v_dot4c_i32_i8 v129, v232, v228
	s_waitcnt lgkmcnt(6)
	v_dot4c_i32_i8 v130, v234, v228
	;; [unrolled: 2-line block ×4, first 2 shown]
	v_dot4c_i32_i8 v129, v233, v229
	v_dot4c_i32_i8 v130, v235, v229
	;; [unrolled: 1-line block ×6, first 2 shown]
	s_waitcnt lgkmcnt(0)
	v_dot4c_i32_i8 v131, v244, v230
	v_dot4c_i32_i8 v151, v246, v230
	v_dot4c_i32_i8 v129, v241, v231
	v_dot4c_i32_i8 v130, v243, v231
	v_dot4c_i32_i8 v131, v245, v231
	v_dot4c_i32_i8 v151, v247, v231
	ds_read_b128 v[228:231], v199 offset:33296
	s_waitcnt lgkmcnt(0)
	v_dot4c_i32_i8 v149, v232, v228
	v_dot4c_i32_i8 v159, v234, v228
	v_dot4c_i32_i8 v156, v236, v228
	v_dot4c_i32_i8 v153, v238, v228
	v_dot4c_i32_i8 v149, v233, v229
	v_dot4c_i32_i8 v159, v235, v229
	v_dot4c_i32_i8 v156, v237, v229
	v_dot4c_i32_i8 v153, v239, v229
	v_dot4c_i32_i8 v149, v240, v230
	v_dot4c_i32_i8 v159, v242, v230
	v_dot4c_i32_i8 v156, v244, v230
	v_dot4c_i32_i8 v153, v246, v230
	v_dot4c_i32_i8 v149, v241, v231
	v_dot4c_i32_i8 v159, v243, v231
	v_dot4c_i32_i8 v156, v245, v231
	v_dot4c_i32_i8 v153, v247, v231
	ds_read_b128 v[228:231], v215 offset:33296
	s_waitcnt lgkmcnt(0)
	v_dot4c_i32_i8 v152, v232, v228
	v_dot4c_i32_i8 v166, v234, v228
	v_dot4c_i32_i8 v160, v236, v228
	v_dot4c_i32_i8 v157, v238, v228
	v_dot4c_i32_i8 v152, v233, v229
	v_dot4c_i32_i8 v166, v235, v229
	v_dot4c_i32_i8 v160, v237, v229
	v_dot4c_i32_i8 v157, v239, v229
	v_dot4c_i32_i8 v152, v240, v230
	v_dot4c_i32_i8 v166, v242, v230
	v_dot4c_i32_i8 v160, v244, v230
	v_dot4c_i32_i8 v157, v246, v230
	v_dot4c_i32_i8 v152, v241, v231
	v_dot4c_i32_i8 v166, v243, v231
	v_dot4c_i32_i8 v160, v245, v231
	v_dot4c_i32_i8 v157, v247, v231
	ds_read_b128 v[228:231], v220 offset:33296
	s_waitcnt lgkmcnt(0)
	v_dot4c_i32_i8 v155, v232, v228
	v_dot4c_i32_i8 v170, v234, v228
	v_dot4c_i32_i8 v167, v236, v228
	v_dot4c_i32_i8 v162, v238, v228
	v_dot4c_i32_i8 v155, v233, v229
	v_dot4c_i32_i8 v170, v235, v229
	v_dot4c_i32_i8 v167, v237, v229
	v_dot4c_i32_i8 v162, v239, v229
	v_dot4c_i32_i8 v155, v240, v230
	v_dot4c_i32_i8 v170, v242, v230
	v_dot4c_i32_i8 v167, v244, v230
	v_dot4c_i32_i8 v162, v246, v230
	v_dot4c_i32_i8 v155, v241, v231
	v_dot4c_i32_i8 v170, v243, v231
	v_dot4c_i32_i8 v167, v245, v231
	v_dot4c_i32_i8 v162, v247, v231
	ds_read_b128 v[228:231], v223 offset:33296
	s_waitcnt lgkmcnt(0)
	v_dot4c_i32_i8 v161, v232, v228
	v_dot4c_i32_i8 v172, v234, v228
	v_dot4c_i32_i8 v171, v236, v228
	v_dot4c_i32_i8 v168, v238, v228
	v_dot4c_i32_i8 v161, v233, v229
	v_dot4c_i32_i8 v172, v235, v229
	v_dot4c_i32_i8 v171, v237, v229
	v_dot4c_i32_i8 v168, v239, v229
	v_dot4c_i32_i8 v161, v240, v230
	v_dot4c_i32_i8 v172, v242, v230
	v_dot4c_i32_i8 v171, v244, v230
	v_dot4c_i32_i8 v168, v246, v230
	v_dot4c_i32_i8 v161, v241, v231
	v_dot4c_i32_i8 v172, v243, v231
	v_dot4c_i32_i8 v171, v245, v231
	v_dot4c_i32_i8 v168, v247, v231
	ds_read_b128 v[228:231], v224 offset:33296
	s_waitcnt lgkmcnt(0)
	v_dot4c_i32_i8 v165, v232, v228
	v_dot4c_i32_i8 v164, v234, v228
	v_dot4c_i32_i8 v178, v236, v228
	v_dot4c_i32_i8 v179, v238, v228
	v_dot4c_i32_i8 v165, v233, v229
	v_dot4c_i32_i8 v164, v235, v229
	v_dot4c_i32_i8 v178, v237, v229
	v_dot4c_i32_i8 v179, v239, v229
	v_dot4c_i32_i8 v165, v240, v230
	v_dot4c_i32_i8 v164, v242, v230
	v_dot4c_i32_i8 v178, v244, v230
	v_dot4c_i32_i8 v179, v246, v230
	v_dot4c_i32_i8 v165, v241, v231
	v_dot4c_i32_i8 v164, v243, v231
	v_dot4c_i32_i8 v178, v245, v231
	v_dot4c_i32_i8 v179, v247, v231
	ds_read_b128 v[228:231], v225 offset:33296
	s_waitcnt lgkmcnt(0)
	v_dot4c_i32_i8 v173, v232, v228
	v_dot4c_i32_i8 v174, v234, v228
	v_dot4c_i32_i8 v175, v236, v228
	v_dot4c_i32_i8 v176, v238, v228
	v_dot4c_i32_i8 v173, v233, v229
	v_dot4c_i32_i8 v174, v235, v229
	v_dot4c_i32_i8 v175, v237, v229
	v_dot4c_i32_i8 v176, v239, v229
	v_dot4c_i32_i8 v173, v240, v230
	v_dot4c_i32_i8 v174, v242, v230
	v_dot4c_i32_i8 v175, v244, v230
	v_dot4c_i32_i8 v176, v246, v230
	v_dot4c_i32_i8 v173, v241, v231
	v_dot4c_i32_i8 v174, v243, v231
	v_dot4c_i32_i8 v175, v245, v231
	v_dot4c_i32_i8 v176, v247, v231
	ds_read_b128 v[228:231], v227 offset:33296
	s_waitcnt lgkmcnt(0)
	v_dot4c_i32_i8 v183, v232, v228
	v_dot4c_i32_i8 v182, v234, v228
	v_dot4c_i32_i8 v181, v236, v228
	v_dot4c_i32_i8 v180, v238, v228
	v_dot4c_i32_i8 v183, v233, v229
	v_dot4c_i32_i8 v182, v235, v229
	v_dot4c_i32_i8 v181, v237, v229
	v_dot4c_i32_i8 v180, v239, v229
	v_dot4c_i32_i8 v183, v240, v230
	v_dot4c_i32_i8 v182, v242, v230
	v_dot4c_i32_i8 v181, v244, v230
	v_dot4c_i32_i8 v180, v246, v230
	;; [unrolled: 1-line block ×6, first 2 shown]
	ds_read2_b32 v[232:233], v128 offset0:12 offset1:13
	ds_read_b128 v[228:231], v185 offset:33328
	ds_read2_b32 v[234:235], v190 offset0:12 offset1:13
	ds_read2_b32 v[236:237], v191 offset0:12 offset1:13
	ds_read2_b32 v[242:243], v190 offset0:14 offset1:15
	ds_read2_b32 v[240:241], v128 offset0:14 offset1:15
	ds_read2_b32 v[238:239], v192 offset0:12 offset1:13
	ds_read2_b32 v[244:245], v192 offset0:14 offset1:15
	ds_read2_b32 v[190:191], v191 offset0:14 offset1:15
	v_lshrrev_b32_e32 v185, 1, v127
	v_lshlrev_b32_e32 v127, 2, v84
	v_lshlrev_b32_e32 v128, 2, v55
	v_add3_u32 v192, s9, v127, v128
	s_waitcnt lgkmcnt(7)
	v_dot4c_i32_i8 v226, v232, v228
	s_waitcnt lgkmcnt(6)
	v_dot4c_i32_i8 v222, v234, v228
	;; [unrolled: 2-line block ×4, first 2 shown]
	v_dot4c_i32_i8 v226, v233, v229
	v_dot4c_i32_i8 v222, v235, v229
	v_dot4c_i32_i8 v221, v237, v229
	v_dot4c_i32_i8 v219, v239, v229
	v_dot4c_i32_i8 v226, v240, v230
	v_dot4c_i32_i8 v222, v242, v230
	s_waitcnt lgkmcnt(0)
	v_dot4c_i32_i8 v221, v190, v230
	v_dot4c_i32_i8 v219, v244, v230
	v_dot4c_i32_i8 v226, v241, v231
	v_dot4c_i32_i8 v222, v243, v231
	v_dot4c_i32_i8 v221, v191, v231
	v_dot4c_i32_i8 v219, v245, v231
	ds_read_b128 v[228:231], v199 offset:33328
	s_waitcnt lgkmcnt(0)
	v_dot4c_i32_i8 v218, v232, v228
	v_dot4c_i32_i8 v217, v234, v228
	v_dot4c_i32_i8 v216, v236, v228
	v_dot4c_i32_i8 v214, v238, v228
	v_dot4c_i32_i8 v218, v233, v229
	v_dot4c_i32_i8 v217, v235, v229
	v_dot4c_i32_i8 v216, v237, v229
	v_dot4c_i32_i8 v214, v239, v229
	v_dot4c_i32_i8 v218, v240, v230
	v_dot4c_i32_i8 v217, v242, v230
	v_dot4c_i32_i8 v216, v190, v230
	v_dot4c_i32_i8 v214, v244, v230
	v_dot4c_i32_i8 v218, v241, v231
	v_dot4c_i32_i8 v217, v243, v231
	v_dot4c_i32_i8 v216, v191, v231
	v_dot4c_i32_i8 v214, v245, v231
	ds_read_b128 v[228:231], v215 offset:33328
	s_waitcnt lgkmcnt(0)
	v_dot4c_i32_i8 v213, v232, v228
	v_dot4c_i32_i8 v211, v234, v228
	v_dot4c_i32_i8 v208, v236, v228
	v_dot4c_i32_i8 v206, v238, v228
	v_dot4c_i32_i8 v213, v233, v229
	v_dot4c_i32_i8 v211, v235, v229
	v_dot4c_i32_i8 v208, v237, v229
	v_dot4c_i32_i8 v206, v239, v229
	v_dot4c_i32_i8 v213, v240, v230
	v_dot4c_i32_i8 v211, v242, v230
	;; [unrolled: 18-line block ×6, first 2 shown]
	v_dot4c_i32_i8 v188, v190, v230
	v_dot4c_i32_i8 v189, v244, v230
	ds_read_b128 v[227:230], v227 offset:33328
	v_dot4c_i32_i8 v186, v241, v231
	v_dot4c_i32_i8 v187, v243, v231
	;; [unrolled: 1-line block ×4, first 2 shown]
	s_waitcnt lgkmcnt(0)
	v_dot4c_i32_i8 v209, v236, v227
	v_dot4c_i32_i8 v212, v232, v227
	;; [unrolled: 1-line block ×9, first 2 shown]
	ds_read_u16 v190, v192
	v_dot4c_i32_i8 v212, v240, v229
	v_dot4c_i32_i8 v210, v242, v229
	;; [unrolled: 1-line block ×7, first 2 shown]
	s_waitcnt lgkmcnt(0)
	v_and_b32_sdwa v215, v123, v190 dst_sel:DWORD dst_unused:UNUSED_PAD src0_sel:DWORD src1_sel:BYTE_1
	v_and_b32_e32 v199, 0xff, v190
	v_mul_lo_u32 v190, v226, v215
	v_mul_lo_u32 v129, v129, v199
	v_mul_lo_u32 v149, v149, v199
	v_mul_lo_u32 v173, v173, v199
	v_mul_lo_u32 v186, v186, v215
	v_cvt_f32_i32_e32 v220, v190
	ds_read_b64 v[190:191], v185 offset:43584
	v_cvt_f32_i32_e32 v129, v129
	v_cvt_f32_i32_e32 v173, v173
	;; [unrolled: 1-line block ×3, first 2 shown]
	s_waitcnt lgkmcnt(0)
	v_fma_mix_f32 v129, v190, v129, 0 op_sel_hi:[1,0,0]
	v_fma_mix_f32 v185, v191, v220, v129 op_sel_hi:[1,0,0]
	v_lshlrev_b32_e32 v129, 2, v93
	v_add3_u32 v220, s9, v129, v124
	ds_read_u16 v223, v220
	s_waitcnt lgkmcnt(0)
	v_and_b32_e32 v224, 0xff, v223
	v_and_b32_sdwa v223, v123, v223 dst_sel:DWORD dst_unused:UNUSED_PAD src0_sel:DWORD src1_sel:BYTE_1
	v_mul_lo_u32 v130, v130, v224
	v_mul_lo_u32 v222, v222, v223
	;; [unrolled: 1-line block ×8, first 2 shown]
	v_cvt_f32_i32_e32 v130, v130
	v_cvt_f32_i32_e32 v222, v222
	;; [unrolled: 1-line block ×5, first 2 shown]
	v_fma_mix_f32 v130, v190, v130, 0 op_sel_hi:[1,0,0]
	v_cvt_f32_i32_e32 v182, v182
	v_cvt_f32_i32_e32 v174, v174
	v_fma_mix_f32 v222, v191, v222, v130 op_sel_hi:[1,0,0]
	v_lshlrev_b32_e32 v130, 2, v94
	v_add3_u32 v225, s9, v130, v125
	ds_read_u16 v226, v225
	s_waitcnt lgkmcnt(0)
	v_and_b32_e32 v227, 0xff, v226
	v_and_b32_sdwa v226, v123, v226 dst_sel:DWORD dst_unused:UNUSED_PAD src0_sel:DWORD src1_sel:BYTE_1
	v_mul_lo_u32 v131, v131, v227
	v_mul_lo_u32 v221, v221, v226
	;; [unrolled: 1-line block ×8, first 2 shown]
	v_cvt_f32_i32_e32 v131, v131
	v_cvt_f32_i32_e32 v221, v221
	;; [unrolled: 1-line block ×5, first 2 shown]
	v_fma_mix_f32 v131, v190, v131, 0 op_sel_hi:[1,0,0]
	v_cvt_f32_i32_e32 v167, v167
	v_cvt_f32_i32_e32 v171, v171
	v_cvt_f32_i32_e32 v181, v181
	v_mul_lo_u32 v175, v175, v227
	v_fma_mix_f32 v221, v191, v221, v131 op_sel_hi:[1,0,0]
	v_lshlrev_b32_e32 v131, 2, v95
	v_mul_lo_u32 v188, v188, v226
	v_add3_u32 v228, s9, v131, v126
	v_cvt_f32_i32_e32 v175, v175
	s_mov_b32 s9, 8
	ds_read_u16 v229, v228
	s_waitcnt lgkmcnt(0)
	v_and_b32_e32 v230, 0xff, v229
	v_and_b32_sdwa v229, v123, v229 dst_sel:DWORD dst_unused:UNUSED_PAD src0_sel:DWORD src1_sel:BYTE_1
	v_mul_lo_u32 v151, v151, v230
	v_mul_lo_u32 v219, v219, v229
	;; [unrolled: 1-line block ×8, first 2 shown]
	v_cvt_f32_i32_e32 v151, v151
	v_cvt_f32_i32_e32 v219, v219
	;; [unrolled: 1-line block ×5, first 2 shown]
	v_fma_mix_f32 v151, v190, v151, 0 op_sel_hi:[1,0,0]
	v_cvt_f32_i32_e32 v162, v162
	v_cvt_f32_i32_e32 v168, v168
	;; [unrolled: 1-line block ×3, first 2 shown]
	v_mul_lo_u32 v176, v176, v230
	v_fma_mix_f32 v151, v191, v219, v151 op_sel_hi:[1,0,0]
	ds_read_u16 v219, v220 offset:8
	ds_read_u16 v220, v225 offset:8
	;; [unrolled: 1-line block ×4, first 2 shown]
	v_mul_lo_u32 v189, v189, v229
	v_cvt_f32_i32_e32 v176, v176
	s_waitcnt lgkmcnt(3)
	v_cvt_f32_ubyte0_e32 v228, v219
	s_waitcnt lgkmcnt(2)
	v_cvt_f32_ubyte0_e32 v231, v220
	;; [unrolled: 2-line block ×4, first 2 shown]
	v_cvt_f32_ubyte1_e32 v219, v219
	v_cvt_f32_ubyte1_e32 v220, v220
	;; [unrolled: 1-line block ×4, first 2 shown]
	v_fma_mix_f32 v234, v228, v190, 0 op_sel:[0,1,0] op_sel_hi:[0,1,0]
	v_fma_mix_f32 v235, v231, v190, 0 op_sel:[0,1,0] op_sel_hi:[0,1,0]
	;; [unrolled: 1-line block ×8, first 2 shown]
	v_mul_lo_u32 v191, v218, v215
	v_cvt_f32_i32_e32 v218, v149
	ds_read_b64 v[149:150], v150 offset:43584
	v_cvt_f32_i32_e32 v191, v191
	s_waitcnt lgkmcnt(0)
	v_fma_mix_f32 v159, v149, v159, 0 op_sel_hi:[1,0,0]
	v_fma_mix_f32 v156, v149, v156, 0 op_sel_hi:[1,0,0]
	;; [unrolled: 1-line block ×7, first 2 shown]
	v_fma_mix_f32 v214, v228, v149, 0 op_sel:[0,1,0] op_sel_hi:[0,1,0]
	v_fma_mix_f32 v216, v231, v149, 0 op_sel:[0,1,0] op_sel_hi:[0,1,0]
	;; [unrolled: 1-line block ×4, first 2 shown]
	v_fma_mix_f32 v191, v150, v191, v218 op_sel_hi:[1,0,0]
	v_fma_mix_f32 v214, v219, v150, v214 op_sel:[0,1,0] op_sel_hi:[0,1,0]
	v_fma_mix_f32 v216, v220, v150, v216 op_sel:[0,1,0] op_sel_hi:[0,1,0]
	v_fma_mix_f32 v217, v225, v150, v217 op_sel:[0,1,0] op_sel_hi:[0,1,0]
	v_fma_mix_f32 v218, v192, v150, v149 op_sel:[0,1,0] op_sel_hi:[0,1,0]
	v_mul_lo_u32 v150, v152, v199
	v_lshrrev_b32_e32 v149, 1, v154
	v_mul_lo_u32 v152, v213, v215
	v_cvt_f32_i32_e32 v154, v150
	ds_read_b64 v[149:150], v149 offset:43584
	v_cvt_f32_i32_e32 v152, v152
	s_waitcnt lgkmcnt(0)
	v_fma_mix_f32 v154, v154, v149, 0 op_sel_hi:[0,1,0]
	v_fma_mix_f32 v160, v160, v149, 0 op_sel_hi:[0,1,0]
	v_fma_mix_f32 v157, v157, v149, 0 op_sel_hi:[0,1,0]
	v_fma_mix_f32 v152, v152, v150, v154 op_sel_hi:[0,1,0]
	v_mul_lo_u32 v154, v166, v224
	v_mul_lo_u32 v166, v211, v223
	v_cvt_f32_i32_e32 v154, v154
	v_cvt_f32_i32_e32 v166, v166
	v_fma_mix_f32 v154, v154, v149, 0 op_sel_hi:[0,1,0]
	v_fma_mix_f32 v154, v166, v150, v154 op_sel_hi:[0,1,0]
	v_mul_lo_u32 v166, v208, v226
	v_fma_mix_f32 v208, v232, v149, 0 op_sel:[0,1,0] op_sel_hi:[0,1,0]
	v_fma_mix_f32 v208, v225, v150, v208 op_sel:[0,1,0] op_sel_hi:[0,1,0]
	v_cvt_f32_i32_e32 v166, v166
	v_fma_mix_f32 v160, v166, v150, v160 op_sel_hi:[0,1,0]
	v_mul_lo_u32 v166, v206, v229
	v_fma_mix_f32 v206, v231, v149, 0 op_sel:[0,1,0] op_sel_hi:[0,1,0]
	v_fma_mix_f32 v206, v220, v150, v206 op_sel:[0,1,0] op_sel_hi:[0,1,0]
	v_cvt_f32_i32_e32 v166, v166
	v_fma_mix_f32 v157, v166, v150, v157 op_sel_hi:[0,1,0]
	v_fma_mix_f32 v166, v228, v149, 0 op_sel:[0,1,0] op_sel_hi:[0,1,0]
	v_fma_mix_f32 v149, v233, v149, 0 op_sel:[0,1,0] op_sel_hi:[0,1,0]
	;; [unrolled: 1-line block ×4, first 2 shown]
	v_mul_lo_u32 v150, v155, v199
	v_lshrrev_b32_e32 v149, 1, v158
	v_mul_lo_u32 v155, v204, v215
	v_mul_f32_e32 v166, v166, v136
	v_cvt_f32_i32_e32 v158, v150
	ds_read_b64 v[149:150], v149 offset:43584
	v_cvt_f32_i32_e32 v155, v155
	v_fma_f32 v154, v154, v135, -v166
	v_add_f32_e32 v45, v45, v154
	s_waitcnt lgkmcnt(0)
	v_fma_mix_f32 v158, v158, v149, 0 op_sel_hi:[0,1,0]
	v_fma_mix_f32 v167, v167, v149, 0 op_sel_hi:[0,1,0]
	;; [unrolled: 1-line block ×4, first 2 shown]
	v_mul_lo_u32 v158, v170, v224
	v_mul_lo_u32 v170, v201, v223
	v_cvt_f32_i32_e32 v158, v158
	v_cvt_f32_i32_e32 v170, v170
	v_fma_mix_f32 v158, v158, v149, 0 op_sel_hi:[0,1,0]
	v_fma_mix_f32 v158, v170, v150, v158 op_sel_hi:[0,1,0]
	v_mul_lo_u32 v170, v198, v226
	v_fma_mix_f32 v198, v232, v149, 0 op_sel:[0,1,0] op_sel_hi:[0,1,0]
	v_fma_mix_f32 v198, v225, v150, v198 op_sel:[0,1,0] op_sel_hi:[0,1,0]
	v_cvt_f32_i32_e32 v170, v170
	v_fma_mix_f32 v167, v170, v150, v167 op_sel_hi:[0,1,0]
	v_mul_lo_u32 v170, v195, v229
	v_fma_mix_f32 v195, v231, v149, 0 op_sel:[0,1,0] op_sel_hi:[0,1,0]
	v_fma_mix_f32 v195, v220, v150, v195 op_sel:[0,1,0] op_sel_hi:[0,1,0]
	v_cvt_f32_i32_e32 v170, v170
	v_fma_mix_f32 v162, v170, v150, v162 op_sel_hi:[0,1,0]
	v_fma_mix_f32 v170, v228, v149, 0 op_sel:[0,1,0] op_sel_hi:[0,1,0]
	v_fma_mix_f32 v149, v233, v149, 0 op_sel:[0,1,0] op_sel_hi:[0,1,0]
	v_fma_mix_f32 v170, v219, v150, v170 op_sel:[0,1,0] op_sel_hi:[0,1,0]
	v_fma_mix_f32 v201, v192, v150, v149 op_sel:[0,1,0] op_sel_hi:[0,1,0]
	v_mul_lo_u32 v150, v161, v199
	v_lshrrev_b32_e32 v149, 1, v163
	v_mul_lo_u32 v161, v194, v215
	v_mul_f32_e32 v166, v170, v144
	v_cvt_f32_i32_e32 v163, v150
	ds_read_b64 v[149:150], v149 offset:43584
	v_cvt_f32_i32_e32 v161, v161
	v_fma_f32 v158, v158, v143, -v166
	v_mul_f32_e32 v166, v206, v138
	v_add_f32_e32 v46, v46, v158
	v_fma_f32 v160, v160, v137, -v166
	v_mul_f32_e32 v166, v195, v146
	v_add_f32_e32 v39, v39, v160
	;; [unrolled: 3-line block ×3, first 2 shown]
	s_waitcnt lgkmcnt(0)
	v_fma_mix_f32 v163, v163, v149, 0 op_sel_hi:[0,1,0]
	v_fma_mix_f32 v171, v171, v149, 0 op_sel_hi:[0,1,0]
	;; [unrolled: 1-line block ×3, first 2 shown]
	v_fma_mix_f32 v194, v232, v149, 0 op_sel:[0,1,0] op_sel_hi:[0,1,0]
	v_fma_f32 v157, v157, v139, -v167
	v_fma_mix_f32 v161, v161, v150, v163 op_sel_hi:[0,1,0]
	v_mul_lo_u32 v163, v172, v224
	v_mul_lo_u32 v172, v193, v223
	v_fma_mix_f32 v193, v231, v149, 0 op_sel:[0,1,0] op_sel_hi:[0,1,0]
	v_fma_mix_f32 v194, v225, v150, v194 op_sel:[0,1,0] op_sel_hi:[0,1,0]
	v_mul_f32_e32 v167, v198, v148
	v_add_f32_e32 v41, v41, v157
	v_fma_mix_f32 v193, v220, v150, v193 op_sel:[0,1,0] op_sel_hi:[0,1,0]
	v_cvt_f32_i32_e32 v163, v163
	v_cvt_f32_i32_e32 v172, v172
	v_fma_f32 v162, v162, v147, -v167
	v_fma_mix_f32 v163, v163, v149, 0 op_sel_hi:[0,1,0]
	v_add_f32_e32 v42, v42, v162
	v_fma_mix_f32 v163, v172, v150, v163 op_sel_hi:[0,1,0]
	v_mul_lo_u32 v172, v202, v226
	v_cvt_f32_i32_e32 v172, v172
	v_fma_mix_f32 v171, v172, v150, v171 op_sel_hi:[0,1,0]
	v_mul_lo_u32 v172, v205, v229
	v_cvt_f32_i32_e32 v172, v172
	v_fma_mix_f32 v168, v172, v150, v168 op_sel_hi:[0,1,0]
	v_fma_mix_f32 v172, v228, v149, 0 op_sel:[0,1,0] op_sel_hi:[0,1,0]
	v_fma_mix_f32 v149, v233, v149, 0 op_sel:[0,1,0] op_sel_hi:[0,1,0]
	;; [unrolled: 1-line block ×4, first 2 shown]
	v_mul_lo_u32 v150, v165, v199
	v_lshrrev_b32_e32 v149, 1, v169
	v_mul_lo_u32 v165, v203, v215
	v_mul_f32_e32 v167, v202, v134
	v_cvt_f32_i32_e32 v169, v150
	ds_read_b64 v[149:150], v149 offset:43584
	v_cvt_f32_i32_e32 v165, v165
	v_fma_f32 v161, v161, v133, -v167
	v_add_f32_e32 v31, v31, v161
	s_waitcnt lgkmcnt(0)
	v_fma_mix_f32 v169, v169, v149, 0 op_sel_hi:[0,1,0]
	v_fma_mix_f32 v164, v164, v149, 0 op_sel_hi:[0,1,0]
	;; [unrolled: 1-line block ×3, first 2 shown]
	v_mul_lo_u32 v169, v200, v223
	v_cvt_f32_i32_e32 v169, v169
	v_fma_mix_f32 v164, v169, v150, v164 op_sel_hi:[0,1,0]
	v_mul_lo_u32 v169, v178, v227
	v_mul_lo_u32 v178, v197, v226
	v_fma_mix_f32 v197, v232, v149, 0 op_sel:[0,1,0] op_sel_hi:[0,1,0]
	v_fma_mix_f32 v197, v225, v150, v197 op_sel:[0,1,0] op_sel_hi:[0,1,0]
	v_cvt_f32_i32_e32 v169, v169
	v_cvt_f32_i32_e32 v178, v178
	v_fma_mix_f32 v169, v169, v149, 0 op_sel_hi:[0,1,0]
	v_fma_mix_f32 v169, v178, v150, v169 op_sel_hi:[0,1,0]
	v_mul_lo_u32 v178, v179, v230
	v_mul_lo_u32 v179, v196, v229
	v_fma_mix_f32 v196, v231, v149, 0 op_sel:[0,1,0] op_sel_hi:[0,1,0]
	v_fma_mix_f32 v196, v220, v150, v196 op_sel:[0,1,0] op_sel_hi:[0,1,0]
	v_cvt_f32_i32_e32 v178, v178
	v_cvt_f32_i32_e32 v179, v179
	v_mul_f32_e32 v170, v196, v146
	v_fma_mix_f32 v178, v178, v149, 0 op_sel_hi:[0,1,0]
	v_fma_f32 v169, v169, v145, -v170
	v_fma_mix_f32 v178, v179, v150, v178 op_sel_hi:[0,1,0]
	v_fma_mix_f32 v179, v228, v149, 0 op_sel:[0,1,0] op_sel_hi:[0,1,0]
	v_fma_mix_f32 v149, v233, v149, 0 op_sel:[0,1,0] op_sel_hi:[0,1,0]
	v_mul_f32_e32 v170, v194, v140
	v_add_f32_e32 v36, v36, v169
	v_fma_mix_f32 v179, v219, v150, v179 op_sel:[0,1,0] op_sel_hi:[0,1,0]
	v_fma_mix_f32 v200, v192, v150, v149 op_sel:[0,1,0] op_sel_hi:[0,1,0]
	v_mul_lo_u32 v150, v183, v199
	v_lshrrev_b32_e32 v149, 1, v184
	v_mul_lo_u32 v183, v212, v215
	v_fma_f32 v168, v168, v139, -v170
	v_mul_f32_e32 v167, v200, v142
	v_mul_f32_e32 v170, v197, v148
	v_cvt_f32_i32_e32 v184, v150
	ds_read_b64 v[149:150], v149 offset:43584
	v_cvt_f32_i32_e32 v183, v183
	v_fma_f32 v165, v165, v141, -v167
	v_mul_f32_e32 v167, v172, v136
	v_fma_f32 v170, v178, v147, -v170
	v_add_f32_e32 v29, v29, v168
	v_add_f32_e32 v32, v32, v165
	v_fma_f32 v163, v163, v135, -v167
	v_mul_f32_e32 v167, v179, v144
	v_add_f32_e32 v30, v30, v170
	v_add_f32_e32 v33, v33, v163
	v_fma_f32 v164, v164, v143, -v167
	v_mul_f32_e32 v167, v193, v138
	v_add_f32_e32 v34, v34, v164
	s_waitcnt lgkmcnt(0)
	v_fma_mix_f32 v184, v184, v149, 0 op_sel_hi:[0,1,0]
	v_fma_mix_f32 v182, v182, v149, 0 op_sel_hi:[0,1,0]
	;; [unrolled: 1-line block ×4, first 2 shown]
	v_fma_mix_f32 v203, v231, v149, 0 op_sel:[0,1,0] op_sel_hi:[0,1,0]
	v_fma_mix_f32 v183, v183, v150, v184 op_sel_hi:[0,1,0]
	v_mul_lo_u32 v184, v210, v223
	v_fma_mix_f32 v204, v232, v149, 0 op_sel:[0,1,0] op_sel_hi:[0,1,0]
	v_fma_f32 v167, v171, v137, -v167
	v_fma_mix_f32 v203, v220, v150, v203 op_sel:[0,1,0] op_sel_hi:[0,1,0]
	v_fma_mix_f32 v204, v225, v150, v204 op_sel:[0,1,0] op_sel_hi:[0,1,0]
	v_add_f32_e32 v35, v35, v167
	v_cvt_f32_i32_e32 v184, v184
	v_fma_mix_f32 v182, v184, v150, v182 op_sel_hi:[0,1,0]
	v_mul_lo_u32 v184, v209, v226
	v_cvt_f32_i32_e32 v184, v184
	v_fma_mix_f32 v181, v184, v150, v181 op_sel_hi:[0,1,0]
	v_mul_lo_u32 v184, v207, v229
	v_cvt_f32_i32_e32 v184, v184
	v_fma_mix_f32 v180, v184, v150, v180 op_sel_hi:[0,1,0]
	v_fma_mix_f32 v184, v228, v149, 0 op_sel:[0,1,0] op_sel_hi:[0,1,0]
	v_fma_mix_f32 v149, v233, v149, 0 op_sel:[0,1,0] op_sel_hi:[0,1,0]
	;; [unrolled: 1-line block ×4, first 2 shown]
	v_lshrrev_b32_e32 v149, 1, v177
	v_mul_f32_e32 v172, v205, v142
	ds_read_b64 v[149:150], v149 offset:43584
	v_fma_f32 v172, v183, v141, -v172
	v_add_f32_e32 v22, v22, v172
	s_waitcnt lgkmcnt(0)
	v_fma_mix_f32 v173, v173, v149, 0 op_sel_hi:[0,1,0]
	v_fma_mix_f32 v210, v233, v149, 0 op_sel:[0,1,0] op_sel_hi:[0,1,0]
	v_fma_mix_f32 v174, v174, v149, 0 op_sel_hi:[0,1,0]
	v_fma_mix_f32 v177, v228, v149, 0 op_sel:[0,1,0] op_sel_hi:[0,1,0]
	v_fma_mix_f32 v207, v231, v149, 0 op_sel:[0,1,0] op_sel_hi:[0,1,0]
	v_fma_mix_f32 v173, v186, v150, v173 op_sel_hi:[0,1,0]
	v_cvt_f32_i32_e32 v186, v187
	v_mul_f32_e32 v187, v216, v146
	v_fma_mix_f32 v209, v232, v149, 0 op_sel:[0,1,0] op_sel_hi:[0,1,0]
	v_fma_mix_f32 v192, v192, v150, v210 op_sel:[0,1,0] op_sel_hi:[0,1,0]
	v_fma_mix_f32 v175, v175, v149, 0 op_sel_hi:[0,1,0]
	v_fma_mix_f32 v174, v186, v150, v174 op_sel_hi:[0,1,0]
	v_cvt_f32_i32_e32 v186, v188
	v_fma_f32 v156, v156, v145, -v187
	v_mul_f32_e32 v187, v236, v140
	v_fma_mix_f32 v177, v219, v150, v177 op_sel:[0,1,0] op_sel_hi:[0,1,0]
	v_fma_mix_f32 v207, v220, v150, v207 op_sel:[0,1,0] op_sel_hi:[0,1,0]
	;; [unrolled: 1-line block ×3, first 2 shown]
	v_fma_mix_f32 v175, v186, v150, v175 op_sel_hi:[0,1,0]
	v_cvt_f32_i32_e32 v186, v189
	v_fma_mix_f32 v149, v176, v149, 0 op_sel_hi:[0,1,0]
	v_fma_f32 v151, v151, v139, -v187
	v_mul_f32_e32 v187, v217, v148
	v_mul_f32_e32 v171, v192, v134
	;; [unrolled: 1-line block ×3, first 2 shown]
	v_fma_mix_f32 v149, v186, v150, v149 op_sel_hi:[0,1,0]
	v_mul_f32_e32 v150, v190, v134
	v_mul_f32_e32 v186, v214, v144
	v_fma_f32 v153, v153, v147, -v187
	v_mul_f32_e32 v187, v211, v134
	v_fma_f32 v171, v173, v133, -v171
	v_mul_f32_e32 v173, v177, v136
	v_mul_f32_e32 v177, v207, v138
	v_fma_f32 v150, v185, v133, -v150
	v_mul_f32_e32 v176, v218, v142
	;; [unrolled: 3-line block ×3, first 2 shown]
	v_fma_f32 v152, v152, v133, -v187
	v_mul_f32_e32 v187, v201, v142
	v_fma_f32 v173, v174, v135, -v173
	v_mul_f32_e32 v174, v184, v144
	;; [unrolled: 2-line block ×4, first 2 shown]
	v_fma_f32 v176, v191, v141, -v176
	v_fma_f32 v185, v222, v135, -v185
	;; [unrolled: 1-line block ×7, first 2 shown]
	v_add_f32_e32 v3, v3, v176
	v_add_f32_e32 v2, v2, v150
	;; [unrolled: 1-line block ×17, first 2 shown]
	s_cbranch_vccnz .LBB154_6
; %bb.7:                                ;   in Loop: Header=BB154_5 Depth=1
	v_add_nc_u32_e32 v145, s0, v93
	v_add_nc_u32_e32 v132, 4, v132
	s_barrier
	buffer_gl0_inv
	v_add_nc_u32_e32 v133, v145, v85
	v_add_nc_u32_e32 v135, v145, v86
	v_add_nc_u32_e32 v137, v145, v87
	v_add_nc_u32_e32 v139, v145, v88
	v_add_nc_u32_e32 v141, v145, v89
	v_mad_u64_u32 v[143:144], null, v132, 36, s[2:3]
	v_mad_i64_i32 v[133:134], null, v133, 36, v[37:38]
	v_add_nc_u32_e32 v146, v145, v90
	v_mad_i64_i32 v[135:136], null, v135, 36, v[37:38]
	v_add_nc_u32_e32 v147, v145, v91
	;; [unrolled: 2-line block ×3, first 2 shown]
	v_mad_i64_i32 v[139:140], null, v139, 36, v[37:38]
	v_mad_i64_i32 v[141:142], null, v141, 36, v[37:38]
	;; [unrolled: 1-line block ×5, first 2 shown]
	s_clause 0x8
	global_load_dword v132, v[143:144], off
	global_load_dword v133, v[133:134], off offset:4
	global_load_dword v134, v[135:136], off offset:4
	;; [unrolled: 1-line block ×8, first 2 shown]
	s_mov_b32 s0, 16
	s_waitcnt vmcnt(8)
	ds_write_b32 v83, v132
	s_waitcnt vmcnt(7)
	ds_write_b32 v115, v133
	s_waitcnt vmcnt(6)
	ds_write_b32 v116, v134
	s_waitcnt vmcnt(5)
	ds_write_b32 v117, v135
	s_waitcnt vmcnt(4)
	ds_write_b32 v118, v136
	s_waitcnt vmcnt(3)
	ds_write_b32 v119, v137
	s_waitcnt vmcnt(2)
	ds_write_b32 v120, v138
	s_waitcnt vmcnt(1)
	ds_write_b32 v121, v139
	s_waitcnt vmcnt(0)
	ds_write_b32 v122, v140
	s_waitcnt lgkmcnt(0)
	s_barrier
	buffer_gl0_inv
	ds_read_b32 v133, v96
	ds_read_b32 v135, v97 offset:128
	ds_read_b32 v137, v98 offset:256
	;; [unrolled: 1-line block ×3, first 2 shown]
	s_waitcnt lgkmcnt(3)
	v_cvt_f32_f16_e32 v132, v133
	v_cvt_f32_f16_sdwa v133, v133 dst_sel:DWORD dst_unused:UNUSED_PAD src0_sel:WORD_1
	s_waitcnt lgkmcnt(2)
	v_cvt_f32_f16_e32 v134, v135
	v_cvt_f32_f16_sdwa v135, v135 dst_sel:DWORD dst_unused:UNUSED_PAD src0_sel:WORD_1
	;; [unrolled: 3-line block ×4, first 2 shown]
	v_mov_b32_e32 v140, v132
	v_mov_b32_e32 v141, v133
	v_mov_b32_e32 v142, v134
	v_mov_b32_e32 v143, v135
	v_mov_b32_e32 v144, v136
	v_mov_b32_e32 v145, v137
	v_mov_b32_e32 v146, v138
	v_mov_b32_e32 v147, v139
.LBB154_8:                              ;   Parent Loop BB154_5 Depth=1
                                        ; =>  This Inner Loop Header: Depth=2
	s_lshl_b32 s9, s0, 1
	s_lshl_b32 s1, s0, 3
	s_and_b32 s9, s9, 16
	v_add_nc_u32_e32 v188, s1, v107
	v_or_b32_e32 v161, s9, v68
	v_add_nc_u32_e32 v190, s1, v108
	v_add_nc_u32_e32 v191, s1, v109
	;; [unrolled: 1-line block ×3, first 2 shown]
	v_or_b32_e32 v149, s9, v100
	v_lshlrev_b32_e32 v189, 2, v161
	v_mov_b32_e32 v160, 0
	v_mov_b32_e32 v157, 0
	;; [unrolled: 1-line block ×3, first 2 shown]
	ds_read2_b32 v[199:200], v188 offset1:1
	ds_read_b128 v[151:154], v189 offset:33280
	ds_read2_b32 v[201:202], v190 offset1:1
	ds_read2_b32 v[203:204], v191 offset1:1
	ds_read2_b32 v[209:210], v190 offset0:2 offset1:3
	ds_read2_b32 v[207:208], v188 offset0:2 offset1:3
	ds_read2_b32 v[205:206], v192 offset1:1
	ds_read2_b32 v[213:214], v192 offset0:2 offset1:3
	ds_read2_b32 v[211:212], v191 offset0:2 offset1:3
	v_mov_b32_e32 v150, 0
	v_lshlrev_b32_e32 v193, 2, v149
	v_mov_b32_e32 v148, 0
	v_mov_b32_e32 v156, 0
	v_mov_b32_e32 v158, 0
	v_mov_b32_e32 v159, 0
	ds_read_b128 v[162:165], v193 offset:33280
	v_or_b32_e32 v187, s9, v102
	v_mov_b32_e32 v186, 0
	v_mov_b32_e32 v185, 0
	v_mov_b32_e32 v184, 0
	v_mov_b32_e32 v179, 0
	s_waitcnt lgkmcnt(8)
	v_dot4c_i32_i8 v160, v199, v151
	s_waitcnt lgkmcnt(7)
	v_dot4c_i32_i8 v157, v201, v151
	;; [unrolled: 2-line block ×3, first 2 shown]
	v_lshlrev_b32_e32 v226, 2, v187
	v_or_b32_e32 v182, s9, v103
	s_waitcnt lgkmcnt(3)
	v_dot4c_i32_i8 v150, v205, v151
	v_dot4c_i32_i8 v160, v200, v152
	v_dot4c_i32_i8 v157, v202, v152
	v_dot4c_i32_i8 v155, v204, v152
	v_mov_b32_e32 v151, 0
	v_dot4c_i32_i8 v150, v206, v152
	v_dot4c_i32_i8 v160, v207, v153
	;; [unrolled: 1-line block ×3, first 2 shown]
	s_waitcnt lgkmcnt(1)
	v_dot4c_i32_i8 v155, v211, v153
	v_mov_b32_e32 v152, 0
	v_dot4c_i32_i8 v150, v213, v153
	v_dot4c_i32_i8 v160, v208, v154
	;; [unrolled: 1-line block ×4, first 2 shown]
	s_waitcnt lgkmcnt(0)
	v_dot4c_i32_i8 v148, v199, v162
	v_dot4c_i32_i8 v150, v214, v154
	v_mov_b32_e32 v154, 0
	v_dot4c_i32_i8 v156, v201, v162
	v_dot4c_i32_i8 v152, v205, v162
	;; [unrolled: 1-line block ×3, first 2 shown]
	v_or_b32_e32 v153, s9, v101
	v_dot4c_i32_i8 v154, v203, v162
	v_dot4c_i32_i8 v156, v202, v163
	;; [unrolled: 1-line block ×4, first 2 shown]
	v_lshlrev_b32_e32 v194, 2, v153
	v_dot4c_i32_i8 v154, v204, v163
	v_dot4c_i32_i8 v156, v209, v164
	;; [unrolled: 1-line block ×4, first 2 shown]
	v_mov_b32_e32 v163, 0
	v_dot4c_i32_i8 v154, v211, v164
	v_dot4c_i32_i8 v156, v210, v165
	;; [unrolled: 1-line block ×3, first 2 shown]
	v_lshlrev_b32_e32 v227, 2, v182
	v_mov_b32_e32 v180, 0
	v_dot4c_i32_i8 v154, v212, v165
	ds_read_b128 v[164:167], v194 offset:33280
	v_mov_b32_e32 v177, 0
	v_mov_b32_e32 v175, 0
	;; [unrolled: 1-line block ×3, first 2 shown]
	v_or_b32_e32 v173, s9, v104
	v_mov_b32_e32 v171, 0
	v_mov_b32_e32 v170, 0
	;; [unrolled: 1-line block ×4, first 2 shown]
	v_lshlrev_b32_e32 v228, 2, v173
	v_mov_b32_e32 v162, 0
	v_or_b32_e32 v183, s9, v106
	v_mov_b32_e32 v181, 0
	v_mov_b32_e32 v178, 0
	;; [unrolled: 1-line block ×4, first 2 shown]
	v_lshlrev_b32_e32 v231, 2, v183
	v_mov_b32_e32 v230, 0
	v_mov_b32_e32 v220, 0
	v_mov_b32_e32 v217, 0
	s_waitcnt lgkmcnt(0)
	v_dot4c_i32_i8 v151, v199, v164
	v_dot4c_i32_i8 v158, v201, v164
	v_dot4c_i32_i8 v159, v203, v164
	v_dot4c_i32_i8 v163, v205, v164
	v_mov_b32_e32 v225, 0
	v_dot4c_i32_i8 v151, v200, v165
	v_dot4c_i32_i8 v158, v202, v165
	v_dot4c_i32_i8 v159, v204, v165
	v_dot4c_i32_i8 v163, v206, v165
	v_mov_b32_e32 v224, 0
	v_dot4c_i32_i8 v151, v207, v166
	v_dot4c_i32_i8 v158, v209, v166
	v_dot4c_i32_i8 v159, v211, v166
	v_dot4c_i32_i8 v163, v213, v166
	v_mov_b32_e32 v223, 0
	v_dot4c_i32_i8 v151, v208, v167
	v_dot4c_i32_i8 v158, v210, v167
	;; [unrolled: 1-line block ×4, first 2 shown]
	ds_read_b128 v[164:167], v226 offset:33280
	v_mov_b32_e32 v221, 0
	v_mov_b32_e32 v222, 0
	;; [unrolled: 1-line block ×6, first 2 shown]
	s_lshr_b32 s1, s0, 2
	v_lshrrev_b32_e32 v161, 1, v161
	s_and_b32 s1, s1, 0x3ffffffe
	v_lshrrev_b32_e32 v149, 1, v149
	s_add_i32 s1, s1, 0xa200
	s_waitcnt lgkmcnt(0)
	v_dot4c_i32_i8 v186, v199, v164
	v_dot4c_i32_i8 v185, v201, v164
	;; [unrolled: 1-line block ×16, first 2 shown]
	ds_read_b128 v[164:167], v227 offset:33280
	s_waitcnt lgkmcnt(0)
	v_dot4c_i32_i8 v180, v199, v164
	v_dot4c_i32_i8 v177, v201, v164
	v_dot4c_i32_i8 v175, v203, v164
	v_dot4c_i32_i8 v172, v205, v164
	v_dot4c_i32_i8 v180, v200, v165
	v_dot4c_i32_i8 v177, v202, v165
	v_dot4c_i32_i8 v175, v204, v165
	v_dot4c_i32_i8 v172, v206, v165
	v_dot4c_i32_i8 v180, v207, v166
	v_dot4c_i32_i8 v177, v209, v166
	v_dot4c_i32_i8 v175, v211, v166
	v_dot4c_i32_i8 v172, v213, v166
	v_dot4c_i32_i8 v180, v208, v167
	v_dot4c_i32_i8 v177, v210, v167
	v_dot4c_i32_i8 v175, v212, v167
	v_dot4c_i32_i8 v172, v214, v167
	ds_read_b128 v[164:167], v228 offset:33280
	s_waitcnt lgkmcnt(0)
	v_dot4c_i32_i8 v171, v199, v164
	v_dot4c_i32_i8 v170, v201, v164
	v_dot4c_i32_i8 v169, v203, v164
	v_dot4c_i32_i8 v168, v205, v164
	v_mov_b32_e32 v164, 0
	v_dot4c_i32_i8 v171, v200, v165
	v_dot4c_i32_i8 v170, v202, v165
	v_dot4c_i32_i8 v169, v204, v165
	v_dot4c_i32_i8 v168, v206, v165
	v_mov_b32_e32 v165, 0
	;; [unrolled: 5-line block ×3, first 2 shown]
	v_dot4c_i32_i8 v171, v208, v167
	v_dot4c_i32_i8 v170, v210, v167
	;; [unrolled: 1-line block ×4, first 2 shown]
	v_or_b32_e32 v167, s9, v105
	v_lshlrev_b32_e32 v229, 2, v167
	ds_read_b128 v[195:198], v229 offset:33280
	s_waitcnt lgkmcnt(0)
	v_dot4c_i32_i8 v162, v199, v195
	v_dot4c_i32_i8 v164, v201, v195
	;; [unrolled: 1-line block ×16, first 2 shown]
	ds_read_b128 v[195:198], v231 offset:33280
	s_waitcnt lgkmcnt(0)
	v_dot4c_i32_i8 v181, v199, v195
	v_dot4c_i32_i8 v178, v201, v195
	v_dot4c_i32_i8 v176, v203, v195
	v_dot4c_i32_i8 v174, v205, v195
	v_mov_b32_e32 v205, 0
	v_dot4c_i32_i8 v181, v200, v196
	v_dot4c_i32_i8 v178, v202, v196
	v_dot4c_i32_i8 v176, v204, v196
	v_dot4c_i32_i8 v174, v206, v196
	v_mov_b32_e32 v203, 0
	;; [unrolled: 5-line block ×3, first 2 shown]
	v_dot4c_i32_i8 v181, v208, v198
	v_dot4c_i32_i8 v178, v210, v198
	;; [unrolled: 1-line block ×4, first 2 shown]
	ds_read2_b32 v[236:237], v188 offset0:8 offset1:9
	ds_read_b128 v[195:198], v189 offset:33312
	ds_read2_b32 v[238:239], v190 offset0:8 offset1:9
	ds_read2_b32 v[240:241], v191 offset0:8 offset1:9
	;; [unrolled: 1-line block ×7, first 2 shown]
	v_mov_b32_e32 v202, 0
	v_mov_b32_e32 v201, 0
	ds_read_b128 v[232:235], v229 offset:33312
	v_mov_b32_e32 v200, 0
	v_mov_b32_e32 v199, 0
	v_mov_b32_e32 v206, 0
	v_mov_b32_e32 v209, 0
	v_mov_b32_e32 v213, 0
	v_mov_b32_e32 v212, 0
	v_mov_b32_e32 v208, 0
	v_mov_b32_e32 v207, 0
	v_mov_b32_e32 v204, 0
	s_waitcnt lgkmcnt(8)
	v_dot4c_i32_i8 v230, v236, v195
	s_waitcnt lgkmcnt(7)
	v_dot4c_i32_i8 v220, v238, v195
	;; [unrolled: 2-line block ×3, first 2 shown]
	v_mov_b32_e32 v214, 0
	v_mov_b32_e32 v210, 0
	s_waitcnt lgkmcnt(3)
	v_dot4c_i32_i8 v211, v242, v195
	v_dot4c_i32_i8 v230, v237, v196
	;; [unrolled: 1-line block ×7, first 2 shown]
	s_waitcnt lgkmcnt(1)
	v_dot4c_i32_i8 v217, v248, v197
	v_dot4c_i32_i8 v211, v250, v197
	v_dot4c_i32_i8 v230, v245, v198
	v_dot4c_i32_i8 v220, v247, v198
	v_dot4c_i32_i8 v217, v249, v198
	v_dot4c_i32_i8 v211, v251, v198
	ds_read_b128 v[195:198], v193 offset:33312
	s_waitcnt lgkmcnt(0)
	v_dot4c_i32_i8 v205, v236, v195
	v_dot4c_i32_i8 v203, v238, v195
	v_dot4c_i32_i8 v202, v240, v195
	v_dot4c_i32_i8 v201, v242, v195
	v_dot4c_i32_i8 v205, v237, v196
	v_dot4c_i32_i8 v203, v239, v196
	v_dot4c_i32_i8 v202, v241, v196
	v_dot4c_i32_i8 v201, v243, v196
	v_dot4c_i32_i8 v205, v244, v197
	v_dot4c_i32_i8 v203, v246, v197
	v_dot4c_i32_i8 v202, v248, v197
	v_dot4c_i32_i8 v201, v250, v197
	v_dot4c_i32_i8 v205, v245, v198
	v_dot4c_i32_i8 v203, v247, v198
	v_dot4c_i32_i8 v202, v249, v198
	v_dot4c_i32_i8 v201, v251, v198
	ds_read_b128 v[195:198], v194 offset:33312
	s_waitcnt lgkmcnt(0)
	v_dot4c_i32_i8 v200, v236, v195
	v_dot4c_i32_i8 v199, v238, v195
	v_dot4c_i32_i8 v206, v240, v195
	v_dot4c_i32_i8 v209, v242, v195
	v_dot4c_i32_i8 v200, v237, v196
	v_dot4c_i32_i8 v199, v239, v196
	v_dot4c_i32_i8 v206, v241, v196
	v_dot4c_i32_i8 v209, v243, v196
	v_dot4c_i32_i8 v200, v244, v197
	v_dot4c_i32_i8 v199, v246, v197
	;; [unrolled: 18-line block ×4, first 2 shown]
	v_dot4c_i32_i8 v215, v248, v197
	v_dot4c_i32_i8 v213, v250, v197
	;; [unrolled: 1-line block ×6, first 2 shown]
	ds_read_b128 v[195:198], v228 offset:33312
	s_waitcnt lgkmcnt(0)
	v_dot4c_i32_i8 v212, v236, v195
	v_dot4c_i32_i8 v208, v238, v195
	v_dot4c_i32_i8 v207, v240, v195
	v_dot4c_i32_i8 v204, v242, v195
	v_mov_b32_e32 v195, 0
	v_dot4c_i32_i8 v212, v237, v196
	v_dot4c_i32_i8 v208, v239, v196
	v_dot4c_i32_i8 v207, v241, v196
	v_dot4c_i32_i8 v204, v243, v196
	v_mov_b32_e32 v196, 0
	;; [unrolled: 5-line block ×4, first 2 shown]
	v_dot4c_i32_i8 v195, v236, v232
	v_dot4c_i32_i8 v196, v238, v232
	v_dot4c_i32_i8 v197, v240, v232
	v_dot4c_i32_i8 v198, v242, v232
	v_dot4c_i32_i8 v195, v237, v233
	v_dot4c_i32_i8 v196, v239, v233
	v_dot4c_i32_i8 v197, v241, v233
	v_dot4c_i32_i8 v198, v243, v233
	v_dot4c_i32_i8 v195, v244, v234
	v_dot4c_i32_i8 v196, v246, v234
	v_dot4c_i32_i8 v197, v248, v234
	v_dot4c_i32_i8 v198, v250, v234
	v_dot4c_i32_i8 v195, v245, v235
	v_dot4c_i32_i8 v196, v247, v235
	v_dot4c_i32_i8 v197, v249, v235
	v_dot4c_i32_i8 v198, v251, v235
	ds_read_b128 v[232:235], v231 offset:33312
	s_waitcnt lgkmcnt(0)
	v_dot4c_i32_i8 v218, v236, v232
	v_dot4c_i32_i8 v216, v238, v232
	;; [unrolled: 1-line block ×16, first 2 shown]
	ds_read2_b32 v[236:237], v188 offset0:4 offset1:5
	ds_read_b128 v[232:235], v189 offset:33296
	ds_read2_b32 v[238:239], v190 offset0:4 offset1:5
	ds_read2_b32 v[240:241], v191 offset0:4 offset1:5
	;; [unrolled: 1-line block ×7, first 2 shown]
	s_waitcnt lgkmcnt(7)
	v_dot4c_i32_i8 v160, v236, v232
	s_waitcnt lgkmcnt(6)
	v_dot4c_i32_i8 v157, v238, v232
	;; [unrolled: 2-line block ×4, first 2 shown]
	v_dot4c_i32_i8 v160, v237, v233
	v_dot4c_i32_i8 v157, v239, v233
	;; [unrolled: 1-line block ×6, first 2 shown]
	s_waitcnt lgkmcnt(0)
	v_dot4c_i32_i8 v155, v248, v234
	v_dot4c_i32_i8 v150, v250, v234
	v_dot4c_i32_i8 v160, v245, v235
	v_dot4c_i32_i8 v157, v247, v235
	v_dot4c_i32_i8 v155, v249, v235
	v_dot4c_i32_i8 v150, v251, v235
	ds_read_b128 v[232:235], v193 offset:33296
	s_waitcnt lgkmcnt(0)
	v_dot4c_i32_i8 v148, v236, v232
	v_dot4c_i32_i8 v156, v238, v232
	v_dot4c_i32_i8 v154, v240, v232
	v_dot4c_i32_i8 v152, v242, v232
	v_dot4c_i32_i8 v148, v237, v233
	v_dot4c_i32_i8 v156, v239, v233
	v_dot4c_i32_i8 v154, v241, v233
	v_dot4c_i32_i8 v152, v243, v233
	v_dot4c_i32_i8 v148, v244, v234
	v_dot4c_i32_i8 v156, v246, v234
	v_dot4c_i32_i8 v154, v248, v234
	v_dot4c_i32_i8 v152, v250, v234
	v_dot4c_i32_i8 v148, v245, v235
	v_dot4c_i32_i8 v156, v247, v235
	v_dot4c_i32_i8 v154, v249, v235
	v_dot4c_i32_i8 v152, v251, v235
	ds_read_b128 v[232:235], v194 offset:33296
	s_waitcnt lgkmcnt(0)
	v_dot4c_i32_i8 v151, v236, v232
	v_dot4c_i32_i8 v158, v238, v232
	v_dot4c_i32_i8 v159, v240, v232
	v_dot4c_i32_i8 v163, v242, v232
	v_dot4c_i32_i8 v151, v237, v233
	v_dot4c_i32_i8 v158, v239, v233
	v_dot4c_i32_i8 v159, v241, v233
	v_dot4c_i32_i8 v163, v243, v233
	v_dot4c_i32_i8 v151, v244, v234
	v_dot4c_i32_i8 v158, v246, v234
	;; [unrolled: 18-line block ×7, first 2 shown]
	v_dot4c_i32_i8 v176, v248, v234
	v_dot4c_i32_i8 v174, v250, v234
	;; [unrolled: 1-line block ×6, first 2 shown]
	ds_read2_b32 v[236:237], v188 offset0:12 offset1:13
	ds_read_b128 v[232:235], v189 offset:33328
	ds_read2_b32 v[238:239], v190 offset0:12 offset1:13
	ds_read2_b32 v[240:241], v191 offset0:12 offset1:13
	;; [unrolled: 1-line block ×6, first 2 shown]
	s_waitcnt lgkmcnt(6)
	v_dot4c_i32_i8 v230, v236, v232
	s_waitcnt lgkmcnt(5)
	v_dot4c_i32_i8 v220, v238, v232
	;; [unrolled: 2-line block ×4, first 2 shown]
	v_dot4c_i32_i8 v230, v237, v233
	v_dot4c_i32_i8 v220, v239, v233
	;; [unrolled: 1-line block ×4, first 2 shown]
	ds_read2_b32 v[232:233], v188 offset0:14 offset1:15
	ds_read_b128 v[188:191], v193 offset:33328
	s_waitcnt lgkmcnt(4)
	v_dot4c_i32_i8 v220, v244, v234
	s_waitcnt lgkmcnt(3)
	v_dot4c_i32_i8 v217, v246, v234
	;; [unrolled: 2-line block ×3, first 2 shown]
	v_dot4c_i32_i8 v220, v245, v235
	v_dot4c_i32_i8 v217, v247, v235
	;; [unrolled: 1-line block ×3, first 2 shown]
	s_waitcnt lgkmcnt(1)
	v_dot4c_i32_i8 v230, v232, v234
	s_waitcnt lgkmcnt(0)
	v_dot4c_i32_i8 v205, v236, v188
	v_dot4c_i32_i8 v203, v238, v188
	;; [unrolled: 1-line block ×17, first 2 shown]
	ds_read_b128 v[188:191], v194 offset:33328
	s_waitcnt lgkmcnt(0)
	v_dot4c_i32_i8 v200, v236, v188
	v_dot4c_i32_i8 v199, v238, v188
	v_dot4c_i32_i8 v206, v240, v188
	v_dot4c_i32_i8 v209, v242, v188
	v_dot4c_i32_i8 v200, v237, v189
	v_dot4c_i32_i8 v199, v239, v189
	v_dot4c_i32_i8 v206, v241, v189
	v_dot4c_i32_i8 v209, v243, v189
	v_dot4c_i32_i8 v200, v232, v190
	v_dot4c_i32_i8 v199, v244, v190
	v_dot4c_i32_i8 v206, v246, v190
	v_dot4c_i32_i8 v209, v248, v190
	v_dot4c_i32_i8 v200, v233, v191
	v_dot4c_i32_i8 v199, v245, v191
	v_dot4c_i32_i8 v206, v247, v191
	v_dot4c_i32_i8 v209, v249, v191
	ds_read_b128 v[188:191], v226 offset:33328
	s_waitcnt lgkmcnt(0)
	v_dot4c_i32_i8 v225, v236, v188
	v_dot4c_i32_i8 v224, v238, v188
	v_dot4c_i32_i8 v223, v240, v188
	v_dot4c_i32_i8 v221, v242, v188
	v_dot4c_i32_i8 v225, v237, v189
	v_dot4c_i32_i8 v224, v239, v189
	v_dot4c_i32_i8 v223, v241, v189
	v_dot4c_i32_i8 v221, v243, v189
	v_dot4c_i32_i8 v225, v232, v190
	v_dot4c_i32_i8 v224, v244, v190
	v_dot4c_i32_i8 v223, v246, v190
	v_dot4c_i32_i8 v221, v248, v190
	v_dot4c_i32_i8 v225, v233, v191
	v_dot4c_i32_i8 v224, v245, v191
	v_dot4c_i32_i8 v223, v247, v191
	v_dot4c_i32_i8 v221, v249, v191
	ds_read_b128 v[188:191], v227 offset:33328
	s_waitcnt lgkmcnt(0)
	v_dot4c_i32_i8 v222, v236, v188
	v_dot4c_i32_i8 v219, v238, v188
	v_dot4c_i32_i8 v215, v240, v188
	v_dot4c_i32_i8 v213, v242, v188
	v_dot4c_i32_i8 v222, v237, v189
	v_dot4c_i32_i8 v219, v239, v189
	v_dot4c_i32_i8 v215, v241, v189
	v_dot4c_i32_i8 v213, v243, v189
	v_dot4c_i32_i8 v222, v232, v190
	v_dot4c_i32_i8 v219, v244, v190
	v_dot4c_i32_i8 v215, v246, v190
	v_dot4c_i32_i8 v213, v248, v190
	v_dot4c_i32_i8 v222, v233, v191
	v_dot4c_i32_i8 v219, v245, v191
	v_dot4c_i32_i8 v215, v247, v191
	v_dot4c_i32_i8 v213, v249, v191
	ds_read_b128 v[188:191], v228 offset:33328
	s_waitcnt lgkmcnt(0)
	v_dot4c_i32_i8 v212, v236, v188
	v_dot4c_i32_i8 v208, v238, v188
	v_dot4c_i32_i8 v207, v240, v188
	v_dot4c_i32_i8 v204, v242, v188
	v_dot4c_i32_i8 v212, v237, v189
	v_dot4c_i32_i8 v208, v239, v189
	v_dot4c_i32_i8 v207, v241, v189
	v_dot4c_i32_i8 v204, v243, v189
	v_dot4c_i32_i8 v212, v232, v190
	v_dot4c_i32_i8 v208, v244, v190
	v_dot4c_i32_i8 v207, v246, v190
	v_dot4c_i32_i8 v204, v248, v190
	v_dot4c_i32_i8 v212, v233, v191
	v_dot4c_i32_i8 v208, v245, v191
	v_dot4c_i32_i8 v207, v247, v191
	v_dot4c_i32_i8 v204, v249, v191
	ds_read_b128 v[188:191], v229 offset:33328
	s_waitcnt lgkmcnt(0)
	v_dot4c_i32_i8 v195, v236, v188
	v_dot4c_i32_i8 v196, v238, v188
	v_dot4c_i32_i8 v197, v240, v188
	v_dot4c_i32_i8 v198, v242, v188
	v_dot4c_i32_i8 v195, v237, v189
	v_dot4c_i32_i8 v196, v239, v189
	v_dot4c_i32_i8 v197, v241, v189
	v_dot4c_i32_i8 v198, v243, v189
	v_dot4c_i32_i8 v195, v232, v190
	v_dot4c_i32_i8 v196, v244, v190
	v_dot4c_i32_i8 v197, v246, v190
	v_dot4c_i32_i8 v198, v248, v190
	v_dot4c_i32_i8 v195, v233, v191
	v_dot4c_i32_i8 v196, v245, v191
	v_dot4c_i32_i8 v197, v247, v191
	v_dot4c_i32_i8 v198, v249, v191
	ds_read_b128 v[188:191], v231 offset:33328
	s_waitcnt lgkmcnt(0)
	v_dot4c_i32_i8 v218, v236, v188
	v_dot4c_i32_i8 v216, v238, v188
	;; [unrolled: 1-line block ×4, first 2 shown]
	v_add3_u32 v188, s1, v127, v128
	v_dot4c_i32_i8 v218, v237, v189
	v_dot4c_i32_i8 v216, v239, v189
	;; [unrolled: 1-line block ×4, first 2 shown]
	ds_read_u16 v189, v188
	v_dot4c_i32_i8 v218, v232, v190
	v_dot4c_i32_i8 v216, v244, v190
	;; [unrolled: 1-line block ×8, first 2 shown]
	s_waitcnt lgkmcnt(0)
	v_and_b32_e32 v190, 0xff, v189
	v_and_b32_sdwa v189, v123, v189 dst_sel:DWORD dst_unused:UNUSED_PAD src0_sel:DWORD src1_sel:BYTE_1
	v_mul_lo_u32 v160, v160, v190
	v_mul_lo_u32 v191, v230, v189
	;; [unrolled: 1-line block ×4, first 2 shown]
	v_cvt_f32_i32_e32 v192, v160
	ds_read_b64 v[160:161], v161 offset:43584
	v_cvt_f32_i32_e32 v191, v191
	v_cvt_f32_i32_e32 v162, v162
	s_waitcnt lgkmcnt(0)
	v_fma_mix_f32 v192, v160, v192, 0 op_sel_hi:[1,0,0]
	v_fma_mix_f32 v191, v161, v191, v192 op_sel_hi:[1,0,0]
	v_add3_u32 v192, s1, v129, v124
	ds_read_u16 v193, v192
	s_waitcnt lgkmcnt(0)
	v_and_b32_e32 v194, 0xff, v193
	v_and_b32_sdwa v193, v123, v193 dst_sel:DWORD dst_unused:UNUSED_PAD src0_sel:DWORD src1_sel:BYTE_1
	v_mul_lo_u32 v157, v157, v194
	v_mul_lo_u32 v220, v220, v193
	;; [unrolled: 1-line block ×8, first 2 shown]
	v_cvt_f32_i32_e32 v157, v157
	v_cvt_f32_i32_e32 v220, v220
	;; [unrolled: 1-line block ×5, first 2 shown]
	v_fma_mix_f32 v157, v160, v157, 0 op_sel_hi:[1,0,0]
	v_cvt_f32_i32_e32 v177, v177
	v_cvt_f32_i32_e32 v170, v170
	;; [unrolled: 1-line block ×3, first 2 shown]
	v_mul_lo_u32 v164, v164, v194
	v_fma_mix_f32 v157, v161, v220, v157 op_sel_hi:[1,0,0]
	v_add3_u32 v220, s1, v130, v125
	ds_read_u16 v226, v220
	v_cvt_f32_i32_e32 v164, v164
	s_waitcnt lgkmcnt(0)
	v_and_b32_e32 v227, 0xff, v226
	v_and_b32_sdwa v226, v123, v226 dst_sel:DWORD dst_unused:UNUSED_PAD src0_sel:DWORD src1_sel:BYTE_1
	v_mul_lo_u32 v155, v155, v227
	v_mul_lo_u32 v217, v217, v226
	;; [unrolled: 1-line block ×8, first 2 shown]
	v_cvt_f32_i32_e32 v155, v155
	v_cvt_f32_i32_e32 v217, v217
	;; [unrolled: 1-line block ×5, first 2 shown]
	v_fma_mix_f32 v155, v160, v155, 0 op_sel_hi:[1,0,0]
	v_cvt_f32_i32_e32 v175, v175
	v_cvt_f32_i32_e32 v169, v169
	;; [unrolled: 1-line block ×3, first 2 shown]
	v_mul_lo_u32 v165, v165, v227
	v_fma_mix_f32 v155, v161, v217, v155 op_sel_hi:[1,0,0]
	v_add3_u32 v217, s1, v131, v126
	s_add_i32 s1, s0, 8
	s_cmp_lt_u32 s0, 24
	s_mov_b32 s0, s1
	ds_read_u16 v228, v217
	v_cvt_f32_i32_e32 v165, v165
	s_waitcnt lgkmcnt(0)
	v_and_b32_e32 v229, 0xff, v228
	v_and_b32_sdwa v228, v123, v228 dst_sel:DWORD dst_unused:UNUSED_PAD src0_sel:DWORD src1_sel:BYTE_1
	v_mul_lo_u32 v150, v150, v229
	v_mul_lo_u32 v211, v211, v228
	;; [unrolled: 1-line block ×8, first 2 shown]
	v_cvt_f32_i32_e32 v150, v150
	v_cvt_f32_i32_e32 v211, v211
	v_cvt_f32_i32_e32 v152, v152
	v_cvt_f32_i32_e32 v201, v201
	v_cvt_f32_i32_e32 v179, v179
	v_fma_mix_f32 v150, v160, v150, 0 op_sel_hi:[1,0,0]
	v_cvt_f32_i32_e32 v172, v172
	v_cvt_f32_i32_e32 v168, v168
	;; [unrolled: 1-line block ×3, first 2 shown]
	v_mul_lo_u32 v166, v166, v229
	v_fma_mix_f32 v150, v161, v211, v150 op_sel_hi:[1,0,0]
	ds_read_u16 v188, v188 offset:8
	ds_read_u16 v192, v192 offset:8
	;; [unrolled: 1-line block ×4, first 2 shown]
	v_cvt_f32_i32_e32 v166, v166
	s_waitcnt lgkmcnt(3)
	v_cvt_f32_ubyte0_e32 v220, v188
	s_waitcnt lgkmcnt(2)
	v_cvt_f32_ubyte0_e32 v230, v192
	;; [unrolled: 2-line block ×4, first 2 shown]
	v_cvt_f32_ubyte1_e32 v188, v188
	v_cvt_f32_ubyte1_e32 v192, v192
	;; [unrolled: 1-line block ×4, first 2 shown]
	v_fma_mix_f32 v233, v220, v160, 0 op_sel:[0,1,0] op_sel_hi:[0,1,0]
	v_fma_mix_f32 v234, v230, v160, 0 op_sel:[0,1,0] op_sel_hi:[0,1,0]
	;; [unrolled: 1-line block ×8, first 2 shown]
	v_mul_lo_u32 v161, v205, v189
	v_cvt_f32_i32_e32 v205, v148
	ds_read_b64 v[148:149], v149 offset:43584
	v_mul_f32_e32 v160, v160, v139
	v_cvt_f32_i32_e32 v161, v161
	v_fma_f32 v150, v150, v138, -v160
	v_add_f32_e32 v51, v51, v150
	s_waitcnt lgkmcnt(0)
	v_fma_mix_f32 v156, v148, v156, 0 op_sel_hi:[1,0,0]
	v_fma_mix_f32 v154, v148, v154, 0 op_sel_hi:[1,0,0]
	;; [unrolled: 1-line block ×7, first 2 shown]
	v_fma_mix_f32 v201, v220, v148, 0 op_sel:[0,1,0] op_sel_hi:[0,1,0]
	v_fma_mix_f32 v202, v230, v148, 0 op_sel:[0,1,0] op_sel_hi:[0,1,0]
	;; [unrolled: 1-line block ×4, first 2 shown]
	v_fma_mix_f32 v161, v149, v161, v205 op_sel_hi:[1,0,0]
	v_fma_mix_f32 v201, v188, v149, v201 op_sel:[0,1,0] op_sel_hi:[0,1,0]
	v_fma_mix_f32 v202, v192, v149, v202 op_sel:[0,1,0] op_sel_hi:[0,1,0]
	;; [unrolled: 1-line block ×4, first 2 shown]
	v_mul_lo_u32 v149, v151, v190
	v_lshrrev_b32_e32 v148, 1, v153
	v_mul_lo_u32 v151, v200, v189
	v_mul_f32_e32 v160, v205, v147
	v_cvt_f32_i32_e32 v153, v149
	ds_read_b64 v[148:149], v148 offset:43584
	v_cvt_f32_i32_e32 v151, v151
	v_fma_f32 v152, v152, v146, -v160
	v_add_f32_e32 v52, v52, v152
	s_waitcnt lgkmcnt(0)
	v_fma_mix_f32 v153, v153, v148, 0 op_sel_hi:[0,1,0]
	v_fma_mix_f32 v200, v231, v148, 0 op_sel:[0,1,0] op_sel_hi:[0,1,0]
	v_fma_mix_f32 v151, v151, v149, v153 op_sel_hi:[0,1,0]
	v_mul_lo_u32 v153, v158, v194
	v_mul_lo_u32 v158, v199, v193
	v_fma_mix_f32 v199, v230, v148, 0 op_sel:[0,1,0] op_sel_hi:[0,1,0]
	v_fma_mix_f32 v200, v211, v149, v200 op_sel:[0,1,0] op_sel_hi:[0,1,0]
	v_mul_lo_u32 v194, v198, v228
	v_fma_mix_f32 v199, v192, v149, v199 op_sel:[0,1,0] op_sel_hi:[0,1,0]
	v_cvt_f32_i32_e32 v153, v153
	v_cvt_f32_i32_e32 v158, v158
	v_fma_mix_f32 v153, v153, v148, 0 op_sel_hi:[0,1,0]
	v_fma_mix_f32 v153, v158, v149, v153 op_sel_hi:[0,1,0]
	v_mul_lo_u32 v158, v159, v227
	v_mul_lo_u32 v159, v206, v226
	v_cvt_f32_i32_e32 v158, v158
	v_cvt_f32_i32_e32 v159, v159
	v_fma_mix_f32 v158, v158, v148, 0 op_sel_hi:[0,1,0]
	v_fma_mix_f32 v158, v159, v149, v158 op_sel_hi:[0,1,0]
	v_mul_lo_u32 v159, v163, v229
	v_mul_lo_u32 v163, v209, v228
	v_cvt_f32_i32_e32 v159, v159
	v_cvt_f32_i32_e32 v163, v163
	v_fma_mix_f32 v159, v159, v148, 0 op_sel_hi:[0,1,0]
	v_fma_mix_f32 v159, v163, v149, v159 op_sel_hi:[0,1,0]
	v_fma_mix_f32 v163, v220, v148, 0 op_sel:[0,1,0] op_sel_hi:[0,1,0]
	v_fma_mix_f32 v148, v232, v148, 0 op_sel:[0,1,0] op_sel_hi:[0,1,0]
	;; [unrolled: 1-line block ×4, first 2 shown]
	v_mul_lo_u32 v149, v186, v190
	v_lshrrev_b32_e32 v148, 1, v187
	v_mul_lo_u32 v186, v225, v189
	v_mul_f32_e32 v160, v163, v133
	v_mul_f32_e32 v163, v199, v135
	v_cvt_f32_i32_e32 v187, v149
	ds_read_b64 v[148:149], v148 offset:43584
	v_cvt_f32_i32_e32 v186, v186
	v_fma_f32 v151, v151, v132, -v160
	v_fma_f32 v153, v153, v134, -v163
	v_add_f32_e32 v43, v43, v151
	v_add_f32_e32 v45, v45, v153
	s_waitcnt lgkmcnt(0)
	v_fma_mix_f32 v187, v187, v148, 0 op_sel_hi:[0,1,0]
	v_fma_mix_f32 v185, v185, v148, 0 op_sel_hi:[0,1,0]
	;; [unrolled: 1-line block ×4, first 2 shown]
	v_fma_mix_f32 v209, v230, v148, 0 op_sel:[0,1,0] op_sel_hi:[0,1,0]
	v_fma_mix_f32 v186, v186, v149, v187 op_sel_hi:[0,1,0]
	v_mul_lo_u32 v187, v224, v193
	v_fma_mix_f32 v209, v192, v149, v209 op_sel:[0,1,0] op_sel_hi:[0,1,0]
	v_cvt_f32_i32_e32 v187, v187
	v_mul_f32_e32 v163, v209, v143
	v_fma_mix_f32 v185, v187, v149, v185 op_sel_hi:[0,1,0]
	v_mul_lo_u32 v187, v223, v226
	v_fma_f32 v163, v185, v142, -v163
	v_cvt_f32_i32_e32 v187, v187
	v_add_f32_e32 v46, v46, v163
	v_fma_mix_f32 v184, v187, v149, v184 op_sel_hi:[0,1,0]
	v_mul_lo_u32 v187, v221, v228
	v_fma_mix_f32 v221, v231, v148, 0 op_sel:[0,1,0] op_sel_hi:[0,1,0]
	v_fma_mix_f32 v221, v211, v149, v221 op_sel:[0,1,0] op_sel_hi:[0,1,0]
	v_cvt_f32_i32_e32 v187, v187
	v_fma_mix_f32 v179, v187, v149, v179 op_sel_hi:[0,1,0]
	v_fma_mix_f32 v187, v220, v148, 0 op_sel:[0,1,0] op_sel_hi:[0,1,0]
	v_fma_mix_f32 v148, v232, v148, 0 op_sel:[0,1,0] op_sel_hi:[0,1,0]
	;; [unrolled: 1-line block ×4, first 2 shown]
	v_mul_lo_u32 v149, v180, v190
	v_lshrrev_b32_e32 v148, 1, v182
	v_mul_lo_u32 v180, v222, v189
	v_mul_f32_e32 v160, v187, v141
	v_cvt_f32_i32_e32 v182, v149
	ds_read_b64 v[148:149], v148 offset:43584
	v_cvt_f32_i32_e32 v180, v180
	v_fma_f32 v160, v186, v140, -v160
	v_add_f32_e32 v44, v44, v160
	s_waitcnt lgkmcnt(0)
	v_fma_mix_f32 v182, v182, v148, 0 op_sel_hi:[0,1,0]
	v_fma_mix_f32 v177, v177, v148, 0 op_sel_hi:[0,1,0]
	;; [unrolled: 1-line block ×5, first 2 shown]
	v_mul_lo_u32 v182, v219, v193
	v_cvt_f32_i32_e32 v182, v182
	v_fma_mix_f32 v177, v182, v149, v177 op_sel_hi:[0,1,0]
	v_mul_lo_u32 v182, v215, v226
	v_fma_mix_f32 v215, v231, v148, 0 op_sel:[0,1,0] op_sel_hi:[0,1,0]
	v_fma_mix_f32 v215, v211, v149, v215 op_sel:[0,1,0] op_sel_hi:[0,1,0]
	v_cvt_f32_i32_e32 v182, v182
	v_fma_mix_f32 v175, v182, v149, v175 op_sel_hi:[0,1,0]
	v_mul_lo_u32 v182, v213, v228
	v_fma_mix_f32 v213, v230, v148, 0 op_sel:[0,1,0] op_sel_hi:[0,1,0]
	v_fma_mix_f32 v213, v192, v149, v213 op_sel:[0,1,0] op_sel_hi:[0,1,0]
	v_cvt_f32_i32_e32 v182, v182
	v_fma_mix_f32 v172, v182, v149, v172 op_sel_hi:[0,1,0]
	v_fma_mix_f32 v182, v220, v148, 0 op_sel:[0,1,0] op_sel_hi:[0,1,0]
	v_fma_mix_f32 v148, v232, v148, 0 op_sel:[0,1,0] op_sel_hi:[0,1,0]
	;; [unrolled: 1-line block ×4, first 2 shown]
	v_mul_lo_u32 v149, v171, v190
	v_lshrrev_b32_e32 v148, 1, v173
	v_mul_lo_u32 v171, v212, v189
	v_mul_f32_e32 v182, v182, v133
	v_cvt_f32_i32_e32 v173, v149
	ds_read_b64 v[148:149], v148 offset:43584
	v_cvt_f32_i32_e32 v171, v171
	v_fma_f32 v180, v180, v132, -v182
	v_add_f32_e32 v31, v31, v180
	s_waitcnt lgkmcnt(0)
	v_fma_mix_f32 v173, v173, v148, 0 op_sel_hi:[0,1,0]
	v_fma_mix_f32 v170, v170, v148, 0 op_sel_hi:[0,1,0]
	;; [unrolled: 1-line block ×5, first 2 shown]
	v_mul_lo_u32 v173, v208, v193
	v_cvt_f32_i32_e32 v173, v173
	v_fma_mix_f32 v170, v173, v149, v170 op_sel_hi:[0,1,0]
	v_mul_lo_u32 v173, v207, v226
	v_fma_mix_f32 v207, v231, v148, 0 op_sel:[0,1,0] op_sel_hi:[0,1,0]
	v_fma_mix_f32 v207, v211, v149, v207 op_sel:[0,1,0] op_sel_hi:[0,1,0]
	v_cvt_f32_i32_e32 v173, v173
	v_fma_mix_f32 v169, v173, v149, v169 op_sel_hi:[0,1,0]
	v_mul_lo_u32 v173, v204, v228
	v_fma_mix_f32 v204, v230, v148, 0 op_sel:[0,1,0] op_sel_hi:[0,1,0]
	v_fma_mix_f32 v204, v192, v149, v204 op_sel:[0,1,0] op_sel_hi:[0,1,0]
	v_cvt_f32_i32_e32 v173, v173
	v_fma_mix_f32 v168, v173, v149, v168 op_sel_hi:[0,1,0]
	v_fma_mix_f32 v173, v220, v148, 0 op_sel:[0,1,0] op_sel_hi:[0,1,0]
	v_fma_mix_f32 v148, v232, v148, 0 op_sel:[0,1,0] op_sel_hi:[0,1,0]
	;; [unrolled: 1-line block ×4, first 2 shown]
	v_mul_lo_u32 v149, v181, v190
	v_lshrrev_b32_e32 v148, 1, v183
	v_mul_lo_u32 v181, v218, v189
	v_mul_f32_e32 v173, v173, v141
	v_mul_lo_u32 v189, v195, v189
	v_mul_lo_u32 v190, v196, v193
	v_cvt_f32_i32_e32 v183, v149
	ds_read_b64 v[148:149], v148 offset:43584
	v_cvt_f32_i32_e32 v181, v181
	v_fma_f32 v171, v171, v140, -v173
	v_mul_f32_e32 v173, v213, v135
	v_cvt_f32_i32_e32 v189, v189
	v_add_f32_e32 v32, v32, v171
	v_fma_f32 v173, v177, v134, -v173
	v_mul_f32_e32 v177, v204, v143
	v_add_f32_e32 v33, v33, v173
	v_fma_f32 v170, v170, v142, -v177
	v_mul_f32_e32 v177, v215, v137
	v_add_f32_e32 v34, v34, v170
	s_waitcnt lgkmcnt(0)
	v_fma_mix_f32 v183, v183, v148, 0 op_sel_hi:[0,1,0]
	v_fma_mix_f32 v178, v178, v148, 0 op_sel_hi:[0,1,0]
	;; [unrolled: 1-line block ×4, first 2 shown]
	v_fma_mix_f32 v212, v231, v148, 0 op_sel:[0,1,0] op_sel_hi:[0,1,0]
	v_fma_mix_f32 v181, v181, v149, v183 op_sel_hi:[0,1,0]
	v_mul_lo_u32 v183, v216, v193
	v_fma_f32 v175, v175, v136, -v177
	v_mul_f32_e32 v177, v207, v145
	v_fma_mix_f32 v212, v211, v149, v212 op_sel:[0,1,0] op_sel_hi:[0,1,0]
	v_mul_lo_u32 v193, v197, v226
	v_add_f32_e32 v35, v35, v175
	v_fma_f32 v169, v169, v144, -v177
	v_cvt_f32_i32_e32 v183, v183
	v_mul_f32_e32 v177, v219, v139
	v_add_f32_e32 v36, v36, v169
	v_fma_mix_f32 v178, v183, v149, v178 op_sel_hi:[0,1,0]
	v_mul_lo_u32 v183, v214, v226
	v_fma_f32 v172, v172, v138, -v177
	v_mul_f32_e32 v177, v208, v147
	v_add_f32_e32 v29, v29, v172
	v_fma_f32 v168, v168, v146, -v177
	v_cvt_f32_i32_e32 v183, v183
	v_add_f32_e32 v30, v30, v168
	v_fma_mix_f32 v176, v183, v149, v176 op_sel_hi:[0,1,0]
	v_mul_lo_u32 v183, v210, v228
	v_fma_mix_f32 v210, v230, v148, 0 op_sel:[0,1,0] op_sel_hi:[0,1,0]
	v_fma_mix_f32 v210, v192, v149, v210 op_sel:[0,1,0] op_sel_hi:[0,1,0]
	v_cvt_f32_i32_e32 v183, v183
	v_fma_mix_f32 v174, v183, v149, v174 op_sel_hi:[0,1,0]
	v_fma_mix_f32 v183, v220, v148, 0 op_sel:[0,1,0] op_sel_hi:[0,1,0]
	v_fma_mix_f32 v148, v232, v148, 0 op_sel:[0,1,0] op_sel_hi:[0,1,0]
	;; [unrolled: 1-line block ×4, first 2 shown]
	v_lshrrev_b32_e32 v148, 1, v167
	ds_read_b64 v[148:149], v148 offset:43584
	s_waitcnt lgkmcnt(0)
	v_fma_mix_f32 v167, v220, v148, 0 op_sel:[0,1,0] op_sel_hi:[0,1,0]
	v_fma_mix_f32 v162, v162, v148, 0 op_sel_hi:[0,1,0]
	v_fma_mix_f32 v164, v164, v148, 0 op_sel_hi:[0,1,0]
	;; [unrolled: 1-line block ×3, first 2 shown]
	v_fma_mix_f32 v167, v188, v149, v167 op_sel:[0,1,0] op_sel_hi:[0,1,0]
	v_fma_mix_f32 v188, v230, v148, 0 op_sel:[0,1,0] op_sel_hi:[0,1,0]
	v_fma_mix_f32 v162, v189, v149, v162 op_sel_hi:[0,1,0]
	v_cvt_f32_i32_e32 v189, v190
	v_mul_f32_e32 v167, v167, v133
	v_fma_mix_f32 v188, v192, v149, v188 op_sel:[0,1,0] op_sel_hi:[0,1,0]
	v_fma_mix_f32 v192, v231, v148, 0 op_sel:[0,1,0] op_sel_hi:[0,1,0]
	v_fma_mix_f32 v164, v189, v149, v164 op_sel_hi:[0,1,0]
	v_cvt_f32_i32_e32 v189, v193
	v_fma_f32 v162, v162, v132, -v167
	v_mul_f32_e32 v177, v188, v135
	v_fma_mix_f32 v192, v211, v149, v192 op_sel:[0,1,0] op_sel_hi:[0,1,0]
	v_fma_mix_f32 v211, v232, v148, 0 op_sel:[0,1,0] op_sel_hi:[0,1,0]
	v_fma_mix_f32 v148, v166, v148, 0 op_sel_hi:[0,1,0]
	v_mul_f32_e32 v166, v201, v141
	v_fma_f32 v164, v164, v134, -v177
	v_mul_f32_e32 v177, v210, v143
	v_fma_mix_f32 v165, v189, v149, v165 op_sel_hi:[0,1,0]
	v_fma_mix_f32 v211, v217, v149, v211 op_sel:[0,1,0] op_sel_hi:[0,1,0]
	v_fma_f32 v161, v161, v140, -v166
	v_mul_f32_e32 v166, v234, v135
	v_fma_f32 v177, v178, v142, -v177
	v_mul_f32_e32 v178, v192, v137
	v_cvt_f32_i32_e32 v189, v194
	v_mul_f32_e32 v167, v183, v141
	v_fma_f32 v157, v157, v134, -v166
	v_mul_f32_e32 v166, v202, v143
	v_fma_f32 v165, v165, v136, -v178
	v_mul_f32_e32 v178, v212, v145
	v_fma_mix_f32 v148, v189, v149, v148 op_sel_hi:[0,1,0]
	v_mul_f32_e32 v149, v233, v133
	v_fma_f32 v156, v156, v142, -v166
	v_mul_f32_e32 v166, v235, v137
	v_fma_f32 v176, v176, v144, -v178
	;; [unrolled: 2-line block ×3, first 2 shown]
	v_fma_f32 v167, v181, v140, -v167
	v_fma_f32 v155, v155, v136, -v166
	v_mul_f32_e32 v166, v203, v145
	v_fma_f32 v148, v148, v138, -v178
	v_mul_f32_e32 v178, v214, v147
	v_add_f32_e32 v3, v3, v161
	v_add_f32_e32 v2, v2, v149
	v_fma_f32 v154, v154, v144, -v166
	v_mul_f32_e32 v166, v200, v137
	v_fma_f32 v174, v174, v146, -v178
	v_add_f32_e32 v48, v48, v156
	v_add_f32_e32 v47, v47, v157
	v_add_f32_e32 v50, v50, v154
	v_fma_f32 v158, v158, v136, -v166
	v_mul_f32_e32 v166, v221, v145
	v_add_f32_e32 v49, v49, v155
	v_add_f32_e32 v22, v22, v167
	v_add_f32_e32 v21, v21, v162
	v_add_f32_e32 v39, v39, v158
	v_fma_f32 v166, v184, v144, -v166
	v_mul_f32_e32 v184, v206, v139
	v_add_f32_e32 v24, v24, v177
	v_add_f32_e32 v23, v23, v164
	v_add_f32_e32 v26, v26, v176
	v_add_f32_e32 v40, v40, v166
	v_fma_f32 v159, v159, v138, -v184
	v_mul_f32_e32 v184, v223, v147
	v_add_f32_e32 v25, v25, v165
	v_add_f32_e32 v28, v28, v174
	v_add_f32_e32 v27, v27, v148
	;; [unrolled: 1-line block ×3, first 2 shown]
	v_fma_f32 v179, v179, v146, -v184
	v_add_f32_e32 v42, v42, v179
	s_cbranch_scc1 .LBB154_8
; %bb.9:                                ;   in Loop: Header=BB154_5 Depth=1
	s_add_i32 s15, s15, 1
	s_cmp_eq_u32 s15, s4
	s_barrier
	buffer_gl0_inv
	s_cbranch_scc0 .LBB154_5
; %bb.10:
	v_cvt_f16_f32_e32 v3, v3
	v_cvt_f16_f32_e32 v2, v2
	;; [unrolled: 1-line block ×6, first 2 shown]
	v_pack_b32_f16 v20, v2, v3
	v_cvt_f16_f32_e32 v2, v49
	v_cvt_f16_f32_e32 v3, v52
	;; [unrolled: 1-line block ×6, first 2 shown]
	v_pack_b32_f16 v19, v5, v4
	v_pack_b32_f16 v18, v2, v6
	;; [unrolled: 1-line block ×4, first 2 shown]
	v_cvt_f16_f32_e32 v2, v40
	v_cvt_f16_f32_e32 v3, v39
	;; [unrolled: 1-line block ×8, first 2 shown]
	v_pack_b32_f16 v15, v11, v10
	v_cvt_f16_f32_e32 v10, v36
	v_cvt_f16_f32_e32 v31, v35
	v_pack_b32_f16 v14, v3, v2
	v_pack_b32_f16 v13, v5, v4
	;; [unrolled: 1-line block ×4, first 2 shown]
	v_cvt_f16_f32_e32 v2, v30
	v_cvt_f16_f32_e32 v3, v29
	;; [unrolled: 1-line block ×10, first 2 shown]
	v_pack_b32_f16 v10, v31, v10
	v_pack_b32_f16 v9, v3, v2
	;; [unrolled: 1-line block ×6, first 2 shown]
	v_mov_b32_e32 v6, v53
.LBB154_11:
	s_mov_b32 s0, exec_lo
	v_cmpx_gt_u32_e64 s10, v6
	s_cbranch_execz .LBB154_62
; %bb.12:
	v_add_nc_u32_e32 v0, s6, v0
	v_mul_lo_u32 v21, v6, s14
	v_cmp_gt_u32_e32 vcc_lo, s14, v0
	s_and_saveexec_b32 s1, vcc_lo
	s_cbranch_execz .LBB154_14
; %bb.13:
	v_add_nc_u32_e32 v6, v0, v21
	v_mov_b32_e32 v7, 0
	v_lshlrev_b64 v[6:7], 1, v[6:7]
	s_waitcnt lgkmcnt(0)
	v_add_co_u32 v6, s0, s12, v6
	v_add_co_ci_u32_e64 v7, null, s13, v7, s0
	global_store_short v[6:7], v20, off
.LBB154_14:
	s_or_b32 exec_lo, exec_lo, s1
	v_add_nc_u32_e32 v6, 32, v0
	v_cmp_gt_u32_e64 s0, s14, v6
	s_and_saveexec_b32 s2, s0
	s_cbranch_execz .LBB154_16
; %bb.15:
	v_add_nc_u32_e32 v7, v6, v21
	v_mov_b32_e32 v8, 0
	v_lshlrev_b64 v[7:8], 1, v[7:8]
	s_waitcnt lgkmcnt(0)
	v_add_co_u32 v7, s1, s12, v7
	v_add_co_ci_u32_e64 v8, null, s13, v8, s1
	global_store_short v[7:8], v19, off
.LBB154_16:
	s_or_b32 exec_lo, exec_lo, s2
	v_add_nc_u32_e32 v7, 64, v0
	v_cmp_gt_u32_e64 s1, s14, v7
	s_and_saveexec_b32 s3, s1
	;; [unrolled: 14-line block ×3, first 2 shown]
	s_cbranch_execz .LBB154_20
; %bb.19:
	v_add_nc_u32_e32 v21, v8, v21
	v_mov_b32_e32 v22, 0
	v_lshlrev_b64 v[21:22], 1, v[21:22]
	s_waitcnt lgkmcnt(0)
	v_add_co_u32 v21, s3, s12, v21
	v_add_co_ci_u32_e64 v22, null, s13, v22, s3
	global_store_short v[21:22], v17, off
.LBB154_20:
	s_or_b32 exec_lo, exec_lo, s4
	v_add3_u32 v21, v1, s7, 8
	v_cmp_gt_u32_e64 s3, s10, v21
	s_and_b32 exec_lo, exec_lo, s3
	s_cbranch_execz .LBB154_62
; %bb.21:
	v_mul_lo_u32 v21, v21, s14
	s_and_saveexec_b32 s4, vcc_lo
	s_cbranch_execnz .LBB154_63
; %bb.22:
	s_or_b32 exec_lo, exec_lo, s4
	s_and_saveexec_b32 s4, s0
	s_cbranch_execnz .LBB154_64
.LBB154_23:
	s_or_b32 exec_lo, exec_lo, s4
	s_and_saveexec_b32 s4, s1
	s_cbranch_execnz .LBB154_65
.LBB154_24:
	s_or_b32 exec_lo, exec_lo, s4
	s_and_saveexec_b32 s4, s2
	s_cbranch_execz .LBB154_26
.LBB154_25:
	v_add_nc_u32_e32 v18, v21, v8
	v_mov_b32_e32 v19, 0
	v_lshlrev_b64 v[18:19], 1, v[18:19]
	s_waitcnt lgkmcnt(0)
	v_add_co_u32 v18, s3, s12, v18
	v_add_co_ci_u32_e64 v19, null, s13, v19, s3
	global_store_short_d16_hi v[18:19], v17, off
.LBB154_26:
	s_or_b32 exec_lo, exec_lo, s4
	v_add3_u32 v17, v1, s7, 16
	v_cmp_gt_u32_e64 s3, s10, v17
	s_and_b32 exec_lo, exec_lo, s3
	s_cbranch_execz .LBB154_62
; %bb.27:
	v_mul_lo_u32 v17, v17, s14
	s_and_saveexec_b32 s4, vcc_lo
	s_cbranch_execnz .LBB154_66
; %bb.28:
	s_or_b32 exec_lo, exec_lo, s4
	s_and_saveexec_b32 s4, s0
	s_cbranch_execnz .LBB154_67
.LBB154_29:
	s_or_b32 exec_lo, exec_lo, s4
	s_and_saveexec_b32 s4, s1
	s_cbranch_execnz .LBB154_68
.LBB154_30:
	s_or_b32 exec_lo, exec_lo, s4
	s_and_saveexec_b32 s4, s2
	s_cbranch_execz .LBB154_32
.LBB154_31:
	v_add_nc_u32_e32 v17, v17, v8
	v_mov_b32_e32 v18, 0
	v_lshlrev_b64 v[17:18], 1, v[17:18]
	s_waitcnt lgkmcnt(0)
	v_add_co_u32 v17, s3, s12, v17
	v_add_co_ci_u32_e64 v18, null, s13, v18, s3
	global_store_short v[17:18], v13, off
.LBB154_32:
	s_or_b32 exec_lo, exec_lo, s4
	v_add3_u32 v17, v1, s7, 24
	v_cmp_gt_u32_e64 s3, s10, v17
	s_and_b32 exec_lo, exec_lo, s3
	s_cbranch_execz .LBB154_62
; %bb.33:
	v_mul_lo_u32 v17, v17, s14
	s_and_saveexec_b32 s4, vcc_lo
	s_cbranch_execnz .LBB154_69
; %bb.34:
	s_or_b32 exec_lo, exec_lo, s4
	s_and_saveexec_b32 s4, s0
	s_cbranch_execnz .LBB154_70
.LBB154_35:
	s_or_b32 exec_lo, exec_lo, s4
	s_and_saveexec_b32 s4, s1
	s_cbranch_execnz .LBB154_71
.LBB154_36:
	s_or_b32 exec_lo, exec_lo, s4
	s_and_saveexec_b32 s4, s2
	s_cbranch_execz .LBB154_38
.LBB154_37:
	v_add_nc_u32_e32 v14, v17, v8
	v_mov_b32_e32 v15, 0
	v_lshlrev_b64 v[14:15], 1, v[14:15]
	s_waitcnt lgkmcnt(0)
	v_add_co_u32 v14, s3, s12, v14
	v_add_co_ci_u32_e64 v15, null, s13, v15, s3
	global_store_short_d16_hi v[14:15], v13, off
.LBB154_38:
	s_or_b32 exec_lo, exec_lo, s4
	v_add3_u32 v13, v1, s7, 32
	v_cmp_gt_u32_e64 s3, s10, v13
	s_and_b32 exec_lo, exec_lo, s3
	s_cbranch_execz .LBB154_62
; %bb.39:
	v_mul_lo_u32 v13, v13, s14
	s_and_saveexec_b32 s4, vcc_lo
	s_cbranch_execnz .LBB154_72
; %bb.40:
	s_or_b32 exec_lo, exec_lo, s4
	s_and_saveexec_b32 s4, s0
	s_cbranch_execnz .LBB154_73
.LBB154_41:
	s_or_b32 exec_lo, exec_lo, s4
	s_and_saveexec_b32 s4, s1
	s_cbranch_execnz .LBB154_74
.LBB154_42:
	s_or_b32 exec_lo, exec_lo, s4
	s_and_saveexec_b32 s4, s2
	s_cbranch_execz .LBB154_44
.LBB154_43:
	v_add_nc_u32_e32 v13, v13, v8
	v_mov_b32_e32 v14, 0
	v_lshlrev_b64 v[13:14], 1, v[13:14]
	s_waitcnt lgkmcnt(0)
	v_add_co_u32 v13, s3, s12, v13
	v_add_co_ci_u32_e64 v14, null, s13, v14, s3
	global_store_short v[13:14], v9, off
.LBB154_44:
	s_or_b32 exec_lo, exec_lo, s4
	v_add3_u32 v13, v1, s7, 40
	v_cmp_gt_u32_e64 s3, s10, v13
	s_and_b32 exec_lo, exec_lo, s3
	s_cbranch_execz .LBB154_62
; %bb.45:
	v_mul_lo_u32 v13, v13, s14
	s_and_saveexec_b32 s4, vcc_lo
	s_cbranch_execnz .LBB154_75
; %bb.46:
	s_or_b32 exec_lo, exec_lo, s4
	s_and_saveexec_b32 s4, s0
	s_cbranch_execnz .LBB154_76
.LBB154_47:
	s_or_b32 exec_lo, exec_lo, s4
	s_and_saveexec_b32 s4, s1
	s_cbranch_execnz .LBB154_77
.LBB154_48:
	s_or_b32 exec_lo, exec_lo, s4
	s_and_saveexec_b32 s4, s2
	s_cbranch_execz .LBB154_50
.LBB154_49:
	v_add_nc_u32_e32 v10, v13, v8
	v_mov_b32_e32 v11, 0
	v_lshlrev_b64 v[10:11], 1, v[10:11]
	s_waitcnt lgkmcnt(0)
	v_add_co_u32 v10, s3, s12, v10
	v_add_co_ci_u32_e64 v11, null, s13, v11, s3
	global_store_short_d16_hi v[10:11], v9, off
.LBB154_50:
	s_or_b32 exec_lo, exec_lo, s4
	v_add3_u32 v9, v1, s7, 48
	v_cmp_gt_u32_e64 s3, s10, v9
	s_and_b32 exec_lo, exec_lo, s3
	s_cbranch_execz .LBB154_62
; %bb.51:
	v_mul_lo_u32 v9, v9, s14
	s_and_saveexec_b32 s4, vcc_lo
	s_cbranch_execnz .LBB154_78
; %bb.52:
	s_or_b32 exec_lo, exec_lo, s4
	s_and_saveexec_b32 s4, s0
	s_cbranch_execnz .LBB154_79
.LBB154_53:
	s_or_b32 exec_lo, exec_lo, s4
	s_and_saveexec_b32 s4, s1
	s_cbranch_execnz .LBB154_80
.LBB154_54:
	s_or_b32 exec_lo, exec_lo, s4
	s_and_saveexec_b32 s4, s2
	s_cbranch_execz .LBB154_56
.LBB154_55:
	v_add_nc_u32_e32 v9, v9, v8
	v_mov_b32_e32 v10, 0
	v_lshlrev_b64 v[9:10], 1, v[9:10]
	s_waitcnt lgkmcnt(0)
	v_add_co_u32 v9, s3, s12, v9
	v_add_co_ci_u32_e64 v10, null, s13, v10, s3
	global_store_short v[9:10], v2, off
.LBB154_56:
	s_or_b32 exec_lo, exec_lo, s4
	v_add3_u32 v1, v1, s7, 56
	v_cmp_gt_u32_e64 s3, s10, v1
	s_and_b32 exec_lo, exec_lo, s3
	s_cbranch_execz .LBB154_62
; %bb.57:
	v_mul_lo_u32 v1, v1, s14
	s_and_saveexec_b32 s3, vcc_lo
	s_cbranch_execnz .LBB154_81
; %bb.58:
	s_or_b32 exec_lo, exec_lo, s3
	s_and_saveexec_b32 s3, s0
	s_cbranch_execnz .LBB154_82
.LBB154_59:
	s_or_b32 exec_lo, exec_lo, s3
	s_and_saveexec_b32 s0, s1
	s_cbranch_execnz .LBB154_83
.LBB154_60:
	s_or_b32 exec_lo, exec_lo, s0
	s_and_b32 exec_lo, exec_lo, s2
	s_cbranch_execz .LBB154_62
.LBB154_61:
	v_add_nc_u32_e32 v0, v1, v8
	v_mov_b32_e32 v1, 0
	v_lshlrev_b64 v[0:1], 1, v[0:1]
	s_waitcnt lgkmcnt(0)
	v_add_co_u32 v0, vcc_lo, s12, v0
	v_add_co_ci_u32_e64 v1, null, s13, v1, vcc_lo
	global_store_short_d16_hi v[0:1], v2, off
.LBB154_62:
	s_endpgm
.LBB154_63:
	v_add_nc_u32_e32 v22, v21, v0
	v_mov_b32_e32 v23, 0
	v_lshlrev_b64 v[22:23], 1, v[22:23]
	s_waitcnt lgkmcnt(0)
	v_add_co_u32 v22, s3, s12, v22
	v_add_co_ci_u32_e64 v23, null, s13, v23, s3
	global_store_short_d16_hi v[22:23], v20, off
	s_or_b32 exec_lo, exec_lo, s4
	s_and_saveexec_b32 s4, s0
	s_cbranch_execz .LBB154_23
.LBB154_64:
	v_add_nc_u32_e32 v22, v21, v6
	v_mov_b32_e32 v23, 0
	v_lshlrev_b64 v[22:23], 1, v[22:23]
	s_waitcnt lgkmcnt(0)
	v_add_co_u32 v22, s3, s12, v22
	v_add_co_ci_u32_e64 v23, null, s13, v23, s3
	global_store_short_d16_hi v[22:23], v19, off
	s_or_b32 exec_lo, exec_lo, s4
	s_and_saveexec_b32 s4, s1
	s_cbranch_execz .LBB154_24
.LBB154_65:
	v_add_nc_u32_e32 v19, v21, v7
	v_mov_b32_e32 v20, 0
	v_lshlrev_b64 v[19:20], 1, v[19:20]
	s_waitcnt lgkmcnt(0)
	v_add_co_u32 v19, s3, s12, v19
	v_add_co_ci_u32_e64 v20, null, s13, v20, s3
	global_store_short_d16_hi v[19:20], v18, off
	s_or_b32 exec_lo, exec_lo, s4
	s_and_saveexec_b32 s4, s2
	s_cbranch_execnz .LBB154_25
	s_branch .LBB154_26
.LBB154_66:
	v_add_nc_u32_e32 v18, v17, v0
	v_mov_b32_e32 v19, 0
	v_lshlrev_b64 v[18:19], 1, v[18:19]
	s_waitcnt lgkmcnt(0)
	v_add_co_u32 v18, s3, s12, v18
	v_add_co_ci_u32_e64 v19, null, s13, v19, s3
	global_store_short v[18:19], v16, off
	s_or_b32 exec_lo, exec_lo, s4
	s_and_saveexec_b32 s4, s0
	s_cbranch_execz .LBB154_29
.LBB154_67:
	v_add_nc_u32_e32 v18, v17, v6
	v_mov_b32_e32 v19, 0
	v_lshlrev_b64 v[18:19], 1, v[18:19]
	s_waitcnt lgkmcnt(0)
	v_add_co_u32 v18, s3, s12, v18
	v_add_co_ci_u32_e64 v19, null, s13, v19, s3
	global_store_short v[18:19], v15, off
	s_or_b32 exec_lo, exec_lo, s4
	s_and_saveexec_b32 s4, s1
	s_cbranch_execz .LBB154_30
.LBB154_68:
	v_add_nc_u32_e32 v18, v17, v7
	v_mov_b32_e32 v19, 0
	v_lshlrev_b64 v[18:19], 1, v[18:19]
	s_waitcnt lgkmcnt(0)
	v_add_co_u32 v18, s3, s12, v18
	v_add_co_ci_u32_e64 v19, null, s13, v19, s3
	global_store_short v[18:19], v14, off
	s_or_b32 exec_lo, exec_lo, s4
	s_and_saveexec_b32 s4, s2
	s_cbranch_execnz .LBB154_31
	s_branch .LBB154_32
.LBB154_69:
	v_add_nc_u32_e32 v18, v17, v0
	v_mov_b32_e32 v19, 0
	v_lshlrev_b64 v[18:19], 1, v[18:19]
	s_waitcnt lgkmcnt(0)
	v_add_co_u32 v18, s3, s12, v18
	v_add_co_ci_u32_e64 v19, null, s13, v19, s3
	global_store_short_d16_hi v[18:19], v16, off
	s_or_b32 exec_lo, exec_lo, s4
	s_and_saveexec_b32 s4, s0
	s_cbranch_execz .LBB154_35
.LBB154_70:
	v_add_nc_u32_e32 v18, v17, v6
	v_mov_b32_e32 v19, 0
	v_lshlrev_b64 v[18:19], 1, v[18:19]
	s_waitcnt lgkmcnt(0)
	v_add_co_u32 v18, s3, s12, v18
	v_add_co_ci_u32_e64 v19, null, s13, v19, s3
	global_store_short_d16_hi v[18:19], v15, off
	s_or_b32 exec_lo, exec_lo, s4
	s_and_saveexec_b32 s4, s1
	s_cbranch_execz .LBB154_36
.LBB154_71:
	v_add_nc_u32_e32 v15, v17, v7
	v_mov_b32_e32 v16, 0
	v_lshlrev_b64 v[15:16], 1, v[15:16]
	s_waitcnt lgkmcnt(0)
	v_add_co_u32 v15, s3, s12, v15
	v_add_co_ci_u32_e64 v16, null, s13, v16, s3
	global_store_short_d16_hi v[15:16], v14, off
	s_or_b32 exec_lo, exec_lo, s4
	s_and_saveexec_b32 s4, s2
	s_cbranch_execnz .LBB154_37
	s_branch .LBB154_38
.LBB154_72:
	v_add_nc_u32_e32 v14, v13, v0
	v_mov_b32_e32 v15, 0
	v_lshlrev_b64 v[14:15], 1, v[14:15]
	s_waitcnt lgkmcnt(0)
	v_add_co_u32 v14, s3, s12, v14
	v_add_co_ci_u32_e64 v15, null, s13, v15, s3
	global_store_short v[14:15], v12, off
	s_or_b32 exec_lo, exec_lo, s4
	s_and_saveexec_b32 s4, s0
	s_cbranch_execz .LBB154_41
.LBB154_73:
	v_add_nc_u32_e32 v14, v13, v6
	v_mov_b32_e32 v15, 0
	v_lshlrev_b64 v[14:15], 1, v[14:15]
	s_waitcnt lgkmcnt(0)
	v_add_co_u32 v14, s3, s12, v14
	v_add_co_ci_u32_e64 v15, null, s13, v15, s3
	global_store_short v[14:15], v11, off
	s_or_b32 exec_lo, exec_lo, s4
	s_and_saveexec_b32 s4, s1
	s_cbranch_execz .LBB154_42
.LBB154_74:
	v_add_nc_u32_e32 v14, v13, v7
	v_mov_b32_e32 v15, 0
	v_lshlrev_b64 v[14:15], 1, v[14:15]
	s_waitcnt lgkmcnt(0)
	v_add_co_u32 v14, s3, s12, v14
	v_add_co_ci_u32_e64 v15, null, s13, v15, s3
	global_store_short v[14:15], v10, off
	s_or_b32 exec_lo, exec_lo, s4
	s_and_saveexec_b32 s4, s2
	s_cbranch_execnz .LBB154_43
	s_branch .LBB154_44
.LBB154_75:
	v_add_nc_u32_e32 v14, v13, v0
	v_mov_b32_e32 v15, 0
	v_lshlrev_b64 v[14:15], 1, v[14:15]
	s_waitcnt lgkmcnt(0)
	v_add_co_u32 v14, s3, s12, v14
	v_add_co_ci_u32_e64 v15, null, s13, v15, s3
	global_store_short_d16_hi v[14:15], v12, off
	s_or_b32 exec_lo, exec_lo, s4
	s_and_saveexec_b32 s4, s0
	s_cbranch_execz .LBB154_47
.LBB154_76:
	v_add_nc_u32_e32 v14, v13, v6
	v_mov_b32_e32 v15, 0
	v_lshlrev_b64 v[14:15], 1, v[14:15]
	s_waitcnt lgkmcnt(0)
	v_add_co_u32 v14, s3, s12, v14
	v_add_co_ci_u32_e64 v15, null, s13, v15, s3
	global_store_short_d16_hi v[14:15], v11, off
	s_or_b32 exec_lo, exec_lo, s4
	s_and_saveexec_b32 s4, s1
	s_cbranch_execz .LBB154_48
.LBB154_77:
	v_add_nc_u32_e32 v11, v13, v7
	v_mov_b32_e32 v12, 0
	v_lshlrev_b64 v[11:12], 1, v[11:12]
	s_waitcnt lgkmcnt(0)
	v_add_co_u32 v11, s3, s12, v11
	v_add_co_ci_u32_e64 v12, null, s13, v12, s3
	global_store_short_d16_hi v[11:12], v10, off
	s_or_b32 exec_lo, exec_lo, s4
	s_and_saveexec_b32 s4, s2
	s_cbranch_execnz .LBB154_49
	s_branch .LBB154_50
.LBB154_78:
	v_add_nc_u32_e32 v10, v9, v0
	v_mov_b32_e32 v11, 0
	v_lshlrev_b64 v[10:11], 1, v[10:11]
	s_waitcnt lgkmcnt(0)
	v_add_co_u32 v10, s3, s12, v10
	v_add_co_ci_u32_e64 v11, null, s13, v11, s3
	global_store_short v[10:11], v5, off
	s_or_b32 exec_lo, exec_lo, s4
	s_and_saveexec_b32 s4, s0
	s_cbranch_execz .LBB154_53
.LBB154_79:
	v_add_nc_u32_e32 v10, v9, v6
	v_mov_b32_e32 v11, 0
	v_lshlrev_b64 v[10:11], 1, v[10:11]
	s_waitcnt lgkmcnt(0)
	v_add_co_u32 v10, s3, s12, v10
	v_add_co_ci_u32_e64 v11, null, s13, v11, s3
	global_store_short v[10:11], v4, off
	s_or_b32 exec_lo, exec_lo, s4
	s_and_saveexec_b32 s4, s1
	s_cbranch_execz .LBB154_54
.LBB154_80:
	v_add_nc_u32_e32 v10, v9, v7
	v_mov_b32_e32 v11, 0
	v_lshlrev_b64 v[10:11], 1, v[10:11]
	s_waitcnt lgkmcnt(0)
	v_add_co_u32 v10, s3, s12, v10
	v_add_co_ci_u32_e64 v11, null, s13, v11, s3
	global_store_short v[10:11], v3, off
	s_or_b32 exec_lo, exec_lo, s4
	s_and_saveexec_b32 s4, s2
	s_cbranch_execnz .LBB154_55
	s_branch .LBB154_56
.LBB154_81:
	v_add_nc_u32_e32 v9, v1, v0
	v_mov_b32_e32 v10, 0
	v_lshlrev_b64 v[9:10], 1, v[9:10]
	s_waitcnt lgkmcnt(0)
	v_add_co_u32 v9, vcc_lo, s12, v9
	v_add_co_ci_u32_e64 v10, null, s13, v10, vcc_lo
	global_store_short_d16_hi v[9:10], v5, off
	s_or_b32 exec_lo, exec_lo, s3
	s_and_saveexec_b32 s3, s0
	s_cbranch_execz .LBB154_59
.LBB154_82:
	v_add_nc_u32_e32 v5, v1, v6
	v_mov_b32_e32 v6, 0
	v_lshlrev_b64 v[5:6], 1, v[5:6]
	s_waitcnt lgkmcnt(0)
	v_add_co_u32 v5, vcc_lo, s12, v5
	v_add_co_ci_u32_e64 v6, null, s13, v6, vcc_lo
	global_store_short_d16_hi v[5:6], v4, off
	s_or_b32 exec_lo, exec_lo, s3
	s_and_saveexec_b32 s0, s1
	s_cbranch_execz .LBB154_60
.LBB154_83:
	v_add_nc_u32_e32 v4, v1, v7
	v_mov_b32_e32 v5, 0
	v_lshlrev_b64 v[4:5], 1, v[4:5]
	s_waitcnt lgkmcnt(0)
	v_add_co_u32 v4, vcc_lo, s12, v4
	v_add_co_ci_u32_e64 v5, null, s13, v5, vcc_lo
	global_store_short_d16_hi v[4:5], v3, off
	s_or_b32 exec_lo, exec_lo, s0
	s_and_b32 exec_lo, exec_lo, s2
	s_cbranch_execnz .LBB154_61
	s_branch .LBB154_62
	.section	.rodata,"a",@progbits
	.p2align	6, 0x0
	.amdhsa_kernel _ZL12mul_mat_q5_KIN3c104HalfELb1EEvPKvS3_PT_iiiii
		.amdhsa_group_segment_fixed_size 45136
		.amdhsa_private_segment_fixed_size 0
		.amdhsa_kernarg_size 44
		.amdhsa_user_sgpr_count 6
		.amdhsa_user_sgpr_private_segment_buffer 1
		.amdhsa_user_sgpr_dispatch_ptr 0
		.amdhsa_user_sgpr_queue_ptr 0
		.amdhsa_user_sgpr_kernarg_segment_ptr 1
		.amdhsa_user_sgpr_dispatch_id 0
		.amdhsa_user_sgpr_flat_scratch_init 0
		.amdhsa_user_sgpr_private_segment_size 0
		.amdhsa_wavefront_size32 1
		.amdhsa_uses_dynamic_stack 0
		.amdhsa_system_sgpr_private_segment_wavefront_offset 0
		.amdhsa_system_sgpr_workgroup_id_x 1
		.amdhsa_system_sgpr_workgroup_id_y 1
		.amdhsa_system_sgpr_workgroup_id_z 0
		.amdhsa_system_sgpr_workgroup_info 0
		.amdhsa_system_vgpr_workitem_id 1
		.amdhsa_next_free_vgpr 252
		.amdhsa_next_free_sgpr 17
		.amdhsa_reserve_vcc 1
		.amdhsa_reserve_flat_scratch 0
		.amdhsa_float_round_mode_32 0
		.amdhsa_float_round_mode_16_64 0
		.amdhsa_float_denorm_mode_32 3
		.amdhsa_float_denorm_mode_16_64 3
		.amdhsa_dx10_clamp 1
		.amdhsa_ieee_mode 1
		.amdhsa_fp16_overflow 0
		.amdhsa_workgroup_processor_mode 1
		.amdhsa_memory_ordered 1
		.amdhsa_forward_progress 1
		.amdhsa_shared_vgpr_count 0
		.amdhsa_exception_fp_ieee_invalid_op 0
		.amdhsa_exception_fp_denorm_src 0
		.amdhsa_exception_fp_ieee_div_zero 0
		.amdhsa_exception_fp_ieee_overflow 0
		.amdhsa_exception_fp_ieee_underflow 0
		.amdhsa_exception_fp_ieee_inexact 0
		.amdhsa_exception_int_div_zero 0
	.end_amdhsa_kernel
	.section	.text._ZL12mul_mat_q5_KIN3c104HalfELb1EEvPKvS3_PT_iiiii,"axG",@progbits,_ZL12mul_mat_q5_KIN3c104HalfELb1EEvPKvS3_PT_iiiii,comdat
.Lfunc_end154:
	.size	_ZL12mul_mat_q5_KIN3c104HalfELb1EEvPKvS3_PT_iiiii, .Lfunc_end154-_ZL12mul_mat_q5_KIN3c104HalfELb1EEvPKvS3_PT_iiiii
                                        ; -- End function
	.set _ZL12mul_mat_q5_KIN3c104HalfELb1EEvPKvS3_PT_iiiii.num_vgpr, 252
	.set _ZL12mul_mat_q5_KIN3c104HalfELb1EEvPKvS3_PT_iiiii.num_agpr, 0
	.set _ZL12mul_mat_q5_KIN3c104HalfELb1EEvPKvS3_PT_iiiii.numbered_sgpr, 17
	.set _ZL12mul_mat_q5_KIN3c104HalfELb1EEvPKvS3_PT_iiiii.num_named_barrier, 0
	.set _ZL12mul_mat_q5_KIN3c104HalfELb1EEvPKvS3_PT_iiiii.private_seg_size, 0
	.set _ZL12mul_mat_q5_KIN3c104HalfELb1EEvPKvS3_PT_iiiii.uses_vcc, 1
	.set _ZL12mul_mat_q5_KIN3c104HalfELb1EEvPKvS3_PT_iiiii.uses_flat_scratch, 0
	.set _ZL12mul_mat_q5_KIN3c104HalfELb1EEvPKvS3_PT_iiiii.has_dyn_sized_stack, 0
	.set _ZL12mul_mat_q5_KIN3c104HalfELb1EEvPKvS3_PT_iiiii.has_recursion, 0
	.set _ZL12mul_mat_q5_KIN3c104HalfELb1EEvPKvS3_PT_iiiii.has_indirect_call, 0
	.section	.AMDGPU.csdata,"",@progbits
; Kernel info:
; codeLenInByte = 19312
; TotalNumSgprs: 19
; NumVgprs: 252
; ScratchSize: 0
; MemoryBound: 0
; FloatMode: 240
; IeeeMode: 1
; LDSByteSize: 45136 bytes/workgroup (compile time only)
; SGPRBlocks: 0
; VGPRBlocks: 31
; NumSGPRsForWavesPerEU: 19
; NumVGPRsForWavesPerEU: 252
; Occupancy: 4
; WaveLimiterHint : 0
; COMPUTE_PGM_RSRC2:SCRATCH_EN: 0
; COMPUTE_PGM_RSRC2:USER_SGPR: 6
; COMPUTE_PGM_RSRC2:TRAP_HANDLER: 0
; COMPUTE_PGM_RSRC2:TGID_X_EN: 1
; COMPUTE_PGM_RSRC2:TGID_Y_EN: 1
; COMPUTE_PGM_RSRC2:TGID_Z_EN: 0
; COMPUTE_PGM_RSRC2:TIDIG_COMP_CNT: 1
	.section	.text._ZL12mul_mat_q6_KIN3c104HalfELb0EEvPKvS3_PT_iiiii,"axG",@progbits,_ZL12mul_mat_q6_KIN3c104HalfELb0EEvPKvS3_PT_iiiii,comdat
	.globl	_ZL12mul_mat_q6_KIN3c104HalfELb0EEvPKvS3_PT_iiiii ; -- Begin function _ZL12mul_mat_q6_KIN3c104HalfELb0EEvPKvS3_PT_iiiii
	.p2align	8
	.type	_ZL12mul_mat_q6_KIN3c104HalfELb0EEvPKvS3_PT_iiiii,@function
_ZL12mul_mat_q6_KIN3c104HalfELb0EEvPKvS3_PT_iiiii: ; @_ZL12mul_mat_q6_KIN3c104HalfELb0EEvPKvS3_PT_iiiii
; %bb.0:
	s_mov_b64 s[22:23], s[2:3]
	s_mov_b64 s[20:21], s[0:1]
	s_add_u32 s20, s20, s8
	s_clause 0x1
	s_load_dword s14, s[4:5], 0x18
	s_load_dwordx4 s[8:11], s[4:5], 0x20
	s_addc_u32 s21, s21, 0
	s_lshl_b32 s7, s7, 6
	v_add_nc_u32_e32 v15, s7, v1
	s_waitcnt lgkmcnt(0)
	s_cmpk_gt_i32 s14, 0xff
	s_cbranch_scc1 .LBB155_2
; %bb.1:
	v_add_nc_u32_e32 v6, s7, v1
	s_mov_b32 s0, 0
	s_branch .LBB155_3
.LBB155_2:
	s_mov_b32 s0, -1
                                        ; implicit-def: $vgpr6
.LBB155_3:
	s_load_dwordx2 s[12:13], s[4:5], 0x10
	v_mov_b32_e32 v2, 0
	v_mov_b32_e32 v9, 0
	;; [unrolled: 1-line block ×16, first 2 shown]
	s_lshl_b32 s6, s6, 7
	s_andn2_b32 vcc_lo, exec_lo, s0
	s_mov_b32 s11, 0
	s_cbranch_vccnz .LBB155_11
; %bb.4:
	s_load_dwordx4 s[0:3], s[4:5], 0x0
	s_ashr_i32 s4, s14, 31
	s_ashr_i32 s5, s9, 31
	s_lshr_b32 s4, s4, 24
	s_lshr_b32 s5, s5, 27
	s_add_i32 s14, s14, s4
	s_add_i32 s5, s9, s5
	s_ashr_i32 s4, s14, 8
	s_ashr_i32 s14, s5, 5
	s_mul_i32 s9, s4, s6
	v_and_b32_e32 v5, 31, v0
	s_mul_i32 s5, s9, 0xd2
	s_mul_hi_i32 s9, s9, 0xd2
	v_lshrrev_b32_e32 v7, 1, v0
	v_and_b32_e32 v8, 7, v0
	v_lshlrev_b32_e32 v32, 1, v5
	v_cmp_gt_u32_e32 vcc_lo, 16, v5
	v_lshlrev_b32_e32 v51, 5, v1
	v_lshlrev_b32_e32 v30, 3, v1
	v_lshrrev_b32_e32 v31, 2, v0
	s_waitcnt lgkmcnt(0)
	s_add_u32 s5, s0, s5
	s_addc_u32 s9, s1, s9
	s_lshl_b32 s0, s4, 3
	v_add_nc_u32_e32 v18, 0xe0, v32
	v_mad_i32_i24 v2, s4, v1, s0
	v_add_nc_u32_e32 v11, 8, v15
	v_add_nc_u32_e32 v12, 16, v15
	;; [unrolled: 1-line block ×3, first 2 shown]
	v_cndmask_b32_e32 v37, v18, v32, vcc_lo
	buffer_store_dword v2, off, s[20:23], 0 offset:4 ; 4-byte Folded Spill
	v_add_nc_u32_e32 v2, s0, v2
	v_add_nc_u32_e32 v14, 32, v15
	;; [unrolled: 1-line block ×3, first 2 shown]
	v_and_b32_e32 v37, 0xfe, v37
	v_add_nc_u32_e32 v19, 48, v15
	v_add_nc_u32_e32 v4, s0, v2
	buffer_store_dword v2, off, s[20:23], 0 offset:8 ; 4-byte Folded Spill
	v_cvt_f64_u32_e32 v[2:3], v15
	buffer_store_dword v15, off, s[20:23], 0 offset:96 ; 4-byte Folded Spill
	v_add_nc_u32_e32 v21, 56, v15
	buffer_store_dword v4, off, s[20:23], 0 offset:12 ; 4-byte Folded Spill
	v_add_nc_u32_e32 v4, s0, v4
	v_add_nc_u16 v15, v5, -16
	s_add_i32 s1, s8, -1
	v_and_or_b32 v33, v7, 8, v8
	v_add_nc_u32_e32 v36, v51, v0
	v_add_nc_u32_e32 v16, s0, v4
	v_lshlrev_b32_e32 v56, 2, v5
	v_cndmask_b32_e32 v5, v15, v5, vcc_lo
	v_and_b32_e32 v9, 15, v0
	v_mul_u32_u24_e32 v10, 0x41, v1
	buffer_store_dword v16, off, s[20:23], 0 offset:20 ; 4-byte Folded Spill
	v_add_nc_u32_e32 v16, s0, v16
	v_lshlrev_b32_e32 v64, 2, v33
	v_lshrrev_b32_e32 v33, 3, v36
	v_lshlrev_b32_e32 v34, 2, v9
	v_lshlrev_b32_e32 v35, 2, v10
	buffer_store_dword v16, off, s[20:23], 0 offset:24 ; 4-byte Folded Spill
	v_add_nc_u32_e32 v16, s0, v16
	v_cmp_lt_u16_e32 vcc_lo, 7, v5
	buffer_store_dword v4, off, s[20:23], 0 offset:16 ; 4-byte Folded Spill
	v_and_b32_e32 v4, 3, v0
	v_cvt_f64_u32_e32 v[7:8], v11
	buffer_store_dword v16, off, s[20:23], 0 offset:28 ; 4-byte Folded Spill
	v_add_nc_u32_e32 v16, s0, v16
	v_cvt_f64_u32_e32 v[9:10], v12
	v_lshlrev_b32_e32 v62, 2, v4
	v_cvt_f64_u32_e32 v[11:12], v13
	v_cvt_f64_u32_e32 v[13:14], v14
	v_add_nc_u32_e32 v20, s0, v16
	buffer_store_dword v16, off, s[20:23], 0 offset:32 ; 4-byte Folded Spill
	v_cvt_f64_i32_e32 v[15:16], s1
	v_cvt_f64_u32_e32 v[17:18], v17
	v_cvt_f64_u32_e32 v[21:22], v21
	v_add_nc_u32_e32 v38, s0, v20
	buffer_store_dword v20, off, s[20:23], 0 offset:36 ; 4-byte Folded Spill
	v_cvt_f64_u32_e32 v[19:20], v19
	v_lshlrev_b32_e32 v76, 2, v0
	v_lshrrev_b32_e32 v39, 5, v0
	v_add_nc_u32_e32 v40, s0, v38
	buffer_store_dword v38, off, s[20:23], 0 offset:40 ; 4-byte Folded Spill
	v_add_nc_u32_e32 v38, v31, v30
	v_add_nc_u16 v30, v31, v30
	v_sub_nc_u32_e32 v31, v32, v37
	v_add_nc_u32_e32 v37, s0, v40
	v_and_b32_e32 v32, 0x7f, v36
	v_mov_b32_e32 v6, 0
	v_lshrrev_b16 v30, 1, v30
	v_lshlrev_b32_e32 v31, 2, v31
	v_add_nc_u32_e32 v36, s0, v37
	v_mul_i32_i24_e32 v5, s4, v32
	v_lshlrev_b32_e32 v32, 2, v32
	v_and_b32_e32 v30, 60, v30
	v_add3_u32 v68, v31, v34, v35
	v_add_nc_u32_e32 v69, s0, v36
	buffer_store_dword v5, off, s[20:23], 0 offset:56 ; 4-byte Folded Spill
	v_and_b32_e32 v5, 12, v33
	v_min_f64 v[2:3], v[2:3], v[15:16]
	v_min_f64 v[19:20], v[19:20], v[15:16]
	v_add_nc_u32_e32 v31, s0, v69
	v_min_f64 v[7:8], v[7:8], v[15:16]
	v_add3_u32 v5, v32, v5, 0xae40
	v_min_f64 v[9:10], v[9:10], v[15:16]
	v_min_f64 v[11:12], v[11:12], v[15:16]
	buffer_store_dword v31, off, s[20:23], 0 offset:60 ; 4-byte Folded Spill
	v_and_b32_e32 v31, 0x7f, v38
	buffer_store_dword v5, off, s[20:23], 0 offset:64 ; 4-byte Folded Spill
	v_min_f64 v[13:14], v[13:14], v[15:16]
	v_min_f64 v[17:18], v[17:18], v[15:16]
	;; [unrolled: 1-line block ×3, first 2 shown]
	v_lshl_or_b32 v33, v31, 4, v62
	v_mul_i32_i24_e32 v5, s4, v31
	v_xor_b32_e32 v34, 64, v31
	v_add_nc_u32_e32 v23, 8, v1
	v_add_nc_u32_e32 v24, 16, v1
	;; [unrolled: 1-line block ×3, first 2 shown]
	buffer_store_dword v5, off, s[20:23], 0 offset:68 ; 4-byte Folded Spill
	v_add3_u32 v5, v33, v30, 0xa200
	v_add_nc_u32_e32 v26, 32, v1
	v_cvt_i32_f64_e32 v2, v[2:3]
	v_lshl_or_b32 v3, v34, 4, v62
	v_add_nc_u32_e32 v27, 40, v1
	buffer_store_dword v5, off, s[20:23], 0 offset:72 ; 4-byte Folded Spill
	v_mul_i32_i24_e32 v5, s4, v34
	v_cvt_i32_f64_e32 v7, v[7:8]
	v_and_b32_e32 v8, 63, v38
	v_cvt_i32_f64_e32 v10, v[9:10]
	v_cvt_i32_f64_e32 v11, v[11:12]
	buffer_store_dword v5, off, s[20:23], 0 offset:76 ; 4-byte Folded Spill
	v_lshrrev_b32_e32 v5, 1, v34
	v_cvt_i32_f64_e32 v12, v[13:14]
	v_cvt_i32_f64_e32 v15, v[15:16]
	;; [unrolled: 1-line block ×3, first 2 shown]
	v_or_b32_e32 v9, s7, v8
	v_and_b32_e32 v5, 60, v5
	v_lshl_or_b32 v14, v8, 4, v62
	v_add_nc_u32_e32 v28, 48, v1
	v_add_nc_u32_e32 v29, 56, v1
	v_min_i32_e32 v9, s1, v9
	v_add3_u32 v3, v3, v5, 0xa200
	v_and_b32_e32 v5, 28, v76
	v_add_nc_u32_e32 v78, 0xaa40, v14
	v_add_nc_u32_e32 v14, 0x60, v0
	buffer_store_dword v40, off, s[20:23], 0 offset:44 ; 4-byte Folded Spill
	buffer_store_dword v3, off, s[20:23], 0 offset:80 ; 4-byte Folded Spill
	v_cvt_i32_f64_e32 v3, v[19:20]
	v_mul_lo_u32 v81, s14, v7
	v_add_nc_u32_e32 v7, 64, v0
	v_mad_u64_u32 v[8:9], null, v9, s14, v[4:5]
	v_lshrrev_b32_e32 v90, 3, v14
	buffer_store_dword v37, off, s[20:23], 0 offset:48 ; 4-byte Folded Spill
	v_lshrrev_b32_e32 v89, 3, v7
	v_mul_lo_u32 v87, s14, v15
	v_lshlrev_b32_e32 v15, 2, v39
	buffer_store_dword v36, off, s[20:23], 0 offset:52 ; 4-byte Folded Spill
	buffer_store_dword v8, off, s[20:23], 0 offset:84 ; 4-byte Folded Spill
	;; [unrolled: 1-line block ×3, first 2 shown]
	v_or_b32_e32 v16, 0x8200, v56
	v_mul_lo_u32 v80, s14, v2
	v_lshlrev_b32_e32 v2, 7, v1
	v_lshlrev_b32_e32 v4, 7, v23
	v_mul_lo_u32 v82, s14, v10
	v_lshlrev_b32_e32 v9, 7, v24
	v_mul_lo_u32 v83, s14, v11
	;; [unrolled: 2-line block ×4, first 2 shown]
	v_add_nc_u32_e32 v3, 32, v0
	v_mul_lo_u32 v85, s14, v13
	v_lshlrev_b32_e32 v12, 7, v27
	v_lshlrev_b32_e32 v13, 7, v28
	;; [unrolled: 1-line block ×3, first 2 shown]
	v_lshrrev_b32_e32 v88, 3, v3
	v_add3_u32 v91, v76, v15, 0xae40
	v_and_b32_e32 v15, 60, v89
	v_and_b32_e32 v19, 60, v90
	v_lshlrev_b32_e32 v14, 2, v14
	v_and_b32_e32 v18, 60, v88
	v_lshlrev_b32_e32 v3, 2, v3
	s_movk_i32 s0, 0x104
	v_lshlrev_b32_e32 v97, 5, v25
	s_movk_i32 s1, 0x2080
	v_add3_u32 v92, v76, v18, 0xae40
	v_lshlrev_b32_e32 v18, 2, v7
	v_mov_b32_e32 v7, v6
	s_movk_i32 s14, 0x4100
	v_mad_u32_u24 v105, v0, s0, 0x6180
	v_add_co_u32 v25, s0, s2, v5
	buffer_store_dword v39, off, s[20:23], 0 ; 4-byte Folded Spill
	v_add3_u32 v93, v76, v15, 0xae40
	v_add3_u32 v94, v76, v19, 0xae40
	v_lshlrev_b32_e32 v95, 5, v23
	v_lshlrev_b32_e32 v96, 5, v24
	;; [unrolled: 1-line block ×5, first 2 shown]
	v_add_nc_u32_e32 v106, v16, v2
	v_add_nc_u32_e32 v107, v16, v4
	;; [unrolled: 1-line block ×8, first 2 shown]
	v_lshlrev_b32_e32 v115, 2, v18
	v_lshlrev_b32_e32 v116, 2, v14
	v_mov_b32_e32 v32, v7
	v_mov_b32_e32 v20, v7
	;; [unrolled: 1-line block ×15, first 2 shown]
	v_cndmask_b32_e64 v66, 0, 2, vcc_lo
	v_add_nc_u32_e32 v70, 0x30c0, v68
	v_lshrrev_b32_e32 v79, 3, v0
	v_lshlrev_b32_e32 v98, 5, v26
	v_mul_u32_u24_e32 v102, 0x104, v0
	v_mad_u32_u24 v103, 0x104, v0, s1
	v_mad_u32_u24 v104, 0x104, v0, s14
	v_add_co_ci_u32_e64 v26, null, s3, 0, s0
	v_lshlrev_b32_e32 v114, 2, v3
	v_mov_b32_e32 v31, v6
	v_mov_b32_e32 v19, v6
	;; [unrolled: 1-line block ×15, first 2 shown]
	buffer_store_dword v0, off, s[20:23], 0 offset:92 ; 4-byte Folded Spill
.LBB155_5:                              ; =>This Loop Header: Depth=1
                                        ;     Child Loop BB155_6 Depth 2
                                        ;     Child Loop BB155_8 Depth 2
	buffer_load_dword v0, off, s[20:23], 0  ; 4-byte Folded Reload
	s_mul_i32 s0, s11, 0xd2
	s_mul_hi_u32 s1, s11, 0xd2
	s_add_u32 s0, s5, s0
	s_addc_u32 s1, s9, s1
	v_mul_i32_i24_e32 v4, s4, v1
	s_mov_b32 s15, 0
	s_waitcnt vmcnt(0)
	v_mad_u64_u32 v[2:3], null, 0xd2, v0, s[0:1]
	buffer_load_dword v0, off, s[20:23], 0 offset:4 ; 4-byte Folded Reload
	v_mad_u64_u32 v[4:5], null, 0xd2, v4, v[2:3]
	v_mad_u64_u32 v[134:135], null, 0xd2, v69, v[2:3]
	v_add_co_u32 v45, vcc_lo, v4, v56
	v_add_co_ci_u32_e64 v46, null, 0, v5, vcc_lo
	v_add_co_u32 v4, vcc_lo, v4, v64
	v_add_co_ci_u32_e64 v5, null, 0, v5, vcc_lo
	s_waitcnt vmcnt(0)
	v_mad_u64_u32 v[41:42], null, 0xd2, v0, v[2:3]
	buffer_load_dword v0, off, s[20:23], 0 offset:8 ; 4-byte Folded Reload
	v_add_co_u32 v117, vcc_lo, v41, v56
	v_add_co_ci_u32_e64 v118, null, 0, v42, vcc_lo
	v_add_co_u32 v41, vcc_lo, v41, v64
	v_add_co_ci_u32_e64 v42, null, 0, v42, vcc_lo
	s_waitcnt vmcnt(0)
	v_mad_u64_u32 v[43:44], null, 0xd2, v0, v[2:3]
	buffer_load_dword v0, off, s[20:23], 0 offset:12 ; 4-byte Folded Reload
	;; [unrolled: 7-line block ×3, first 2 shown]
	v_add_co_u32 v130, vcc_lo, v121, v56
	v_add_co_ci_u32_e64 v131, null, 0, v122, vcc_lo
	v_add_co_u32 v132, vcc_lo, v121, v64
	v_add_co_ci_u32_e64 v133, null, 0, v122, vcc_lo
	s_waitcnt vmcnt(0)
	v_mad_u64_u32 v[128:129], null, 0xd2, v0, v[2:3]
	v_add_co_u32 v122, vcc_lo, v128, v56
	v_add_co_ci_u32_e64 v123, null, 0, v129, vcc_lo
	s_clause 0x8
	global_load_dword v126, v[45:46], off
	global_load_dword v127, v[4:5], off offset:128
	global_load_dword v124, v[117:118], off
	global_load_dword v125, v[41:42], off offset:128
	;; [unrolled: 2-line block ×4, first 2 shown]
	global_load_dword v122, v[122:123], off
	buffer_load_dword v0, off, s[20:23], 0 offset:20 ; 4-byte Folded Reload
	v_add_co_u32 v41, vcc_lo, v128, v64
	v_add_co_ci_u32_e64 v42, null, 0, v129, vcc_lo
	s_waitcnt vmcnt(8)
	v_ashrrev_i32_e32 v127, v66, v127
	s_waitcnt vmcnt(6)
	v_ashrrev_i32_e32 v125, v66, v125
	s_waitcnt vmcnt(4)
	v_ashrrev_i32_e32 v121, v66, v121
	s_waitcnt vmcnt(2)
	v_ashrrev_i32_e32 v119, v66, v119
	s_waitcnt vmcnt(0)
	v_mad_u64_u32 v[4:5], null, 0xd2, v0, v[2:3]
	buffer_load_dword v0, off, s[20:23], 0 offset:24 ; 4-byte Folded Reload
	v_add_co_u32 v45, vcc_lo, v4, v56
	v_add_co_ci_u32_e64 v46, null, 0, v5, vcc_lo
	v_add_co_u32 v4, vcc_lo, v4, v64
	v_add_co_ci_u32_e64 v5, null, 0, v5, vcc_lo
	s_waitcnt vmcnt(0)
	v_mad_u64_u32 v[43:44], null, 0xd2, v0, v[2:3]
	v_add_co_u32 v128, vcc_lo, v43, v56
	v_add_co_ci_u32_e64 v129, null, 0, v44, vcc_lo
	v_add_co_u32 v43, vcc_lo, v43, v64
	v_add_co_ci_u32_e64 v44, null, 0, v44, vcc_lo
	s_clause 0x4
	global_load_dword v47, v[41:42], off offset:128
	global_load_dword v48, v[45:46], off
	global_load_dword v49, v[4:5], off offset:128
	global_load_dword v50, v[128:129], off
	global_load_dword v71, v[43:44], off offset:128
	buffer_load_dword v0, off, s[20:23], 0 offset:28 ; 4-byte Folded Reload
	s_waitcnt vmcnt(5)
	v_ashrrev_i32_e32 v47, v66, v47
	s_waitcnt vmcnt(3)
	v_ashrrev_i32_e32 v49, v66, v49
	;; [unrolled: 2-line block ×3, first 2 shown]
	s_waitcnt vmcnt(0)
	v_mad_u64_u32 v[4:5], null, 0xd2, v0, v[2:3]
	buffer_load_dword v0, off, s[20:23], 0 offset:32 ; 4-byte Folded Reload
	v_add_co_u32 v43, vcc_lo, v4, v56
	v_add_co_ci_u32_e64 v44, null, 0, v5, vcc_lo
	v_add_co_u32 v4, vcc_lo, v4, v64
	v_add_co_ci_u32_e64 v5, null, 0, v5, vcc_lo
	s_waitcnt vmcnt(0)
	v_mad_u64_u32 v[41:42], null, 0xd2, v0, v[2:3]
	buffer_load_dword v0, off, s[20:23], 0 offset:36 ; 4-byte Folded Reload
	v_add_co_u32 v136, vcc_lo, v41, v56
	v_add_co_ci_u32_e64 v137, null, 0, v42, vcc_lo
	v_add_co_u32 v41, vcc_lo, v41, v64
	v_add_co_ci_u32_e64 v42, null, 0, v42, vcc_lo
	;; [unrolled: 7-line block ×3, first 2 shown]
	s_waitcnt vmcnt(0)
	v_mad_u64_u32 v[128:129], null, 0xd2, v0, v[2:3]
	buffer_load_dword v0, off, s[20:23], 0 offset:44 ; 4-byte Folded Reload
	s_clause 0x1
	global_load_dword v44, v[43:44], off
	global_load_dword v72, v[4:5], off offset:128
	v_add_co_u32 v140, vcc_lo, v128, v56
	v_add_co_ci_u32_e64 v141, null, 0, v129, vcc_lo
	v_add_co_u32 v128, vcc_lo, v128, v64
	v_add_co_ci_u32_e64 v129, null, 0, v129, vcc_lo
	s_waitcnt vmcnt(2)
	v_mad_u64_u32 v[130:131], null, 0xd2, v0, v[2:3]
	buffer_load_dword v0, off, s[20:23], 0 offset:48 ; 4-byte Folded Reload
	s_waitcnt vmcnt(1)
	v_ashrrev_i32_e32 v72, v66, v72
	v_add_co_u32 v142, vcc_lo, v130, v56
	v_add_co_ci_u32_e64 v143, null, 0, v131, vcc_lo
	v_add_co_u32 v130, vcc_lo, v130, v64
	v_add_co_ci_u32_e64 v131, null, 0, v131, vcc_lo
	s_waitcnt vmcnt(0)
	v_mad_u64_u32 v[4:5], null, 0xd2, v0, v[2:3]
	buffer_load_dword v0, off, s[20:23], 0 offset:52 ; 4-byte Folded Reload
	v_add_co_u32 v144, vcc_lo, v4, v56
	v_add_co_ci_u32_e64 v145, null, 0, v5, vcc_lo
	v_add_co_u32 v4, vcc_lo, v4, v64
	v_add_co_ci_u32_e64 v5, null, 0, v5, vcc_lo
	s_waitcnt vmcnt(0)
	v_mad_u64_u32 v[132:133], null, 0xd2, v0, v[2:3]
	v_add_co_u32 v146, vcc_lo, v132, v56
	v_add_co_ci_u32_e64 v147, null, 0, v133, vcc_lo
	v_add_co_u32 v132, vcc_lo, v132, v64
	v_add_co_ci_u32_e64 v133, null, 0, v133, vcc_lo
	;; [unrolled: 2-line block ×4, first 2 shown]
	s_clause 0xd
	global_load_dword v73, v[136:137], off
	global_load_dword v74, v[41:42], off offset:128
	global_load_dword v137, v[138:139], off
	global_load_dword v138, v[45:46], off offset:128
	;; [unrolled: 2-line block ×7, first 2 shown]
	v_and_b32_e32 v129, 0xf0f0f0f, v126
	v_lshrrev_b32_e32 v126, 4, v126
	v_and_b32_e32 v130, 0xf0f0f0f, v124
	v_lshrrev_b32_e32 v124, 4, v124
	v_and_b32_e32 v131, 0xf0f0f0f, v120
	v_lshrrev_b32_e32 v120, 4, v120
	v_and_b32_e32 v132, 0xf0f0f0f, v118
	v_lshrrev_b32_e32 v118, 4, v118
	v_and_b32_e32 v126, 0xf0f0f0f, v126
	v_lshlrev_b32_e32 v136, 4, v127
	v_and_b32_e32 v133, 0xf0f0f0f, v122
	v_lshrrev_b32_e32 v122, 4, v122
	v_and_b32_e32 v124, 0xf0f0f0f, v124
	v_lshlrev_b32_e32 v139, 4, v125
	v_and_b32_e32 v134, 0xf0f0f0f, v48
	v_lshrrev_b32_e32 v48, 4, v48
	v_and_b32_e32 v120, 0xf0f0f0f, v120
	v_lshlrev_b32_e32 v140, 4, v121
	v_and_b32_e32 v118, 0xf0f0f0f, v118
	v_lshlrev_b32_e32 v141, 4, v119
	v_and_or_b32 v129, 0x30303030, v136, v129
	v_and_or_b32 v126, 0x30303030, v127, v126
	v_and_b32_e32 v122, 0xf0f0f0f, v122
	v_lshlrev_b32_e32 v142, 4, v47
	v_lshlrev_b32_e32 v143, 4, v49
	v_and_or_b32 v127, 0x30303030, v139, v130
	v_and_or_b32 v124, 0x30303030, v125, v124
	v_and_b32_e32 v135, 0xf0f0f0f, v50
	v_and_b32_e32 v48, 0xf0f0f0f, v48
	v_lshlrev_b32_e32 v144, 4, v71
	v_and_or_b32 v125, 0x30303030, v140, v131
	v_and_or_b32 v120, 0x30303030, v121, v120
	;; [unrolled: 1-line block ×4, first 2 shown]
	v_lshrrev_b32_e32 v130, 16, v129
	v_and_b32_e32 v131, 0x3f00, v129
	v_lshlrev_b16 v129, 8, v129
	v_lshrrev_b32_e32 v132, 16, v126
	v_and_or_b32 v119, 0x30303030, v142, v133
	v_and_or_b32 v47, 0x30303030, v47, v122
	;; [unrolled: 1-line block ×3, first 2 shown]
	v_and_b32_e32 v133, 0x3f00, v126
	v_lshlrev_b16 v126, 8, v126
	v_lshrrev_b32_e32 v134, 16, v127
	v_lshrrev_b32_e32 v136, 16, v124
	v_and_or_b32 v48, 0x30303030, v49, v48
	v_and_or_b32 v49, 0x30303030, v144, v135
	v_and_b32_e32 v135, 0x3f00, v127
	v_lshlrev_b16 v127, 8, v127
	v_lshrrev_b32_e32 v140, 16, v125
	v_lshrrev_b32_e32 v142, 16, v120
	v_and_b32_e32 v139, 0x3f00, v124
	v_lshlrev_b16 v124, 8, v124
	v_lshrrev_b32_e32 v144, 16, v121
	v_lshrrev_b32_e32 v146, 16, v118
	v_add_nc_u16 v129, 0xe000, v129
	v_and_b32_e32 v158, 0x3f00, v130
	v_lshlrev_b16 v130, 8, v130
	v_and_b32_e32 v159, 0x3f00, v132
	v_lshlrev_b16 v132, 8, v132
	v_add_nc_u16 v126, 0xe000, v126
	v_and_b32_e32 v160, 0x3f00, v134
	v_lshlrev_b16 v134, 8, v134
	v_and_b32_e32 v161, 0x3f00, v136
	v_lshlrev_b16 v136, 8, v136
	;; [unrolled: 5-line block ×4, first 2 shown]
	v_or_b32_sdwa v129, v131, v129 dst_sel:DWORD dst_unused:UNUSED_PAD src0_sel:DWORD src1_sel:BYTE_1
	v_add_nc_u16 v130, 0xe000, v130
	v_add_nc_u16 v131, 0xe000, v132
	v_or_b32_sdwa v126, v133, v126 dst_sel:DWORD dst_unused:UNUSED_PAD src0_sel:DWORD src1_sel:BYTE_1
	v_add_nc_u16 v132, 0xe000, v134
	v_add_nc_u16 v133, 0xe000, v136
	v_and_b32_e32 v141, 0x3f00, v125
	v_lshlrev_b16 v125, 8, v125
	v_and_b32_e32 v143, 0x3f00, v120
	v_lshlrev_b16 v120, 8, v120
	v_or_b32_sdwa v127, v135, v127 dst_sel:DWORD dst_unused:UNUSED_PAD src0_sel:DWORD src1_sel:BYTE_1
	v_add_nc_u16 v134, 0xe000, v140
	v_add_nc_u16 v135, 0xe000, v142
	v_and_b32_e32 v145, 0x3f00, v121
	v_lshlrev_b16 v121, 8, v121
	v_and_b32_e32 v147, 0x3f00, v118
	v_lshlrev_b16 v118, 8, v118
	v_or_b32_sdwa v124, v139, v124 dst_sel:DWORD dst_unused:UNUSED_PAD src0_sel:DWORD src1_sel:BYTE_1
	v_add_nc_u16 v136, 0xe000, v144
	v_add_nc_u16 v139, 0xe000, v146
	v_or_b32_sdwa v130, v158, v130 dst_sel:DWORD dst_unused:UNUSED_PAD src0_sel:DWORD src1_sel:BYTE_1
	v_or_b32_sdwa v131, v159, v131 dst_sel:DWORD dst_unused:UNUSED_PAD src0_sel:DWORD src1_sel:BYTE_1
	v_or_b32_sdwa v132, v160, v132 dst_sel:DWORD dst_unused:UNUSED_PAD src0_sel:DWORD src1_sel:BYTE_1
	v_or_b32_sdwa v133, v161, v133 dst_sel:DWORD dst_unused:UNUSED_PAD src0_sel:DWORD src1_sel:BYTE_1
	v_add_nc_u16 v125, 0xe000, v125
	v_add_nc_u16 v120, 0xe000, v120
	v_or_b32_sdwa v134, v162, v134 dst_sel:DWORD dst_unused:UNUSED_PAD src0_sel:DWORD src1_sel:BYTE_1
	v_or_b32_sdwa v135, v163, v135 dst_sel:DWORD dst_unused:UNUSED_PAD src0_sel:DWORD src1_sel:BYTE_1
	v_add_nc_u16 v121, 0xe000, v121
	v_add_nc_u16 v118, 0xe000, v118
	v_or_b32_sdwa v136, v164, v136 dst_sel:DWORD dst_unused:UNUSED_PAD src0_sel:DWORD src1_sel:BYTE_1
	v_or_b32_sdwa v139, v165, v139 dst_sel:DWORD dst_unused:UNUSED_PAD src0_sel:DWORD src1_sel:BYTE_1
	v_add_nc_u16 v130, 0xe000, v130
	v_add_nc_u16 v131, 0xe000, v131
	;; [unrolled: 1-line block ×4, first 2 shown]
	v_or_b32_sdwa v125, v141, v125 dst_sel:DWORD dst_unused:UNUSED_PAD src0_sel:DWORD src1_sel:BYTE_1
	v_or_b32_sdwa v120, v143, v120 dst_sel:DWORD dst_unused:UNUSED_PAD src0_sel:DWORD src1_sel:BYTE_1
	v_add_nc_u16 v134, 0xe000, v134
	v_add_nc_u16 v135, 0xe000, v135
	v_or_b32_sdwa v121, v145, v121 dst_sel:DWORD dst_unused:UNUSED_PAD src0_sel:DWORD src1_sel:BYTE_1
	v_or_b32_sdwa v118, v147, v118 dst_sel:DWORD dst_unused:UNUSED_PAD src0_sel:DWORD src1_sel:BYTE_1
	v_add_nc_u16 v136, 0xe000, v136
	v_add_nc_u16 v139, 0xe000, v139
	;; [unrolled: 1-line block ×4, first 2 shown]
	v_lshlrev_b32_e32 v130, 16, v130
	v_lshlrev_b32_e32 v131, 16, v131
	v_add_nc_u16 v127, 0xe000, v127
	v_add_nc_u16 v124, 0xe000, v124
	v_lshlrev_b32_e32 v132, 16, v132
	v_lshlrev_b32_e32 v133, 16, v133
	v_add_nc_u16 v125, 0xe000, v125
	v_add_nc_u16 v120, 0xe000, v120
	;; [unrolled: 4-line block ×3, first 2 shown]
	v_lshlrev_b32_e32 v136, 16, v136
	v_lshlrev_b32_e32 v139, 16, v139
	v_or_b32_sdwa v129, v129, v130 dst_sel:DWORD dst_unused:UNUSED_PAD src0_sel:WORD_0 src1_sel:DWORD
	v_or_b32_sdwa v126, v126, v131 dst_sel:DWORD dst_unused:UNUSED_PAD src0_sel:WORD_0 src1_sel:DWORD
	;; [unrolled: 1-line block ×4, first 2 shown]
	v_add_nc_u32_e32 v130, 0x800, v68
	v_or_b32_sdwa v125, v125, v134 dst_sel:DWORD dst_unused:UNUSED_PAD src0_sel:WORD_0 src1_sel:DWORD
	v_or_b32_sdwa v120, v120, v135 dst_sel:DWORD dst_unused:UNUSED_PAD src0_sel:WORD_0 src1_sel:DWORD
	v_add_nc_u32_e32 v131, 0x1000, v68
	v_or_b32_sdwa v121, v121, v136 dst_sel:DWORD dst_unused:UNUSED_PAD src0_sel:WORD_0 src1_sel:DWORD
	v_or_b32_sdwa v118, v118, v139 dst_sel:DWORD dst_unused:UNUSED_PAD src0_sel:WORD_0 src1_sel:DWORD
	v_add_nc_u32_e32 v132, 0x1800, v68
	ds_write2_b32 v68, v129, v126 offset1:16
	ds_write2_b32 v130, v127, v124 offset0:8 offset1:24
	ds_write2_b32 v131, v125, v120 offset0:16 offset1:32
	;; [unrolled: 1-line block ×3, first 2 shown]
	buffer_load_dword v0, off, s[20:23], 0 offset:60 ; 4-byte Folded Reload
	v_lshrrev_b32_e32 v148, 16, v119
	v_lshrrev_b32_e32 v150, 16, v47
	;; [unrolled: 1-line block ×4, first 2 shown]
	v_and_b32_e32 v149, 0x3f00, v119
	v_and_b32_e32 v166, 0x3f00, v148
	v_lshlrev_b16 v148, 8, v148
	v_and_b32_e32 v167, 0x3f00, v150
	v_lshlrev_b16 v150, 8, v150
	v_and_b32_e32 v168, 0x3f00, v152
	v_lshlrev_b16 v152, 8, v152
	v_and_b32_e32 v169, 0x3f00, v154
	v_lshlrev_b16 v154, 8, v154
	v_lshlrev_b16 v119, 8, v119
	v_and_b32_e32 v151, 0x3f00, v47
	v_lshlrev_b16 v47, 8, v47
	v_add_nc_u16 v140, 0xe000, v148
	v_add_nc_u16 v141, 0xe000, v150
	v_and_b32_e32 v153, 0x3f00, v122
	v_lshlrev_b16 v122, 8, v122
	v_and_b32_e32 v155, 0x3f00, v48
	v_lshlrev_b16 v48, 8, v48
	v_add_nc_u16 v142, 0xe000, v152
	v_add_nc_u16 v143, 0xe000, v154
	v_lshrrev_b32_e32 v156, 16, v49
	v_add_nc_u16 v119, 0xe000, v119
	v_add_nc_u16 v47, 0xe000, v47
	v_or_b32_sdwa v140, v166, v140 dst_sel:DWORD dst_unused:UNUSED_PAD src0_sel:DWORD src1_sel:BYTE_1
	v_or_b32_sdwa v141, v167, v141 dst_sel:DWORD dst_unused:UNUSED_PAD src0_sel:DWORD src1_sel:BYTE_1
	v_add_nc_u16 v122, 0xe000, v122
	v_add_nc_u16 v48, 0xe000, v48
	v_or_b32_sdwa v142, v168, v142 dst_sel:DWORD dst_unused:UNUSED_PAD src0_sel:DWORD src1_sel:BYTE_1
	v_or_b32_sdwa v143, v169, v143 dst_sel:DWORD dst_unused:UNUSED_PAD src0_sel:DWORD src1_sel:BYTE_1
	v_and_b32_e32 v170, 0x3f00, v156
	v_lshlrev_b16 v156, 8, v156
	v_or_b32_sdwa v119, v149, v119 dst_sel:DWORD dst_unused:UNUSED_PAD src0_sel:DWORD src1_sel:BYTE_1
	v_or_b32_sdwa v47, v151, v47 dst_sel:DWORD dst_unused:UNUSED_PAD src0_sel:DWORD src1_sel:BYTE_1
	v_add_nc_u16 v140, 0xe000, v140
	v_add_nc_u16 v141, 0xe000, v141
	v_or_b32_sdwa v122, v153, v122 dst_sel:DWORD dst_unused:UNUSED_PAD src0_sel:DWORD src1_sel:BYTE_1
	v_or_b32_sdwa v48, v155, v48 dst_sel:DWORD dst_unused:UNUSED_PAD src0_sel:DWORD src1_sel:BYTE_1
	v_add_nc_u16 v142, 0xe000, v142
	v_add_nc_u16 v143, 0xe000, v143
	v_add_nc_u16 v119, 0xe000, v119
	v_add_nc_u16 v47, 0xe000, v47
	v_lshlrev_b32_e32 v140, 16, v140
	v_lshlrev_b32_e32 v141, 16, v141
	v_add_nc_u16 v118, 0xe000, v156
	v_add_nc_u16 v122, 0xe000, v122
	v_add_nc_u16 v48, 0xe000, v48
	v_lshlrev_b32_e32 v142, 16, v142
	v_lshlrev_b32_e32 v143, 16, v143
	v_or_b32_sdwa v119, v119, v140 dst_sel:DWORD dst_unused:UNUSED_PAD src0_sel:WORD_0 src1_sel:DWORD
	v_or_b32_sdwa v47, v47, v141 dst_sel:DWORD dst_unused:UNUSED_PAD src0_sel:WORD_0 src1_sel:DWORD
	v_or_b32_sdwa v118, v170, v118 dst_sel:DWORD dst_unused:UNUSED_PAD src0_sel:DWORD src1_sel:BYTE_1
	v_add_nc_u32_e32 v121, 0x2000, v68
	v_or_b32_sdwa v120, v122, v142 dst_sel:DWORD dst_unused:UNUSED_PAD src0_sel:WORD_0 src1_sel:DWORD
	v_or_b32_sdwa v48, v48, v143 dst_sel:DWORD dst_unused:UNUSED_PAD src0_sel:WORD_0 src1_sel:DWORD
	v_add_nc_u32_e32 v122, 0x2800, v68
	ds_write2_b32 v121, v119, v47 offset0:32 offset1:48
	ds_write2_b32 v122, v120, v48 offset0:40 offset1:56
	v_add_nc_u16 v48, 0xe000, v118
	v_lshrrev_b32_e32 v50, 4, v50
	v_and_b32_e32 v157, 0x3f00, v49
	v_lshlrev_b16 v49, 8, v49
	v_lshlrev_b32_e32 v48, 16, v48
	v_and_b32_e32 v50, 0xf0f0f0f, v50
	v_add_nc_u16 v49, 0xe000, v49
	v_and_or_b32 v50, 0x30303030, v71, v50
	v_or_b32_sdwa v49, v157, v49 dst_sel:DWORD dst_unused:UNUSED_PAD src0_sel:DWORD src1_sel:BYTE_1
	v_lshlrev_b16 v71, 8, v50
	v_add_nc_u16 v47, 0xe000, v49
	v_lshrrev_b32_e32 v49, 16, v50
	v_and_b32_e32 v50, 0x3f00, v50
	v_add_nc_u16 v71, 0xe000, v71
	v_or_b32_sdwa v47, v47, v48 dst_sel:DWORD dst_unused:UNUSED_PAD src0_sel:WORD_0 src1_sel:DWORD
	v_lshlrev_b16 v120, 8, v49
	v_or_b32_sdwa v50, v50, v71 dst_sel:DWORD dst_unused:UNUSED_PAD src0_sel:DWORD src1_sel:BYTE_1
	v_add_nc_u16 v50, 0xe000, v50
	s_waitcnt vmcnt(13)
	v_ashrrev_i32_e32 v74, v66, v74
	s_waitcnt vmcnt(5)
	v_ashrrev_i32_e32 v45, v66, v45
	;; [unrolled: 2-line block ×4, first 2 shown]
	s_waitcnt vmcnt(0)
	v_mad_u64_u32 v[2:3], null, 0xd2, v0, v[2:3]
	v_add_co_u32 v118, vcc_lo, v2, v56
	v_add_co_ci_u32_e64 v119, null, 0, v3, vcc_lo
	v_add_co_u32 v2, vcc_lo, v2, v64
	v_add_co_ci_u32_e64 v3, null, 0, v3, vcc_lo
	s_clause 0x1
	global_load_dword v139, v[118:119], off
	global_load_dword v140, v[2:3], off offset:128
	buffer_load_dword v0, off, s[20:23], 0 offset:68 ; 4-byte Folded Reload
	v_and_b32_e32 v2, 0x3f00, v49
	v_add_nc_u16 v3, 0xe000, v120
	v_and_b32_e32 v49, 0xf0f0f0f, v44
	v_lshlrev_b32_e32 v118, 4, v72
	v_lshrrev_b32_e32 v44, 4, v44
	v_or_b32_sdwa v71, v2, v3 dst_sel:DWORD dst_unused:UNUSED_PAD src0_sel:DWORD src1_sel:BYTE_1
	v_and_or_b32 v49, 0x30303030, v118, v49
	v_and_b32_e32 v44, 0xf0f0f0f, v44
	v_add_nc_u16 v71, 0xe000, v71
	v_lshrrev_b32_e32 v141, 16, v49
	v_and_or_b32 v44, 0x30303030, v72, v44
	v_lshlrev_b32_e32 v71, 16, v71
	v_lshrrev_b32_e32 v72, 16, v44
	v_or_b32_sdwa v50, v50, v71 dst_sel:DWORD dst_unused:UNUSED_PAD src0_sel:WORD_0 src1_sel:DWORD
	v_lshlrev_b16 v71, 8, v44
	v_and_b32_e32 v44, 0x3f00, v44
	v_add_nc_u16 v71, 0xe000, v71
	v_or_b32_sdwa v44, v44, v71 dst_sel:DWORD dst_unused:UNUSED_PAD src0_sel:DWORD src1_sel:BYTE_1
	v_add_nc_u16 v44, 0xe000, v44
	s_waitcnt vmcnt(0)
	v_mad_u64_u32 v[2:3], null, 0xd2, v0, s[0:1]
	buffer_load_dword v0, off, s[20:23], 0 offset:56 ; 4-byte Folded Reload
	v_add_co_u32 v2, vcc_lo, v2, v62
	v_add_co_ci_u32_e64 v3, null, 0, v3, vcc_lo
	s_waitcnt vmcnt(0)
	v_mad_u64_u32 v[118:119], null, 0xd2, v0, s[0:1]
	buffer_load_dword v0, off, s[20:23], 0 offset:76 ; 4-byte Folded Reload
	s_waitcnt vmcnt(0)
	v_mad_u64_u32 v[120:121], null, 0xd2, v0, s[0:1]
	s_lshl_b32 s0, s11, 3
	s_mov_b32 s1, -1
	v_add_nc_u32_e32 v131, s0, v79
	v_add_co_u32 v120, vcc_lo, v120, v62
	v_add_co_ci_u32_e64 v121, null, 0, v121, vcc_lo
	s_clause 0x2
	global_load_ushort v142, v[118:119], off offset:208
	global_load_dword v143, v[2:3], off offset:192
	global_load_dword v144, v[120:121], off offset:192
	s_clause 0x1
	buffer_load_dword v2, off, s[20:23], 0 offset:84
	buffer_load_dword v3, off, s[20:23], 0 offset:88
	v_add_nc_u32_e32 v124, v131, v80
	v_add_nc_u32_e32 v118, v131, v81
	;; [unrolled: 1-line block ×6, first 2 shown]
	v_mad_i64_i32 v[118:119], null, v118, 36, v[25:26]
	v_mad_i64_i32 v[120:121], null, v120, 36, v[25:26]
	v_add_nc_u32_e32 v135, v131, v87
	v_mad_i64_i32 v[126:127], null, v126, 36, v[25:26]
	v_mad_i64_i32 v[133:134], null, v133, 36, v[25:26]
	;; [unrolled: 1-line block ×3, first 2 shown]
	s_waitcnt vmcnt(1)
	v_add_nc_u32_e32 v122, s0, v2
	s_waitcnt vmcnt(0)
	v_mad_i64_i32 v[2:3], null, v124, 36, v[25:26]
	v_add_nc_u32_e32 v124, v131, v83
	v_mad_i64_i32 v[131:132], null, v132, 36, v[25:26]
	v_mad_u64_u32 v[129:130], null, v122, 36, s[2:3]
	v_mad_i64_i32 v[124:125], null, v124, 36, v[25:26]
	s_clause 0x8
	global_load_dword v129, v[129:130], off
	global_load_dword v2, v[2:3], off offset:4
	global_load_dword v3, v[118:119], off offset:4
	;; [unrolled: 1-line block ×8, first 2 shown]
	v_lshlrev_b16 v126, 8, v49
	v_lshlrev_b16 v127, 8, v141
	v_and_b32_e32 v49, 0x3f00, v49
	v_and_b32_e32 v130, 0x3f00, v141
	ds_write2_b32 v70, v47, v50 offset1:16
	v_add_nc_u16 v126, 0xe000, v126
	v_add_nc_u16 v127, 0xe000, v127
	v_or_b32_sdwa v49, v49, v126 dst_sel:DWORD dst_unused:UNUSED_PAD src0_sel:DWORD src1_sel:BYTE_1
	v_or_b32_sdwa v48, v130, v127 dst_sel:DWORD dst_unused:UNUSED_PAD src0_sel:DWORD src1_sel:BYTE_1
	v_lshlrev_b16 v126, 8, v72
	v_and_b32_e32 v72, 0x3f00, v72
	v_and_b32_e32 v127, 0xf0f0f0f, v73
	v_add_nc_u16 v49, 0xe000, v49
	v_add_nc_u16 v48, 0xe000, v48
	;; [unrolled: 1-line block ×3, first 2 shown]
	v_lshlrev_b32_e32 v130, 4, v74
	v_lshlrev_b32_e32 v48, 16, v48
	v_or_b32_sdwa v47, v72, v126 dst_sel:DWORD dst_unused:UNUSED_PAD src0_sel:DWORD src1_sel:BYTE_1
	v_and_or_b32 v50, 0x30303030, v130, v127
	v_or_b32_sdwa v48, v49, v48 dst_sel:DWORD dst_unused:UNUSED_PAD src0_sel:WORD_0 src1_sel:DWORD
	v_lshrrev_b32_e32 v49, 4, v73
	v_add_nc_u16 v47, 0xe000, v47
	v_lshrrev_b32_e32 v71, 16, v50
	v_lshlrev_b16 v72, 8, v50
	v_and_b32_e32 v50, 0x3f00, v50
	v_and_b32_e32 v49, 0xf0f0f0f, v49
	v_lshlrev_b32_e32 v47, 16, v47
	v_lshlrev_b16 v73, 8, v71
	v_add_nc_u16 v72, 0xe000, v72
	v_and_b32_e32 v71, 0x3f00, v71
	v_and_or_b32 v49, 0x30303030, v74, v49
	v_or_b32_sdwa v44, v44, v47 dst_sel:DWORD dst_unused:UNUSED_PAD src0_sel:WORD_0 src1_sel:DWORD
	v_add_nc_u32_e32 v47, 0x800, v70
	v_add_nc_u16 v73, 0xe000, v73
	v_or_b32_sdwa v50, v50, v72 dst_sel:DWORD dst_unused:UNUSED_PAD src0_sel:DWORD src1_sel:BYTE_1
	v_lshrrev_b32_e32 v72, 16, v49
	v_lshlrev_b16 v74, 8, v49
	ds_write2_b32 v47, v48, v44 offset0:8 offset1:24
	v_ashrrev_i32_e32 v44, v66, v138
	v_or_b32_sdwa v47, v71, v73 dst_sel:DWORD dst_unused:UNUSED_PAD src0_sel:DWORD src1_sel:BYTE_1
	v_add_nc_u16 v48, 0xe000, v50
	v_lshlrev_b16 v50, 8, v72
	v_and_b32_e32 v71, 0xf0f0f0f, v137
	v_lshlrev_b32_e32 v73, 4, v44
	v_and_b32_e32 v72, 0x3f00, v72
	v_and_b32_e32 v49, 0x3f00, v49
	v_add_nc_u16 v50, 0xe000, v50
	v_add_nc_u16 v47, 0xe000, v47
	v_and_or_b32 v71, 0x30303030, v73, v71
	v_add_nc_u16 v73, 0xe000, v74
	v_lshrrev_b32_e32 v74, 4, v137
	v_or_b32_sdwa v50, v72, v50 dst_sel:DWORD dst_unused:UNUSED_PAD src0_sel:DWORD src1_sel:BYTE_1
	v_lshlrev_b32_e32 v47, 16, v47
	v_lshrrev_b32_e32 v72, 16, v71
	v_or_b32_sdwa v49, v49, v73 dst_sel:DWORD dst_unused:UNUSED_PAD src0_sel:DWORD src1_sel:BYTE_1
	v_lshlrev_b16 v73, 8, v71
	v_and_b32_e32 v74, 0xf0f0f0f, v74
	v_add_nc_u16 v50, 0xe000, v50
	v_lshlrev_b16 v126, 8, v72
	v_and_b32_e32 v71, 0x3f00, v71
	v_add_nc_u16 v73, 0xe000, v73
	v_and_b32_e32 v72, 0x3f00, v72
	v_and_or_b32 v44, 0x30303030, v44, v74
	v_add_nc_u16 v126, 0xe000, v126
	v_add_nc_u16 v49, 0xe000, v49
	v_lshlrev_b32_e32 v50, 16, v50
	v_or_b32_sdwa v71, v71, v73 dst_sel:DWORD dst_unused:UNUSED_PAD src0_sel:DWORD src1_sel:BYTE_1
	v_lshrrev_b32_e32 v73, 16, v44
	v_or_b32_sdwa v72, v72, v126 dst_sel:DWORD dst_unused:UNUSED_PAD src0_sel:DWORD src1_sel:BYTE_1
	v_or_b32_sdwa v47, v48, v47 dst_sel:DWORD dst_unused:UNUSED_PAD src0_sel:WORD_0 src1_sel:DWORD
	v_or_b32_sdwa v48, v49, v50 dst_sel:DWORD dst_unused:UNUSED_PAD src0_sel:WORD_0 src1_sel:DWORD
	v_add_nc_u16 v49, 0xe000, v71
	v_lshlrev_b16 v71, 8, v73
	v_add_nc_u16 v50, 0xe000, v72
	v_lshlrev_b16 v72, 8, v44
	v_and_b32_e32 v44, 0x3f00, v44
	v_ashrrev_i32_e32 v74, v66, v128
	v_and_b32_e32 v73, 0x3f00, v73
	v_add_nc_u16 v71, 0xe000, v71
	v_add_nc_u16 v72, 0xe000, v72
	v_and_b32_e32 v126, 0xf0f0f0f, v123
	v_lshlrev_b32_e32 v127, 4, v74
	v_lshlrev_b32_e32 v50, 16, v50
	v_or_b32_sdwa v71, v73, v71 dst_sel:DWORD dst_unused:UNUSED_PAD src0_sel:DWORD src1_sel:BYTE_1
	v_or_b32_sdwa v44, v44, v72 dst_sel:DWORD dst_unused:UNUSED_PAD src0_sel:DWORD src1_sel:BYTE_1
	v_lshrrev_b32_e32 v72, 4, v123
	v_and_or_b32 v73, 0x30303030, v127, v126
	v_or_b32_sdwa v49, v49, v50 dst_sel:DWORD dst_unused:UNUSED_PAD src0_sel:WORD_0 src1_sel:DWORD
	v_add_nc_u16 v50, 0xe000, v71
	v_add_nc_u16 v44, 0xe000, v44
	v_and_b32_e32 v71, 0xf0f0f0f, v72
	v_lshrrev_b32_e32 v72, 16, v73
	v_add_nc_u32_e32 v126, 0x1800, v70
	v_lshlrev_b32_e32 v50, 16, v50
	v_lshlrev_b16 v123, 8, v73
	v_and_or_b32 v71, 0x30303030, v74, v71
	v_lshlrev_b16 v74, 8, v72
	v_and_b32_e32 v73, 0x3f00, v73
	v_or_b32_sdwa v44, v44, v50 dst_sel:DWORD dst_unused:UNUSED_PAD src0_sel:WORD_0 src1_sel:DWORD
	v_and_b32_e32 v50, 0x3f00, v72
	v_add_nc_u32_e32 v72, 0x1000, v70
	v_lshrrev_b32_e32 v127, 16, v71
	v_add_nc_u16 v74, 0xe000, v74
	ds_write2_b32 v72, v47, v48 offset0:16 offset1:32
	ds_write2_b32 v126, v49, v44 offset0:24 offset1:40
	v_lshlrev_b16 v44, 8, v127
	v_add_nc_u16 v123, 0xe000, v123
	v_or_b32_sdwa v47, v50, v74 dst_sel:DWORD dst_unused:UNUSED_PAD src0_sel:DWORD src1_sel:BYTE_1
	v_lshlrev_b16 v49, 8, v71
	v_and_b32_e32 v50, 0x3f00, v127
	v_add_nc_u16 v44, 0xe000, v44
	v_or_b32_sdwa v73, v73, v123 dst_sel:DWORD dst_unused:UNUSED_PAD src0_sel:DWORD src1_sel:BYTE_1
	v_and_b32_e32 v71, 0x3f00, v71
	v_ashrrev_i32_e32 v72, v66, v117
	v_add_nc_u16 v49, 0xe000, v49
	v_or_b32_sdwa v44, v50, v44 dst_sel:DWORD dst_unused:UNUSED_PAD src0_sel:DWORD src1_sel:BYTE_1
	v_and_b32_e32 v50, 0xf0f0f0f, v46
	v_lshrrev_b32_e32 v46, 4, v46
	v_add_nc_u16 v48, 0xe000, v73
	v_add_nc_u16 v47, 0xe000, v47
	v_lshlrev_b32_e32 v73, 4, v72
	v_or_b32_sdwa v49, v71, v49 dst_sel:DWORD dst_unused:UNUSED_PAD src0_sel:DWORD src1_sel:BYTE_1
	v_add_nc_u16 v44, 0xe000, v44
	v_and_b32_e32 v46, 0xf0f0f0f, v46
	v_lshlrev_b32_e32 v47, 16, v47
	v_and_or_b32 v50, 0x30303030, v73, v50
	v_add_nc_u16 v49, 0xe000, v49
	v_lshlrev_b32_e32 v44, 16, v44
	v_and_or_b32 v46, 0x30303030, v72, v46
	v_or_b32_sdwa v47, v48, v47 dst_sel:DWORD dst_unused:UNUSED_PAD src0_sel:WORD_0 src1_sel:DWORD
	v_lshrrev_b32_e32 v48, 16, v50
	v_lshlrev_b16 v71, 8, v50
	v_or_b32_sdwa v44, v49, v44 dst_sel:DWORD dst_unused:UNUSED_PAD src0_sel:WORD_0 src1_sel:DWORD
	v_add_nc_u32_e32 v49, 0x5140, v68
	v_lshrrev_b32_e32 v72, 16, v46
	v_and_b32_e32 v50, 0x3f00, v50
	v_lshlrev_b16 v73, 8, v48
	v_add_nc_u16 v71, 0xe000, v71
	ds_write2_b32 v49, v47, v44 offset1:16
	v_lshlrev_b16 v47, 8, v72
	v_and_b32_e32 v44, 0x3f00, v48
	v_add_nc_u16 v48, 0xe000, v73
	v_or_b32_sdwa v49, v50, v71 dst_sel:DWORD dst_unused:UNUSED_PAD src0_sel:DWORD src1_sel:BYTE_1
	v_lshlrev_b16 v50, 8, v46
	v_and_b32_e32 v71, 0x3f00, v72
	v_add_nc_u16 v47, 0xe000, v47
	v_or_b32_sdwa v44, v44, v48 dst_sel:DWORD dst_unused:UNUSED_PAD src0_sel:DWORD src1_sel:BYTE_1
	v_and_b32_e32 v46, 0x3f00, v46
	v_add_nc_u16 v48, 0xe000, v50
	v_and_b32_e32 v50, 0xf0f0f0f, v43
	v_or_b32_sdwa v47, v71, v47 dst_sel:DWORD dst_unused:UNUSED_PAD src0_sel:DWORD src1_sel:BYTE_1
	v_lshlrev_b32_e32 v71, 4, v45
	v_add_nc_u16 v44, 0xe000, v44
	v_or_b32_sdwa v46, v46, v48 dst_sel:DWORD dst_unused:UNUSED_PAD src0_sel:DWORD src1_sel:BYTE_1
	v_lshrrev_b32_e32 v43, 4, v43
	v_add_nc_u16 v47, 0xe000, v47
	v_and_or_b32 v48, 0x30303030, v71, v50
	v_add_nc_u16 v49, 0xe000, v49
	v_lshlrev_b32_e32 v44, 16, v44
	v_add_nc_u16 v46, 0xe000, v46
	v_lshlrev_b32_e32 v47, 16, v47
	v_lshrrev_b32_e32 v50, 16, v48
	v_and_b32_e32 v43, 0xf0f0f0f, v43
	v_or_b32_sdwa v44, v49, v44 dst_sel:DWORD dst_unused:UNUSED_PAD src0_sel:WORD_0 src1_sel:DWORD
	v_lshlrev_b16 v49, 8, v48
	v_or_b32_sdwa v46, v46, v47 dst_sel:DWORD dst_unused:UNUSED_PAD src0_sel:WORD_0 src1_sel:DWORD
	v_lshlrev_b16 v47, 8, v50
	v_add_nc_u32_e32 v71, 0x5960, v68
	v_and_or_b32 v43, 0x30303030, v45, v43
	v_and_b32_e32 v48, 0x3f00, v48
	v_add_nc_u16 v45, 0xe000, v49
	v_and_b32_e32 v49, 0x3f00, v50
	v_add_nc_u16 v47, 0xe000, v47
	ds_write2_b32 v71, v44, v46 offset1:16
	v_lshrrev_b32_e32 v44, 16, v43
	v_or_b32_sdwa v45, v48, v45 dst_sel:DWORD dst_unused:UNUSED_PAD src0_sel:DWORD src1_sel:BYTE_1
	v_lshlrev_b32_e32 v50, 4, v42
	v_or_b32_sdwa v46, v49, v47 dst_sel:DWORD dst_unused:UNUSED_PAD src0_sel:DWORD src1_sel:BYTE_1
	v_lshlrev_b16 v47, 8, v43
	v_lshlrev_b16 v48, 8, v44
	v_and_b32_e32 v49, 0xf0f0f0f, v41
	v_and_b32_e32 v43, 0x3f00, v43
	;; [unrolled: 1-line block ×3, first 2 shown]
	v_add_nc_u16 v47, 0xe000, v47
	v_add_nc_u16 v48, 0xe000, v48
	v_and_or_b32 v49, 0x30303030, v50, v49
	v_lshrrev_b32_e32 v41, 4, v41
	v_add_nc_u16 v46, 0xe000, v46
	v_or_b32_sdwa v43, v43, v47 dst_sel:DWORD dst_unused:UNUSED_PAD src0_sel:DWORD src1_sel:BYTE_1
	v_or_b32_sdwa v44, v44, v48 dst_sel:DWORD dst_unused:UNUSED_PAD src0_sel:DWORD src1_sel:BYTE_1
	v_lshrrev_b32_e32 v47, 16, v49
	v_and_b32_e32 v41, 0xf0f0f0f, v41
	v_lshlrev_b16 v50, 8, v49
	v_add_nc_u16 v43, 0xe000, v43
	v_add_nc_u16 v44, 0xe000, v44
	v_lshlrev_b16 v48, 8, v47
	v_and_b32_e32 v47, 0x3f00, v47
	v_and_or_b32 v41, 0x30303030, v42, v41
	v_add_nc_u16 v45, 0xe000, v45
	v_lshlrev_b32_e32 v44, 16, v44
	v_add_nc_u16 v48, 0xe000, v48
	v_lshlrev_b32_e32 v46, 16, v46
	v_and_b32_e32 v49, 0x3f00, v49
	v_add_nc_u16 v50, 0xe000, v50
	v_or_b32_sdwa v43, v43, v44 dst_sel:DWORD dst_unused:UNUSED_PAD src0_sel:WORD_0 src1_sel:DWORD
	v_or_b32_sdwa v42, v47, v48 dst_sel:DWORD dst_unused:UNUSED_PAD src0_sel:DWORD src1_sel:BYTE_1
	v_lshrrev_b32_e32 v44, 16, v41
	v_or_b32_sdwa v45, v45, v46 dst_sel:DWORD dst_unused:UNUSED_PAD src0_sel:WORD_0 src1_sel:DWORD
	v_or_b32_sdwa v46, v49, v50 dst_sel:DWORD dst_unused:UNUSED_PAD src0_sel:DWORD src1_sel:BYTE_1
	v_and_b32_e32 v47, 0xf0f0f0f, v4
	v_add_nc_u16 v42, 0xe000, v42
	v_lshlrev_b32_e32 v48, 4, v5
	v_lshlrev_b16 v49, 8, v44
	v_add_nc_u16 v46, 0xe000, v46
	v_lshlrev_b16 v50, 8, v41
	v_lshlrev_b32_e32 v42, 16, v42
	v_and_b32_e32 v44, 0x3f00, v44
	v_and_or_b32 v47, 0x30303030, v48, v47
	v_add_nc_u16 v48, 0xe000, v49
	v_and_b32_e32 v41, 0x3f00, v41
	v_or_b32_sdwa v42, v46, v42 dst_sel:DWORD dst_unused:UNUSED_PAD src0_sel:WORD_0 src1_sel:DWORD
	v_add_nc_u16 v46, 0xe000, v50
	v_lshlrev_b16 v49, 8, v47
	v_or_b32_sdwa v44, v44, v48 dst_sel:DWORD dst_unused:UNUSED_PAD src0_sel:DWORD src1_sel:BYTE_1
	v_lshrrev_b32_e32 v48, 16, v47
	v_lshrrev_b32_e32 v4, 4, v4
	v_or_b32_sdwa v41, v41, v46 dst_sel:DWORD dst_unused:UNUSED_PAD src0_sel:DWORD src1_sel:BYTE_1
	v_and_b32_e32 v47, 0x3f00, v47
	v_add_nc_u16 v49, 0xe000, v49
	v_lshlrev_b16 v46, 8, v48
	v_and_b32_e32 v4, 0xf0f0f0f, v4
	v_and_b32_e32 v48, 0x3f00, v48
	v_add_nc_u16 v44, 0xe000, v44
	v_or_b32_sdwa v47, v47, v49 dst_sel:DWORD dst_unused:UNUSED_PAD src0_sel:DWORD src1_sel:BYTE_1
	v_add_nc_u16 v46, 0xe000, v46
	v_and_or_b32 v4, 0x30303030, v5, v4
	v_lshrrev_b32_e32 v50, 4, v139
	v_add_nc_u16 v5, 0xe000, v41
	v_lshlrev_b32_e32 v41, 16, v44
	v_or_b32_sdwa v46, v48, v46 dst_sel:DWORD dst_unused:UNUSED_PAD src0_sel:DWORD src1_sel:BYTE_1
	v_ashrrev_i32_e32 v48, v66, v140
	v_add_nc_u16 v44, 0xe000, v47
	v_lshrrev_b32_e32 v47, 16, v4
	v_lshlrev_b16 v49, 8, v4
	v_and_b32_e32 v71, 0xf0f0f0f, v139
	v_lshlrev_b32_e32 v72, 4, v48
	v_and_b32_e32 v50, 0xf0f0f0f, v50
	v_and_b32_e32 v4, 0x3f00, v4
	v_add_nc_u16 v49, 0xe000, v49
	v_lshlrev_b16 v73, 8, v47
	v_and_or_b32 v71, 0x30303030, v72, v71
	v_and_or_b32 v48, 0x30303030, v48, v50
	v_and_b32_e32 v47, 0x3f00, v47
	v_or_b32_sdwa v4, v4, v49 dst_sel:DWORD dst_unused:UNUSED_PAD src0_sel:DWORD src1_sel:BYTE_1
	v_add_nc_u16 v49, 0xe000, v73
	v_lshrrev_b32_e32 v50, 16, v71
	v_lshrrev_b32_e32 v72, 16, v48
	v_lshlrev_b16 v117, 8, v48
	v_and_b32_e32 v73, 0x3f00, v71
	v_or_b32_sdwa v47, v47, v49 dst_sel:DWORD dst_unused:UNUSED_PAD src0_sel:DWORD src1_sel:BYTE_1
	v_lshlrev_b16 v49, 8, v50
	v_lshlrev_b16 v74, 8, v72
	v_and_b32_e32 v50, 0x3f00, v50
	v_and_b32_e32 v72, 0x3f00, v72
	v_lshlrev_b16 v71, 8, v71
	v_add_nc_u16 v49, 0xe000, v49
	v_add_nc_u16 v74, 0xe000, v74
	v_and_b32_e32 v48, 0x3f00, v48
	v_add_nc_u16 v47, 0xe000, v47
	v_add_nc_u16 v71, 0xe000, v71
	v_or_b32_sdwa v49, v50, v49 dst_sel:DWORD dst_unused:UNUSED_PAD src0_sel:DWORD src1_sel:BYTE_1
	v_add_nc_u16 v50, 0xe000, v117
	v_or_b32_sdwa v72, v72, v74 dst_sel:DWORD dst_unused:UNUSED_PAD src0_sel:DWORD src1_sel:BYTE_1
	;; [unrolled: 2-line block ×4, first 2 shown]
	v_add_nc_u16 v50, 0xe000, v72
	v_add_nc_u16 v4, 0xe000, v4
	v_lshlrev_b32_e32 v47, 16, v47
	v_lshlrev_b32_e32 v46, 16, v46
	v_add_nc_u16 v48, 0xe000, v48
	v_lshlrev_b32_e32 v50, 16, v50
	v_add_nc_u16 v71, 0xe000, v71
	v_lshlrev_b32_e32 v49, 16, v49
	v_or_b32_sdwa v4, v4, v47 dst_sel:DWORD dst_unused:UNUSED_PAD src0_sel:WORD_0 src1_sel:DWORD
	v_add_nc_u32_e32 v47, 0x6180, v68
	v_or_b32_sdwa v5, v5, v41 dst_sel:DWORD dst_unused:UNUSED_PAD src0_sel:WORD_0 src1_sel:DWORD
	v_or_b32_sdwa v41, v44, v46 dst_sel:DWORD dst_unused:UNUSED_PAD src0_sel:WORD_0 src1_sel:DWORD
	;; [unrolled: 1-line block ×3, first 2 shown]
	v_add_nc_u32_e32 v48, 0x69a0, v68
	v_or_b32_sdwa v44, v71, v49 dst_sel:DWORD dst_unused:UNUSED_PAD src0_sel:WORD_0 src1_sel:DWORD
	v_add_nc_u32_e32 v49, 0x71c0, v68
	v_add_nc_u32_e32 v50, 0x79e0, v68
	ds_write2_b32 v47, v45, v43 offset1:16
	ds_write2_b32 v48, v42, v5 offset1:16
	;; [unrolled: 1-line block ×4, first 2 shown]
	buffer_load_dword v0, off, s[20:23], 0 offset:64 ; 4-byte Folded Reload
	v_cvt_f32_f16_e32 v71, v142
	s_waitcnt vmcnt(0)
	ds_write_b32 v0, v71
	buffer_load_dword v0, off, s[20:23], 0 offset:72 ; 4-byte Folded Reload
	s_waitcnt vmcnt(0)
	ds_write_b32 v0, v143
	buffer_load_dword v0, off, s[20:23], 0 offset:80 ; 4-byte Folded Reload
	s_waitcnt vmcnt(0)
	ds_write_b32 v0, v144
	ds_write_b32 v106, v2
	;; [unrolled: 1-line block ×5, first 2 shown]
	v_cvt_f32_f16_e32 v2, v129
	ds_write_b32 v110, v120
	ds_write_b32 v111, v121
	;; [unrolled: 1-line block ×5, first 2 shown]
	s_waitcnt lgkmcnt(0)
	s_waitcnt_vscnt null, 0x0
	s_barrier
	buffer_gl0_inv
	ds_read_b32 v123, v91
	ds_read_b32 v124, v92 offset:128
	ds_read_b32 v125, v93 offset:256
	;; [unrolled: 1-line block ×3, first 2 shown]
	s_waitcnt lgkmcnt(3)
	v_mov_b32_e32 v127, v123
	s_waitcnt lgkmcnt(2)
	v_mov_b32_e32 v128, v124
	;; [unrolled: 2-line block ×4, first 2 shown]
.LBB155_6:                              ;   Parent Loop BB155_5 Depth=1
                                        ; =>  This Inner Loop Header: Depth=2
	v_lshlrev_b32_e32 v117, 2, v88
	s_lshl_b32 s14, s15, 1
	s_lshr_b32 s17, s15, 1
	s_lshl_b32 s16, s15, 3
	s_add_i32 s15, s17, 0xa200
	v_or_b32_e32 v118, s14, v51
	v_add3_u32 v2, s15, v117, v114
	v_add_nc_u32_e32 v119, s16, v102
	v_add_nc_u32_e32 v121, s16, v103
	;; [unrolled: 1-line block ×4, first 2 shown]
	v_lshlrev_b32_e32 v132, 2, v118
	ds_read_b32 v120, v2
	ds_read2_b32 v[43:44], v119 offset0:12 offset1:13
	ds_read2_b32 v[41:42], v119 offset0:14 offset1:15
	ds_read2_b32 v[45:46], v121 offset1:1
	ds_read_b128 v[133:136], v132 offset:33328
	ds_read_b128 v[169:172], v132 offset:33312
	ds_read2_b32 v[177:178], v121 offset0:12 offset1:13
	ds_read2_b32 v[183:184], v121 offset0:14 offset1:15
	;; [unrolled: 1-line block ×8, first 2 shown]
	v_or_b32_e32 v160, s14, v95
	v_mov_b32_e32 v131, 0
	v_mov_b32_e32 v149, 0
	;; [unrolled: 1-line block ×4, first 2 shown]
	v_lshlrev_b32_e32 v47, 2, v160
	ds_read2_b32 v[208:209], v200 offset0:14 offset1:15
	ds_read_b128 v[2:5], v47 offset:33280
	v_mov_b32_e32 v168, 0
	v_mov_b32_e32 v167, 0
	v_mov_b32_e32 v166, 0
	v_mov_b32_e32 v165, 0
	v_or_b32_e32 v142, s14, v96
	s_waitcnt lgkmcnt(11)
	v_dot4c_i32_i8 v131, v43, v133
	s_waitcnt lgkmcnt(9)
	v_dot4c_i32_i8 v149, v177, v133
	;; [unrolled: 2-line block ×4, first 2 shown]
	v_lshlrev_b32_e32 v48, 2, v142
	v_dot4c_i32_i8 v131, v44, v134
	v_dot4c_i32_i8 v149, v178, v134
	;; [unrolled: 1-line block ×4, first 2 shown]
	v_mov_b32_e32 v146, 0
	v_dot4c_i32_i8 v131, v41, v135
	v_dot4c_i32_i8 v149, v183, v135
	;; [unrolled: 1-line block ×3, first 2 shown]
	s_waitcnt lgkmcnt(1)
	v_dot4c_i32_i8 v151, v208, v135
	v_mov_b32_e32 v148, 0
	v_dot4c_i32_i8 v131, v42, v136
	v_dot4c_i32_i8 v149, v184, v136
	v_dot4c_i32_i8 v150, v192, v136
	v_dot4c_i32_i8 v151, v209, v136
	ds_read_b128 v[133:136], v47 offset:33328
	v_mov_b32_e32 v147, 0
	v_mov_b32_e32 v145, 0
	v_or_b32_e32 v157, s14, v97
	v_mov_b32_e32 v163, 0
	v_mov_b32_e32 v164, 0
	;; [unrolled: 1-line block ×4, first 2 shown]
	v_lshlrev_b32_e32 v202, 2, v157
	v_or_b32_e32 v137, s14, v98
	v_mov_b32_e32 v140, 0
	v_mov_b32_e32 v143, 0
	;; [unrolled: 1-line block ×4, first 2 shown]
	v_lshlrev_b32_e32 v49, 2, v137
	v_or_b32_e32 v152, s14, v99
	v_mov_b32_e32 v158, 0
	v_mov_b32_e32 v159, 0
	;; [unrolled: 1-line block ×4, first 2 shown]
	s_waitcnt lgkmcnt(0)
	v_dot4c_i32_i8 v168, v43, v133
	v_dot4c_i32_i8 v167, v177, v133
	;; [unrolled: 1-line block ×4, first 2 shown]
	v_lshlrev_b32_e32 v203, 2, v152
	v_dot4c_i32_i8 v168, v44, v134
	v_dot4c_i32_i8 v167, v178, v134
	;; [unrolled: 1-line block ×4, first 2 shown]
	v_mov_b32_e32 v138, 0
	v_dot4c_i32_i8 v168, v41, v135
	v_dot4c_i32_i8 v167, v183, v135
	;; [unrolled: 1-line block ×4, first 2 shown]
	v_or_b32_e32 v144, s14, v101
	v_dot4c_i32_i8 v168, v42, v136
	v_dot4c_i32_i8 v167, v184, v136
	;; [unrolled: 1-line block ×4, first 2 shown]
	ds_read_b128 v[133:136], v48 offset:33328
	ds_read_b128 v[179:182], v48 offset:33312
	v_lshlrev_b32_e32 v196, 2, v144
	v_mov_b32_e32 v153, 0
	v_mov_b32_e32 v154, 0
	;; [unrolled: 1-line block ×17, first 2 shown]
	s_waitcnt lgkmcnt(1)
	v_dot4c_i32_i8 v146, v43, v133
	v_dot4c_i32_i8 v148, v177, v133
	v_dot4c_i32_i8 v147, v185, v133
	v_dot4c_i32_i8 v145, v193, v133
	v_mov_b32_e32 v52, 0
	v_dot4c_i32_i8 v146, v44, v134
	v_dot4c_i32_i8 v148, v178, v134
	v_dot4c_i32_i8 v147, v186, v134
	v_dot4c_i32_i8 v145, v194, v134
	v_mov_b32_e32 v53, 0
	;; [unrolled: 5-line block ×3, first 2 shown]
	v_dot4c_i32_i8 v146, v42, v136
	v_dot4c_i32_i8 v148, v184, v136
	;; [unrolled: 1-line block ×4, first 2 shown]
	ds_read_b128 v[133:136], v202 offset:33328
	v_mov_b32_e32 v55, 0
	v_mov_b32_e32 v57, 0
	;; [unrolled: 1-line block ×7, first 2 shown]
	s_and_b32 vcc_lo, exec_lo, s1
	s_mov_b32 s1, 0
	s_waitcnt lgkmcnt(0)
	v_dot4c_i32_i8 v163, v43, v133
	v_dot4c_i32_i8 v164, v177, v133
	;; [unrolled: 1-line block ×16, first 2 shown]
	ds_read_b128 v[133:136], v49 offset:33328
	ds_read_b128 v[187:190], v49 offset:33312
	s_waitcnt lgkmcnt(1)
	v_dot4c_i32_i8 v140, v43, v133
	v_dot4c_i32_i8 v143, v177, v133
	;; [unrolled: 1-line block ×16, first 2 shown]
	ds_read_b128 v[133:136], v203 offset:33328
	s_waitcnt lgkmcnt(0)
	v_dot4c_i32_i8 v158, v43, v133
	v_dot4c_i32_i8 v159, v177, v133
	;; [unrolled: 1-line block ×4, first 2 shown]
	v_or_b32_e32 v133, s14, v100
	v_dot4c_i32_i8 v158, v44, v134
	v_dot4c_i32_i8 v159, v178, v134
	;; [unrolled: 1-line block ×4, first 2 shown]
	v_lshlrev_b32_e32 v50, 2, v133
	ds_read_b128 v[173:176], v50 offset:33328
	ds_read_b128 v[204:207], v50 offset:33312
	v_dot4c_i32_i8 v158, v41, v135
	v_dot4c_i32_i8 v159, v183, v135
	;; [unrolled: 1-line block ×4, first 2 shown]
	v_mov_b32_e32 v135, 0
	v_dot4c_i32_i8 v158, v42, v136
	v_dot4c_i32_i8 v159, v184, v136
	;; [unrolled: 1-line block ×4, first 2 shown]
	v_mov_b32_e32 v136, 0
	v_mov_b32_e32 v134, 0
	s_waitcnt lgkmcnt(1)
	v_dot4c_i32_i8 v135, v43, v173
	v_dot4c_i32_i8 v138, v177, v173
	v_dot4c_i32_i8 v136, v185, v173
	v_dot4c_i32_i8 v134, v193, v173
	v_dot4c_i32_i8 v135, v44, v174
	v_dot4c_i32_i8 v138, v178, v174
	v_dot4c_i32_i8 v136, v186, v174
	v_dot4c_i32_i8 v134, v194, v174
	v_dot4c_i32_i8 v135, v41, v175
	v_dot4c_i32_i8 v138, v183, v175
	v_dot4c_i32_i8 v136, v191, v175
	v_dot4c_i32_i8 v134, v208, v175
	v_dot4c_i32_i8 v135, v42, v176
	v_dot4c_i32_i8 v138, v184, v176
	v_dot4c_i32_i8 v136, v192, v176
	v_dot4c_i32_i8 v134, v209, v176
	ds_read_b128 v[173:176], v196 offset:33328
	ds_read2_b32 v[230:231], v119 offset0:8 offset1:9
	ds_read2_b32 v[232:233], v119 offset0:10 offset1:11
	;; [unrolled: 1-line block ×8, first 2 shown]
	s_waitcnt lgkmcnt(8)
	v_dot4c_i32_i8 v153, v43, v173
	v_dot4c_i32_i8 v154, v177, v173
	v_mov_b32_e32 v43, 0
	v_mov_b32_e32 v177, 0
	v_dot4c_i32_i8 v153, v44, v174
	v_dot4c_i32_i8 v154, v178, v174
	v_mov_b32_e32 v44, 0
	v_dot4c_i32_i8 v43, v193, v173
	v_mov_b32_e32 v193, 0
	v_dot4c_i32_i8 v153, v41, v175
	v_dot4c_i32_i8 v154, v183, v175
	;; [unrolled: 1-line block ×3, first 2 shown]
	v_mov_b32_e32 v183, 0
	v_mov_b32_e32 v185, 0
	v_dot4c_i32_i8 v43, v194, v174
	v_dot4c_i32_i8 v154, v184, v176
	v_dot4c_i32_i8 v44, v186, v174
	v_mov_b32_e32 v186, 0
	v_mov_b32_e32 v184, 0
	s_waitcnt lgkmcnt(7)
	v_dot4c_i32_i8 v183, v230, v169
	s_waitcnt lgkmcnt(4)
	v_dot4c_i32_i8 v185, v236, v169
	v_dot4c_i32_i8 v43, v208, v175
	s_waitcnt lgkmcnt(2)
	v_dot4c_i32_i8 v186, v240, v169
	s_waitcnt lgkmcnt(1)
	v_dot4c_i32_i8 v184, v242, v169
	v_dot4c_i32_i8 v183, v231, v170
	;; [unrolled: 1-line block ×16, first 2 shown]
	ds_read_b128 v[169:172], v47 offset:33312
	ds_read_b128 v[208:211], v47 offset:33296
	v_mov_b32_e32 v194, 0
	v_mov_b32_e32 v192, 0
	;; [unrolled: 1-line block ×3, first 2 shown]
	v_dot4c_i32_i8 v153, v42, v176
	v_mov_b32_e32 v178, 0
	v_mov_b32_e32 v176, 0
	;; [unrolled: 1-line block ×3, first 2 shown]
	v_dot4c_i32_i8 v177, v236, v179
	v_mov_b32_e32 v174, 0
	v_dot4c_i32_i8 v178, v230, v179
	v_dot4c_i32_i8 v176, v240, v179
	;; [unrolled: 1-line block ×4, first 2 shown]
	v_mov_b32_e32 v173, 0
	v_dot4c_i32_i8 v178, v231, v180
	v_dot4c_i32_i8 v176, v241, v180
	;; [unrolled: 1-line block ×4, first 2 shown]
	s_waitcnt lgkmcnt(1)
	v_dot4c_i32_i8 v201, v230, v169
	v_dot4c_i32_i8 v199, v236, v169
	;; [unrolled: 1-line block ×19, first 2 shown]
	ds_read_b128 v[169:172], v202 offset:33312
	ds_read_b128 v[212:215], v202 offset:33296
	v_dot4c_i32_i8 v174, v230, v187
	v_dot4c_i32_i8 v173, v236, v187
	;; [unrolled: 1-line block ×6, first 2 shown]
	ds_read_b128 v[179:182], v203 offset:33312
	ds_read_b128 v[216:219], v203 offset:33296
	v_mov_b32_e32 v42, 0
	v_mov_b32_e32 v41, 0
	v_dot4c_i32_i8 v174, v231, v188
	v_dot4c_i32_i8 v173, v237, v188
	v_mov_b32_e32 v47, 0
	v_dot4c_i32_i8 v42, v240, v204
	v_dot4c_i32_i8 v41, v242, v204
	;; [unrolled: 1-line block ×5, first 2 shown]
	s_waitcnt lgkmcnt(3)
	v_dot4c_i32_i8 v193, v230, v169
	v_dot4c_i32_i8 v194, v236, v169
	v_dot4c_i32_i8 v192, v240, v169
	v_dot4c_i32_i8 v191, v242, v169
	v_mov_b32_e32 v169, 0
	v_dot4c_i32_i8 v193, v231, v170
	v_dot4c_i32_i8 v194, v237, v170
	v_dot4c_i32_i8 v192, v241, v170
	v_dot4c_i32_i8 v191, v243, v170
	v_mov_b32_e32 v170, 0
	;; [unrolled: 5-line block ×4, first 2 shown]
	v_dot4c_i32_i8 v171, v242, v187
	v_dot4c_i32_i8 v170, v230, v204
	;; [unrolled: 1-line block ×12, first 2 shown]
	v_mov_b32_e32 v188, 0
	v_mov_b32_e32 v187, 0
	v_dot4c_i32_i8 v172, v226, v189
	v_dot4c_i32_i8 v171, v229, v190
	v_mov_b32_e32 v189, 0
	v_dot4c_i32_i8 v170, v232, v206
	v_dot4c_i32_i8 v169, v224, v206
	;; [unrolled: 1-line block ×3, first 2 shown]
	v_mov_b32_e32 v190, 0
	v_dot4c_i32_i8 v42, v226, v206
	v_dot4c_i32_i8 v41, v228, v206
	s_waitcnt lgkmcnt(1)
	v_dot4c_i32_i8 v189, v230, v179
	v_dot4c_i32_i8 v188, v240, v179
	;; [unrolled: 1-line block ×8, first 2 shown]
	ds_read_b128 v[204:207], v196 offset:33312
	ds_read_b128 v[220:223], v196 offset:33296
	v_dot4c_i32_i8 v189, v231, v180
	v_dot4c_i32_i8 v190, v237, v180
	v_dot4c_i32_i8 v188, v241, v180
	v_dot4c_i32_i8 v187, v243, v180
	v_mov_b32_e32 v180, 0
	v_dot4c_i32_i8 v189, v232, v181
	v_dot4c_i32_i8 v190, v224, v181
	v_dot4c_i32_i8 v188, v226, v181
	v_dot4c_i32_i8 v187, v228, v181
	v_mov_b32_e32 v181, 0
	;; [unrolled: 5-line block ×3, first 2 shown]
	v_mov_b32_e32 v179, 0
	s_waitcnt lgkmcnt(1)
	v_dot4c_i32_i8 v180, v230, v204
	v_dot4c_i32_i8 v182, v236, v204
	;; [unrolled: 1-line block ×16, first 2 shown]
	ds_read2_b32 v[232:233], v119 offset0:4 offset1:5
	ds_read_b128 v[204:207], v132 offset:33296
	ds_read_b128 v[224:227], v132 offset:33280
	ds_read2_b32 v[236:237], v121 offset0:4 offset1:5
	ds_read2_b32 v[240:241], v121 offset0:2 offset1:3
	;; [unrolled: 1-line block ×7, first 2 shown]
	v_mov_b32_e32 v121, 0
	v_mov_b32_e32 v132, 0
	s_waitcnt lgkmcnt(9)
	v_dot4c_i32_i8 v74, v232, v208
	s_waitcnt lgkmcnt(8)
	v_dot4c_i32_i8 v47, v232, v204
	;; [unrolled: 2-line block ×5, first 2 shown]
	v_dot4c_i32_i8 v121, v236, v208
	v_dot4c_i32_i8 v254, v242, v208
	;; [unrolled: 1-line block ×27, first 2 shown]
	ds_read_b128 v[204:207], v48 offset:33296
	ds_read_b128 v[208:211], v48 offset:33280
	v_mov_b32_e32 v48, 0
	v_dot4c_i32_i8 v67, v232, v212
	v_dot4c_i32_i8 v0, v236, v212
	;; [unrolled: 1-line block ×17, first 2 shown]
	s_waitcnt lgkmcnt(1)
	v_dot4c_i32_i8 v75, v232, v204
	v_dot4c_i32_i8 v48, v236, v204
	;; [unrolled: 1-line block ×19, first 2 shown]
	ds_read_b128 v[204:207], v49 offset:33296
	ds_read_b128 v[212:215], v49 offset:33280
	v_mov_b32_e32 v49, 0
	v_dot4c_i32_i8 v59, v243, v217
	v_dot4c_i32_i8 v60, v251, v217
	;; [unrolled: 1-line block ×11, first 2 shown]
	s_waitcnt lgkmcnt(1)
	v_dot4c_i32_i8 v54, v232, v204
	v_dot4c_i32_i8 v49, v236, v204
	;; [unrolled: 1-line block ×4, first 2 shown]
	v_mov_b32_e32 v204, 0
	v_dot4c_i32_i8 v54, v233, v205
	v_dot4c_i32_i8 v49, v237, v205
	v_dot4c_i32_i8 v55, v243, v205
	v_dot4c_i32_i8 v57, v251, v205
	v_dot4c_i32_i8 v63, v235, v223
	v_dot4c_i32_i8 v54, v234, v206
	v_dot4c_i32_i8 v49, v238, v206
	v_dot4c_i32_i8 v55, v246, v206
	v_dot4c_i32_i8 v57, v244, v206
	v_dot4c_i32_i8 v54, v235, v207
	v_dot4c_i32_i8 v49, v239, v207
	v_dot4c_i32_i8 v55, v247, v207
	v_dot4c_i32_i8 v57, v245, v207
	v_mov_b32_e32 v207, 0
	v_dot4c_i32_i8 v207, v232, v216
	v_dot4c_i32_i8 v207, v233, v217
	v_dot4c_i32_i8 v207, v234, v218
	v_dot4c_i32_i8 v207, v235, v219
	ds_read_b128 v[216:219], v50 offset:33296
	ds_read_b128 v[228:231], v50 offset:33280
	v_mov_b32_e32 v50, 0
	ds_read2_b32 v[205:206], v119 offset1:1
	s_waitcnt lgkmcnt(2)
	v_dot4c_i32_i8 v61, v232, v216
	v_dot4c_i32_i8 v50, v236, v216
	;; [unrolled: 1-line block ×4, first 2 shown]
	v_mov_b32_e32 v232, 0
	v_dot4c_i32_i8 v61, v233, v217
	v_dot4c_i32_i8 v50, v237, v217
	;; [unrolled: 1-line block ×9, first 2 shown]
	v_mov_b32_e32 v233, 0
	v_mov_b32_e32 v236, 0
	v_dot4c_i32_i8 v61, v235, v219
	v_dot4c_i32_i8 v50, v239, v219
	;; [unrolled: 1-line block ×6, first 2 shown]
	ds_read2_b32 v[216:217], v198 offset1:1
	ds_read2_b32 v[218:219], v200 offset1:1
	v_dot4c_i32_i8 v232, v237, v221
	v_dot4c_i32_i8 v233, v243, v221
	;; [unrolled: 1-line block ×3, first 2 shown]
	v_mov_b32_e32 v234, 0
	v_mov_b32_e32 v235, 0
	v_dot4c_i32_i8 v232, v238, v222
	v_dot4c_i32_i8 v233, v246, v222
	;; [unrolled: 1-line block ×3, first 2 shown]
	v_mov_b32_e32 v222, 0
	ds_read2_b32 v[220:221], v119 offset0:2 offset1:3
	v_dot4c_i32_i8 v232, v239, v223
	v_dot4c_i32_i8 v233, v247, v223
	;; [unrolled: 1-line block ×3, first 2 shown]
	v_mov_b32_e32 v223, 0
	s_waitcnt lgkmcnt(3)
	v_dot4c_i32_i8 v222, v205, v224
	v_mov_b32_e32 v198, 0
	v_mov_b32_e32 v200, 0
	;; [unrolled: 1-line block ×3, first 2 shown]
	v_dot4c_i32_i8 v223, v45, v224
	s_waitcnt lgkmcnt(2)
	v_dot4c_i32_i8 v234, v216, v224
	s_waitcnt lgkmcnt(1)
	v_dot4c_i32_i8 v235, v218, v224
	v_dot4c_i32_i8 v222, v206, v225
	v_mov_b32_e32 v224, 0
	v_dot4c_i32_i8 v223, v46, v225
	v_dot4c_i32_i8 v234, v217, v225
	;; [unrolled: 1-line block ×3, first 2 shown]
	v_mov_b32_e32 v225, 0
	v_dot4c_i32_i8 v198, v205, v2
	v_dot4c_i32_i8 v200, v45, v2
	;; [unrolled: 1-line block ×3, first 2 shown]
	s_waitcnt lgkmcnt(0)
	v_dot4c_i32_i8 v222, v220, v226
	v_dot4c_i32_i8 v225, v218, v2
	v_dot4c_i32_i8 v223, v240, v226
	v_dot4c_i32_i8 v234, v248, v226
	v_dot4c_i32_i8 v235, v252, v226
	v_dot4c_i32_i8 v198, v206, v3
	v_dot4c_i32_i8 v200, v46, v3
	v_dot4c_i32_i8 v224, v217, v3
	v_dot4c_i32_i8 v225, v219, v3
	v_dot4c_i32_i8 v222, v221, v227
	v_dot4c_i32_i8 v223, v241, v227
	v_dot4c_i32_i8 v234, v249, v227
	v_dot4c_i32_i8 v235, v253, v227
	v_dot4c_i32_i8 v198, v220, v4
	v_dot4c_i32_i8 v200, v240, v4
	v_dot4c_i32_i8 v224, v248, v4
	v_dot4c_i32_i8 v225, v252, v4
	v_mov_b32_e32 v226, 0
	v_mov_b32_e32 v227, 0
	;; [unrolled: 1-line block ×3, first 2 shown]
	v_dot4c_i32_i8 v198, v221, v5
	v_dot4c_i32_i8 v200, v241, v5
	;; [unrolled: 1-line block ×8, first 2 shown]
	ds_read_b128 v[2:5], v202 offset:33280
	v_dot4c_i32_i8 v226, v206, v209
	v_dot4c_i32_i8 v227, v46, v209
	v_dot4c_i32_i8 v237, v217, v209
	v_dot4c_i32_i8 v238, v219, v209
	v_mov_b32_e32 v208, 0
	v_dot4c_i32_i8 v226, v220, v210
	v_dot4c_i32_i8 v227, v240, v210
	v_dot4c_i32_i8 v237, v248, v210
	v_dot4c_i32_i8 v238, v252, v210
	v_mov_b32_e32 v209, 0
	;; [unrolled: 5-line block ×3, first 2 shown]
	v_mov_b32_e32 v211, 0
	v_mov_b32_e32 v239, 0
	;; [unrolled: 1-line block ×4, first 2 shown]
	s_waitcnt lgkmcnt(0)
	v_dot4c_i32_i8 v208, v205, v2
	v_dot4c_i32_i8 v209, v45, v2
	;; [unrolled: 1-line block ×4, first 2 shown]
	v_mov_b32_e32 v244, 0
	v_dot4c_i32_i8 v208, v206, v3
	v_dot4c_i32_i8 v209, v46, v3
	;; [unrolled: 1-line block ×14, first 2 shown]
	ds_read_b128 v[2:5], v203 offset:33280
	v_dot4c_i32_i8 v243, v216, v212
	v_dot4c_i32_i8 v244, v218, v212
	;; [unrolled: 1-line block ×4, first 2 shown]
	v_mov_b32_e32 v212, 0
	v_dot4c_i32_i8 v243, v217, v213
	v_dot4c_i32_i8 v244, v219, v213
	;; [unrolled: 1-line block ×4, first 2 shown]
	v_mov_b32_e32 v203, 0
	v_dot4c_i32_i8 v243, v248, v214
	v_dot4c_i32_i8 v244, v252, v214
	v_mov_b32_e32 v213, 0
	v_mov_b32_e32 v214, 0
	v_dot4c_i32_i8 v239, v221, v215
	v_dot4c_i32_i8 v242, v241, v215
	;; [unrolled: 1-line block ×4, first 2 shown]
	v_mov_b32_e32 v215, 0
	s_waitcnt lgkmcnt(0)
	v_dot4c_i32_i8 v212, v205, v2
	v_dot4c_i32_i8 v203, v45, v2
	v_dot4c_i32_i8 v213, v216, v2
	v_dot4c_i32_i8 v214, v218, v2
	v_mov_b32_e32 v245, 0
	v_dot4c_i32_i8 v212, v206, v3
	v_dot4c_i32_i8 v203, v46, v3
	v_dot4c_i32_i8 v213, v217, v3
	v_dot4c_i32_i8 v214, v219, v3
	v_mov_b32_e32 v246, 0
	;; [unrolled: 5-line block ×3, first 2 shown]
	v_dot4c_i32_i8 v212, v221, v5
	v_dot4c_i32_i8 v203, v241, v5
	;; [unrolled: 1-line block ×4, first 2 shown]
	ds_read_b128 v[2:5], v196 offset:33280
	v_dot4c_i32_i8 v215, v205, v228
	v_dot4c_i32_i8 v245, v45, v228
	;; [unrolled: 1-line block ×4, first 2 shown]
	v_mov_b32_e32 v228, 0
	v_dot4c_i32_i8 v215, v206, v229
	v_lshlrev_b32_e32 v119, 2, v76
	v_dot4c_i32_i8 v246, v217, v229
	v_dot4c_i32_i8 v247, v219, v229
	;; [unrolled: 1-line block ×4, first 2 shown]
	v_ashrrev_i32_e32 v229, 24, v120
	v_dot4c_i32_i8 v246, v248, v230
	v_dot4c_i32_i8 v247, v252, v230
	v_dot4c_i32_i8 v245, v240, v230
	v_dot4c_i32_i8 v215, v221, v231
	v_bfe_i32 v230, v120, 16, 8
	v_dot4c_i32_i8 v246, v249, v231
	v_dot4c_i32_i8 v247, v253, v231
	s_waitcnt lgkmcnt(0)
	v_dot4c_i32_i8 v228, v205, v2
	v_mov_b32_e32 v205, 0
	v_dot4c_i32_i8 v245, v241, v231
	v_dot4c_i32_i8 v228, v206, v3
	v_mov_b32_e32 v206, 0
	v_dot4c_i32_i8 v205, v45, v2
	v_dot4c_i32_i8 v228, v220, v4
	;; [unrolled: 1-line block ×3, first 2 shown]
	v_mov_b32_e32 v216, 0
	v_dot4c_i32_i8 v205, v46, v3
	v_bfe_i32 v220, v120, 8, 8
	v_dot4c_i32_i8 v228, v221, v5
	v_dot4c_i32_i8 v206, v217, v3
	;; [unrolled: 1-line block ×3, first 2 shown]
	v_lshrrev_b32_e32 v2, 1, v118
	v_lshlrev_b32_e32 v118, 2, v79
	v_dot4c_i32_i8 v205, v240, v4
	v_dot4c_i32_i8 v206, v248, v4
	;; [unrolled: 1-line block ×3, first 2 shown]
	v_bfe_i32 v221, v120, 0, 8
	v_add3_u32 v3, s15, v118, v119
	ds_read_b32 v45, v3
	ds_read_b64 v[2:3], v2 offset:43584
	v_dot4c_i32_i8 v216, v252, v4
	v_dot4c_i32_i8 v205, v241, v5
	;; [unrolled: 1-line block ×3, first 2 shown]
	v_lshlrev_b32_e32 v120, 2, v89
	v_dot4c_i32_i8 v216, v253, v5
	s_waitcnt lgkmcnt(1)
	v_bfe_i32 v217, v45, 8, 8
	v_bfe_i32 v218, v45, 0, 8
	v_bfe_i32 v219, v45, 16, 8
	v_mul_lo_u32 v4, v74, v217
	v_ashrrev_i32_e32 v74, 24, v45
	v_mad_u64_u32 v[4:5], null, v198, v218, v[4:5]
	v_mul_lo_u32 v5, v168, v74
	v_mad_u64_u32 v[45:46], null, v201, v219, v[5:6]
	v_mul_lo_u32 v5, v121, v220
	v_lshlrev_b32_e32 v121, 2, v90
	v_cvt_f32_i32_e32 v45, v45
	v_mad_u64_u32 v[200:201], null, v200, v221, v[5:6]
	v_mul_lo_u32 v5, v167, v229
	v_mad_u64_u32 v[167:168], null, v199, v230, v[5:6]
	v_add3_u32 v5, s15, v120, v115
	ds_read_b32 v46, v5
	v_cvt_f32_i32_e32 v167, v167
	s_waitcnt lgkmcnt(0)
	v_bfe_i32 v231, v46, 8, 8
	v_bfe_i32 v240, v46, 0, 8
	v_mul_lo_u32 v5, v254, v231
	v_mad_u64_u32 v[198:199], null, v224, v240, v[5:6]
	v_ashrrev_i32_e32 v199, 24, v46
	v_bfe_i32 v224, v46, 16, 8
	v_mul_lo_u32 v5, v166, v199
	v_cvt_f32_i32_e32 v168, v198
	v_mad_u64_u32 v[196:197], null, v197, v224, v[5:6]
	v_add3_u32 v5, s15, v121, v116
	s_mov_b32 s15, 8
	ds_read_b32 v46, v5
	s_waitcnt lgkmcnt(0)
	v_bfe_i32 v197, v46, 8, 8
	v_bfe_i32 v241, v46, 0, 8
	v_mul_lo_u32 v5, v255, v197
	v_mad_u64_u32 v[201:202], null, v225, v241, v[5:6]
	v_ashrrev_i32_e32 v202, 24, v46
	v_bfe_i32 v225, v46, 16, 8
	v_cvt_f32_i32_e32 v46, v4
	v_lshrrev_b32_e32 v4, 1, v160
	v_mul_lo_u32 v5, v165, v202
	v_mad_u64_u32 v[165:166], null, v195, v225, v[5:6]
	ds_read_b64 v[4:5], v4 offset:43584
	v_cvt_f32_i32_e32 v166, v200
	v_cvt_f32_i32_e32 v195, v196
	;; [unrolled: 1-line block ×4, first 2 shown]
	s_waitcnt lgkmcnt(0)
	v_fma_f32 v201, v4, v168, 0
	v_fma_f32 v198, v4, v46, 0
	v_fma_f32 v200, v4, v166, 0
	v_fmac_f32_e32 v201, v5, v195
	v_fma_f32 v195, v4, v196, 0
	v_mul_lo_u32 v4, v222, v218
	v_fmac_f32_e32 v198, v5, v45
	v_fmac_f32_e32 v200, v5, v167
	;; [unrolled: 1-line block ×5, first 2 shown]
	v_mad_u64_u32 v[4:5], null, v47, v217, v[4:5]
	v_mul_lo_u32 v5, v183, v219
	v_fmac_f32_e32 v39, v126, v195
	v_cvt_f32_i32_e32 v4, v4
	v_mad_u64_u32 v[45:46], null, v131, v74, v[5:6]
	v_mul_lo_u32 v5, v223, v221
	v_mad_u64_u32 v[165:166], null, v71, v220, v[5:6]
	v_mul_lo_u32 v5, v185, v230
	;; [unrolled: 2-line block ×3, first 2 shown]
	v_cvt_f32_i32_e32 v46, v166
	v_mad_u64_u32 v[167:168], null, v72, v231, v[5:6]
	v_mul_lo_u32 v5, v186, v224
	v_cvt_f32_i32_e32 v47, v167
	v_mad_u64_u32 v[149:150], null, v150, v199, v[5:6]
	v_mul_lo_u32 v5, v235, v241
	v_fma_f32 v47, v2, v47, 0
	v_cvt_f32_i32_e32 v71, v149
	v_mad_u64_u32 v[185:186], null, v73, v197, v[5:6]
	v_mul_lo_u32 v5, v184, v225
	v_fmac_f32_e32 v47, v3, v71
	v_cvt_f32_i32_e32 v72, v185
	v_fma_f32 v36, v129, v47, v36
	v_mad_u64_u32 v[150:151], null, v151, v202, v[5:6]
	v_cvt_f32_i32_e32 v5, v45
	v_cvt_f32_i32_e32 v45, v165
	v_fma_f32 v165, v2, v4, 0
	v_fma_f32 v71, v2, v72, 0
	;; [unrolled: 1-line block ×3, first 2 shown]
	v_mul_lo_u32 v2, v67, v217
	v_cvt_f32_i32_e32 v73, v150
	v_fmac_f32_e32 v165, v3, v5
	v_fmac_f32_e32 v166, v3, v46
	;; [unrolled: 1-line block ×3, first 2 shown]
	v_fma_f32 v7, v127, v165, v7
	v_mad_u64_u32 v[2:3], null, v208, v218, v[2:3]
	v_mul_lo_u32 v3, v163, v74
	v_fma_f32 v38, v128, v166, v38
	v_fma_f32 v40, v130, v71, v40
	v_mad_u64_u32 v[3:4], null, v193, v219, v[3:4]
	v_mul_lo_u32 v4, v0, v220
	v_cvt_f32_i32_e32 v0, v2
	v_lshrrev_b32_e32 v2, 1, v157
	v_mad_u64_u32 v[4:5], null, v209, v221, v[4:5]
	v_mul_lo_u32 v5, v164, v229
	v_cvt_f32_i32_e32 v4, v4
	v_mad_u64_u32 v[45:46], null, v194, v230, v[5:6]
	v_mul_lo_u32 v5, v52, v231
	v_cvt_f32_i32_e32 v45, v45
	;; [unrolled: 3-line block ×5, first 2 shown]
	v_mad_u64_u32 v[160:161], null, v191, v225, v[5:6]
	v_cvt_f32_i32_e32 v5, v3
	ds_read_b64 v[2:3], v2 offset:43584
	v_cvt_f32_i32_e32 v67, v160
	s_waitcnt lgkmcnt(0)
	v_fma_f32 v73, v2, v46, 0
	v_fma_f32 v0, v2, v0, 0
	;; [unrolled: 1-line block ×3, first 2 shown]
	v_fmac_f32_e32 v73, v3, v52
	v_fma_f32 v52, v2, v53, 0
	v_mul_lo_u32 v2, v226, v218
	v_fmac_f32_e32 v0, v3, v5
	v_fmac_f32_e32 v72, v3, v45
	;; [unrolled: 1-line block ×6, first 2 shown]
	v_mad_u64_u32 v[2:3], null, v75, v217, v[2:3]
	v_mul_lo_u32 v3, v178, v219
	v_fmac_f32_e32 v29, v126, v52
	v_mad_u64_u32 v[3:4], null, v146, v74, v[3:4]
	v_mul_lo_u32 v4, v227, v221
	v_mad_u64_u32 v[4:5], null, v48, v220, v[4:5]
	v_mul_lo_u32 v5, v177, v230
	v_cvt_f32_i32_e32 v4, v4
	v_mad_u64_u32 v[45:46], null, v148, v229, v[5:6]
	v_mul_lo_u32 v5, v237, v240
	v_cvt_f32_i32_e32 v45, v45
	;; [unrolled: 3-line block ×5, first 2 shown]
	v_cvt_f32_i32_e32 v53, v149
	v_mad_u64_u32 v[150:151], null, v145, v202, v[5:6]
	v_cvt_f32_i32_e32 v5, v2
	v_lshrrev_b32_e32 v2, 1, v142
	ds_read_b64 v[2:3], v2 offset:43584
	v_cvt_f32_i32_e32 v67, v150
	s_waitcnt lgkmcnt(0)
	v_fma_f32 v75, v2, v5, 0
	v_fma_f32 v77, v2, v46, 0
	v_fmac_f32_e32 v75, v3, v8
	v_fma_f32 v8, v2, v4, 0
	v_fmac_f32_e32 v77, v3, v48
	v_fma_f32 v48, v2, v53, 0
	v_mul_lo_u32 v2, v207, v217
	v_fma_f32 v32, v127, v75, v32
	v_fmac_f32_e32 v8, v3, v45
	v_fma_f32 v28, v129, v77, v28
	v_fmac_f32_e32 v48, v3, v67
	v_fma_f32 v34, v128, v8, v34
	v_mad_u64_u32 v[2:3], null, v212, v218, v[2:3]
	v_mul_lo_u32 v3, v158, v74
	v_fma_f32 v30, v130, v48, v30
	v_mad_u64_u32 v[3:4], null, v189, v219, v[3:4]
	v_mul_lo_u32 v4, v58, v220
	v_mad_u64_u32 v[4:5], null, v203, v221, v[4:5]
	v_mul_lo_u32 v5, v159, v229
	v_cvt_f32_i32_e32 v4, v4
	v_mad_u64_u32 v[45:46], null, v190, v230, v[5:6]
	v_mul_lo_u32 v5, v59, v231
	v_cvt_f32_i32_e32 v46, v3
	v_cvt_f32_i32_e32 v45, v45
	v_mad_u64_u32 v[145:146], null, v213, v240, v[5:6]
	v_mul_lo_u32 v5, v156, v199
	v_cvt_f32_i32_e32 v53, v145
	v_mad_u64_u32 v[146:147], null, v188, v224, v[5:6]
	v_mul_lo_u32 v5, v60, v197
	;; [unrolled: 3-line block ×3, first 2 shown]
	v_cvt_f32_i32_e32 v59, v147
	v_mad_u64_u32 v[148:149], null, v187, v225, v[5:6]
	v_cvt_f32_i32_e32 v5, v2
	v_lshrrev_b32_e32 v2, 1, v152
	ds_read_b64 v[2:3], v2 offset:43584
	v_cvt_f32_i32_e32 v60, v148
	s_waitcnt lgkmcnt(0)
	v_fma_f32 v53, v2, v53, 0
	v_fma_f32 v67, v2, v5, 0
	;; [unrolled: 1-line block ×3, first 2 shown]
	v_fmac_f32_e32 v53, v3, v58
	v_fma_f32 v58, v2, v59, 0
	v_mul_lo_u32 v2, v239, v218
	v_fmac_f32_e32 v67, v3, v46
	v_fmac_f32_e32 v148, v3, v45
	;; [unrolled: 1-line block ×6, first 2 shown]
	v_mad_u64_u32 v[2:3], null, v54, v217, v[2:3]
	v_mul_lo_u32 v3, v174, v219
	v_fmac_f32_e32 v17, v126, v58
	v_mad_u64_u32 v[3:4], null, v140, v74, v[3:4]
	v_mul_lo_u32 v4, v242, v221
	v_mad_u64_u32 v[4:5], null, v49, v220, v[4:5]
	v_mul_lo_u32 v5, v173, v230
	v_cvt_f32_i32_e32 v4, v4
	v_mad_u64_u32 v[45:46], null, v143, v229, v[5:6]
	v_mul_lo_u32 v5, v243, v240
	v_cvt_f32_i32_e32 v46, v3
	v_cvt_f32_i32_e32 v45, v45
	v_mad_u64_u32 v[142:143], null, v55, v231, v[5:6]
	v_mul_lo_u32 v5, v172, v224
	v_cvt_f32_i32_e32 v49, v142
	v_mad_u64_u32 v[140:141], null, v141, v199, v[5:6]
	v_mul_lo_u32 v5, v244, v241
	;; [unrolled: 3-line block ×3, first 2 shown]
	v_cvt_f32_i32_e32 v55, v145
	v_mad_u64_u32 v[146:147], null, v139, v202, v[5:6]
	v_cvt_f32_i32_e32 v5, v2
	v_lshrrev_b32_e32 v2, 1, v137
	ds_read_b64 v[2:3], v2 offset:43584
	v_cvt_f32_i32_e32 v57, v146
	s_waitcnt lgkmcnt(0)
	v_fma_f32 v49, v2, v49, 0
	v_fma_f32 v59, v2, v5, 0
	;; [unrolled: 1-line block ×3, first 2 shown]
	v_fmac_f32_e32 v49, v3, v54
	v_fma_f32 v54, v2, v55, 0
	v_mul_lo_u32 v2, v63, v217
	v_fmac_f32_e32 v59, v3, v46
	v_fmac_f32_e32 v60, v3, v45
	v_fma_f32 v24, v129, v49, v24
	v_fmac_f32_e32 v54, v3, v57
	v_fma_f32 v20, v127, v59, v20
	v_fma_f32 v22, v128, v60, v22
	v_mad_u64_u32 v[2:3], null, v228, v218, v[2:3]
	v_mul_lo_u32 v3, v153, v74
	v_fma_f32 v18, v130, v54, v18
	v_mad_u64_u32 v[3:4], null, v180, v219, v[3:4]
	v_mul_lo_u32 v4, v232, v220
	v_mad_u64_u32 v[4:5], null, v205, v221, v[4:5]
	v_mul_lo_u32 v5, v154, v229
	v_cvt_f32_i32_e32 v4, v4
	v_mad_u64_u32 v[45:46], null, v182, v230, v[5:6]
	v_mul_lo_u32 v5, v233, v231
	v_cvt_f32_i32_e32 v45, v45
	;; [unrolled: 3-line block ×5, first 2 shown]
	v_mad_u64_u32 v[43:44], null, v179, v225, v[5:6]
	v_cvt_f32_i32_e32 v5, v2
	v_lshrrev_b32_e32 v2, 1, v144
	v_cvt_f32_i32_e32 v44, v3
	ds_read_b64 v[2:3], v2 offset:43584
	v_cvt_f32_i32_e32 v43, v43
	s_waitcnt lgkmcnt(0)
	v_fma_f32 v139, v2, v46, 0
	v_fma_f32 v63, v2, v5, 0
	v_fma_f32 v137, v2, v4, 0
	v_fmac_f32_e32 v139, v3, v55
	v_fma_f32 v55, v2, v57, 0
	v_mul_lo_u32 v2, v215, v218
	v_fmac_f32_e32 v63, v3, v44
	v_fmac_f32_e32 v137, v3, v45
	;; [unrolled: 1-line block ×6, first 2 shown]
	v_mad_u64_u32 v[2:3], null, v61, v217, v[2:3]
	v_mul_lo_u32 v3, v170, v219
	v_fmac_f32_e32 v15, v126, v55
	v_mad_u64_u32 v[3:4], null, v135, v74, v[3:4]
	v_mul_lo_u32 v4, v245, v221
	v_mad_u64_u32 v[4:5], null, v50, v220, v[4:5]
	v_mul_lo_u32 v5, v169, v230
	v_cvt_f32_i32_e32 v4, v4
	v_mad_u64_u32 v[43:44], null, v138, v229, v[5:6]
	v_mul_lo_u32 v5, v246, v240
	v_cvt_f32_i32_e32 v43, v43
	;; [unrolled: 3-line block ×5, first 2 shown]
	v_mad_u64_u32 v[41:42], null, v134, v202, v[5:6]
	v_cvt_f32_i32_e32 v5, v2
	v_lshrrev_b32_e32 v2, 1, v133
	v_cvt_f32_i32_e32 v42, v3
	v_fmac_f32_e32 v6, v123, v198
	ds_read_b64 v[2:3], v2 offset:43584
	v_cvt_f32_i32_e32 v41, v41
	s_waitcnt lgkmcnt(0)
	v_fma_f32 v5, v2, v5, 0
	v_fma_f32 v4, v2, v4, 0
	v_fmac_f32_e32 v5, v3, v42
	v_fma_f32 v42, v2, v44, 0
	v_fma_f32 v2, v2, v46, 0
	v_fmac_f32_e32 v4, v3, v43
	v_fma_f32 v10, v127, v5, v10
	v_fmac_f32_e32 v42, v3, v45
	v_fmac_f32_e32 v2, v3, v41
	v_fma_f32 v12, v128, v4, v12
	v_fma_f32 v14, v129, v42, v14
	;; [unrolled: 1-line block ×3, first 2 shown]
	s_cbranch_vccnz .LBB155_6
; %bb.7:                                ;   in Loop: Header=BB155_5 Depth=1
	v_add_nc_u32_e32 v0, s0, v88
	v_add_nc_u32_e32 v47, 4, v122
	s_barrier
	buffer_gl0_inv
	v_add_nc_u32_e32 v8, v0, v82
	v_add_nc_u32_e32 v2, v0, v80
	;; [unrolled: 1-line block ×4, first 2 shown]
	v_mad_u64_u32 v[122:123], null, v47, 36, s[2:3]
	v_mad_i64_i32 v[41:42], null, v8, 36, v[25:26]
	v_add_nc_u32_e32 v8, v0, v84
	v_mad_i64_i32 v[2:3], null, v2, 36, v[25:26]
	v_mad_i64_i32 v[4:5], null, v4, 36, v[25:26]
	;; [unrolled: 1-line block ×3, first 2 shown]
	v_add_nc_u32_e32 v8, v0, v85
	v_add_nc_u32_e32 v48, v0, v86
	;; [unrolled: 1-line block ×3, first 2 shown]
	v_mad_i64_i32 v[43:44], null, v43, 36, v[25:26]
	v_mad_i64_i32 v[124:125], null, v8, 36, v[25:26]
	;; [unrolled: 1-line block ×4, first 2 shown]
	s_clause 0x8
	global_load_dword v0, v[122:123], off
	global_load_dword v2, v[2:3], off offset:4
	global_load_dword v3, v[4:5], off offset:4
	;; [unrolled: 1-line block ×8, first 2 shown]
	s_mov_b32 s0, 16
	s_waitcnt vmcnt(8)
	v_cvt_f32_f16_e32 v0, v0
	s_waitcnt vmcnt(7)
	ds_write_b32 v106, v2
	s_waitcnt vmcnt(6)
	ds_write_b32 v107, v3
	;; [unrolled: 2-line block ×8, first 2 shown]
	ds_write_b32 v78, v0
	s_waitcnt lgkmcnt(0)
	s_barrier
	buffer_gl0_inv
	ds_read_b32 v122, v91
	ds_read_b32 v123, v92 offset:128
	ds_read_b32 v124, v93 offset:256
	;; [unrolled: 1-line block ×3, first 2 shown]
	s_waitcnt lgkmcnt(3)
	v_mov_b32_e32 v126, v122
	s_waitcnt lgkmcnt(2)
	v_mov_b32_e32 v127, v123
	;; [unrolled: 2-line block ×4, first 2 shown]
.LBB155_8:                              ;   Parent Loop BB155_5 Depth=1
                                        ; =>  This Inner Loop Header: Depth=2
	s_lshl_b32 s14, s0, 1
	s_lshr_b32 s16, s0, 1
	s_and_b32 s15, s14, 16
	s_lshl_b32 s1, s0, 3
	v_or_b32_e32 v132, s15, v51
	s_add_i32 s14, s16, 0xa200
	v_add_nc_u32_e32 v133, s1, v102
	v_add_nc_u32_e32 v134, s1, v103
	v_add3_u32 v0, s14, v117, v114
	v_add_nc_u32_e32 v207, s1, v104
	v_add_nc_u32_e32 v210, s1, v105
	v_lshlrev_b32_e32 v135, 2, v132
	ds_read2_b32 v[43:44], v133 offset0:12 offset1:13
	ds_read2_b32 v[41:42], v133 offset0:14 offset1:15
	ds_read_b32 v131, v0
	ds_read2_b32 v[45:46], v134 offset1:1
	ds_read_b128 v[136:139], v135 offset:33328
	ds_read_b128 v[172:175], v135 offset:33312
	ds_read2_b32 v[180:181], v134 offset0:12 offset1:13
	ds_read2_b32 v[186:187], v134 offset0:14 offset1:15
	;; [unrolled: 1-line block ×8, first 2 shown]
	v_or_b32_e32 v163, s15, v95
	v_mov_b32_e32 v130, 0
	v_mov_b32_e32 v152, 0
	;; [unrolled: 1-line block ×4, first 2 shown]
	v_lshlrev_b32_e32 v0, 2, v163
	ds_read2_b32 v[200:201], v210 offset0:14 offset1:15
	ds_read_b128 v[2:5], v0 offset:33280
	v_mov_b32_e32 v171, 0
	v_mov_b32_e32 v170, 0
	;; [unrolled: 1-line block ×4, first 2 shown]
	v_or_b32_e32 v145, s15, v96
	s_waitcnt lgkmcnt(11)
	v_dot4c_i32_i8 v130, v43, v136
	s_waitcnt lgkmcnt(9)
	v_dot4c_i32_i8 v152, v180, v136
	;; [unrolled: 2-line block ×4, first 2 shown]
	v_lshlrev_b32_e32 v8, 2, v145
	v_dot4c_i32_i8 v130, v44, v137
	v_dot4c_i32_i8 v152, v181, v137
	;; [unrolled: 1-line block ×4, first 2 shown]
	v_mov_b32_e32 v149, 0
	v_dot4c_i32_i8 v130, v41, v138
	v_dot4c_i32_i8 v152, v186, v138
	v_dot4c_i32_i8 v153, v194, v138
	s_waitcnt lgkmcnt(1)
	v_dot4c_i32_i8 v154, v200, v138
	v_mov_b32_e32 v151, 0
	v_dot4c_i32_i8 v130, v42, v139
	v_dot4c_i32_i8 v152, v187, v139
	;; [unrolled: 1-line block ×4, first 2 shown]
	ds_read_b128 v[136:139], v0 offset:33328
	v_mov_b32_e32 v150, 0
	v_mov_b32_e32 v148, 0
	v_or_b32_e32 v160, s15, v97
	v_mov_b32_e32 v166, 0
	v_mov_b32_e32 v167, 0
	;; [unrolled: 1-line block ×4, first 2 shown]
	v_lshlrev_b32_e32 v211, 2, v160
	v_or_b32_e32 v140, s15, v98
	v_mov_b32_e32 v143, 0
	v_mov_b32_e32 v146, 0
	v_mov_b32_e32 v144, 0
	v_mov_b32_e32 v142, 0
	v_lshlrev_b32_e32 v52, 2, v140
	v_or_b32_e32 v155, s15, v99
	v_mov_b32_e32 v161, 0
	v_mov_b32_e32 v162, 0
	;; [unrolled: 1-line block ×4, first 2 shown]
	s_waitcnt lgkmcnt(0)
	v_dot4c_i32_i8 v171, v43, v136
	v_dot4c_i32_i8 v170, v180, v136
	v_dot4c_i32_i8 v169, v188, v136
	v_dot4c_i32_i8 v168, v196, v136
	v_lshlrev_b32_e32 v212, 2, v155
	v_dot4c_i32_i8 v171, v44, v137
	v_dot4c_i32_i8 v170, v181, v137
	;; [unrolled: 1-line block ×4, first 2 shown]
	v_mov_b32_e32 v141, 0
	v_dot4c_i32_i8 v171, v41, v138
	v_dot4c_i32_i8 v170, v186, v138
	;; [unrolled: 1-line block ×4, first 2 shown]
	v_or_b32_e32 v147, s15, v101
	v_dot4c_i32_i8 v171, v42, v139
	v_dot4c_i32_i8 v170, v187, v139
	;; [unrolled: 1-line block ×4, first 2 shown]
	ds_read_b128 v[136:139], v8 offset:33328
	ds_read_b128 v[182:185], v8 offset:33312
	v_lshlrev_b32_e32 v199, 2, v147
	v_mov_b32_e32 v156, 0
	v_mov_b32_e32 v157, 0
	;; [unrolled: 1-line block ×17, first 2 shown]
	s_waitcnt lgkmcnt(1)
	v_dot4c_i32_i8 v149, v43, v136
	v_dot4c_i32_i8 v151, v180, v136
	;; [unrolled: 1-line block ×4, first 2 shown]
	s_add_i32 s1, s0, 8
	v_dot4c_i32_i8 v149, v44, v137
	v_dot4c_i32_i8 v151, v181, v137
	;; [unrolled: 1-line block ×4, first 2 shown]
	s_cmp_lt_u32 s0, 24
	v_dot4c_i32_i8 v149, v41, v138
	v_dot4c_i32_i8 v151, v186, v138
	;; [unrolled: 1-line block ×4, first 2 shown]
	s_mov_b32 s0, s1
	v_dot4c_i32_i8 v149, v42, v139
	v_dot4c_i32_i8 v151, v187, v139
	;; [unrolled: 1-line block ×4, first 2 shown]
	ds_read_b128 v[136:139], v211 offset:33328
	s_waitcnt lgkmcnt(0)
	v_dot4c_i32_i8 v166, v43, v136
	v_dot4c_i32_i8 v167, v180, v136
	;; [unrolled: 1-line block ×16, first 2 shown]
	ds_read_b128 v[136:139], v52 offset:33328
	ds_read_b128 v[190:193], v52 offset:33312
	s_waitcnt lgkmcnt(1)
	v_dot4c_i32_i8 v143, v43, v136
	v_dot4c_i32_i8 v146, v180, v136
	;; [unrolled: 1-line block ×16, first 2 shown]
	ds_read_b128 v[136:139], v212 offset:33328
	s_waitcnt lgkmcnt(0)
	v_dot4c_i32_i8 v161, v43, v136
	v_dot4c_i32_i8 v162, v180, v136
	;; [unrolled: 1-line block ×4, first 2 shown]
	v_or_b32_e32 v136, s15, v100
	v_dot4c_i32_i8 v161, v44, v137
	v_dot4c_i32_i8 v162, v181, v137
	;; [unrolled: 1-line block ×4, first 2 shown]
	v_lshlrev_b32_e32 v53, 2, v136
	ds_read_b128 v[176:179], v53 offset:33328
	ds_read_b128 v[203:206], v53 offset:33312
	v_dot4c_i32_i8 v161, v41, v138
	v_dot4c_i32_i8 v162, v186, v138
	;; [unrolled: 1-line block ×4, first 2 shown]
	v_mov_b32_e32 v138, 0
	v_dot4c_i32_i8 v161, v42, v139
	v_dot4c_i32_i8 v162, v187, v139
	;; [unrolled: 1-line block ×4, first 2 shown]
	v_mov_b32_e32 v139, 0
	v_mov_b32_e32 v137, 0
	s_waitcnt lgkmcnt(1)
	v_dot4c_i32_i8 v138, v43, v176
	v_dot4c_i32_i8 v141, v180, v176
	;; [unrolled: 1-line block ×16, first 2 shown]
	ds_read_b128 v[176:179], v199 offset:33328
	ds_read2_b32 v[233:234], v133 offset0:8 offset1:9
	ds_read2_b32 v[235:236], v133 offset0:10 offset1:11
	;; [unrolled: 1-line block ×8, first 2 shown]
	s_waitcnt lgkmcnt(8)
	v_dot4c_i32_i8 v156, v43, v176
	v_dot4c_i32_i8 v157, v180, v176
	v_mov_b32_e32 v43, 0
	v_mov_b32_e32 v180, 0
	v_dot4c_i32_i8 v156, v44, v177
	v_dot4c_i32_i8 v157, v181, v177
	v_mov_b32_e32 v44, 0
	v_dot4c_i32_i8 v43, v196, v176
	v_mov_b32_e32 v196, 0
	v_dot4c_i32_i8 v156, v41, v178
	v_dot4c_i32_i8 v157, v186, v178
	;; [unrolled: 1-line block ×3, first 2 shown]
	v_mov_b32_e32 v186, 0
	v_mov_b32_e32 v188, 0
	v_dot4c_i32_i8 v43, v197, v177
	v_dot4c_i32_i8 v157, v187, v179
	;; [unrolled: 1-line block ×3, first 2 shown]
	v_mov_b32_e32 v189, 0
	v_mov_b32_e32 v187, 0
	s_waitcnt lgkmcnt(7)
	v_dot4c_i32_i8 v186, v233, v172
	s_waitcnt lgkmcnt(4)
	v_dot4c_i32_i8 v188, v237, v172
	v_dot4c_i32_i8 v43, v200, v178
	s_waitcnt lgkmcnt(2)
	v_dot4c_i32_i8 v189, v239, v172
	s_waitcnt lgkmcnt(1)
	v_dot4c_i32_i8 v187, v245, v172
	v_dot4c_i32_i8 v186, v234, v173
	;; [unrolled: 1-line block ×8, first 2 shown]
	v_mov_b32_e32 v201, 0
	v_dot4c_i32_i8 v189, v229, v174
	v_dot4c_i32_i8 v187, v231, v174
	;; [unrolled: 1-line block ×4, first 2 shown]
	v_mov_b32_e32 v200, 0
	v_dot4c_i32_i8 v189, v230, v175
	v_dot4c_i32_i8 v187, v232, v175
	ds_read_b128 v[172:175], v0 offset:33312
	ds_read_b128 v[213:216], v0 offset:33296
	v_dot4c_i32_i8 v44, v194, v178
	v_mov_b32_e32 v197, 0
	v_mov_b32_e32 v194, 0
	v_dot4c_i32_i8 v156, v42, v179
	v_mov_b32_e32 v181, 0
	v_dot4c_i32_i8 v44, v195, v179
	v_mov_b32_e32 v195, 0
	v_mov_b32_e32 v179, 0
	;; [unrolled: 1-line block ×3, first 2 shown]
	v_dot4c_i32_i8 v181, v233, v182
	v_dot4c_i32_i8 v180, v237, v182
	v_mov_b32_e32 v177, 0
	v_dot4c_i32_i8 v179, v239, v182
	v_dot4c_i32_i8 v178, v245, v182
	;; [unrolled: 1-line block ×4, first 2 shown]
	v_mov_b32_e32 v176, 0
	v_dot4c_i32_i8 v179, v240, v183
	s_waitcnt lgkmcnt(1)
	v_dot4c_i32_i8 v202, v233, v172
	v_dot4c_i32_i8 v201, v237, v172
	;; [unrolled: 1-line block ×19, first 2 shown]
	ds_read_b128 v[172:175], v211 offset:33312
	ds_read_b128 v[217:220], v211 offset:33296
	v_dot4c_i32_i8 v179, v229, v184
	v_dot4c_i32_i8 v178, v231, v184
	;; [unrolled: 1-line block ×8, first 2 shown]
	ds_read_b128 v[182:185], v212 offset:33312
	ds_read_b128 v[221:224], v212 offset:33296
	v_mov_b32_e32 v42, 0
	v_mov_b32_e32 v41, 0
	v_dot4c_i32_i8 v177, v234, v191
	v_dot4c_i32_i8 v176, v238, v191
	v_mov_b32_e32 v0, 0
	v_dot4c_i32_i8 v42, v239, v203
	v_dot4c_i32_i8 v41, v245, v203
	;; [unrolled: 1-line block ×4, first 2 shown]
	s_waitcnt lgkmcnt(3)
	v_dot4c_i32_i8 v196, v233, v172
	v_dot4c_i32_i8 v197, v237, v172
	v_dot4c_i32_i8 v195, v239, v172
	v_dot4c_i32_i8 v194, v245, v172
	v_mov_b32_e32 v172, 0
	v_dot4c_i32_i8 v196, v234, v173
	v_dot4c_i32_i8 v197, v238, v173
	v_dot4c_i32_i8 v195, v240, v173
	v_dot4c_i32_i8 v194, v246, v173
	v_mov_b32_e32 v173, 0
	;; [unrolled: 5-line block ×4, first 2 shown]
	v_dot4c_i32_i8 v174, v245, v190
	v_dot4c_i32_i8 v173, v233, v203
	;; [unrolled: 1-line block ×13, first 2 shown]
	v_mov_b32_e32 v191, 0
	v_dot4c_i32_i8 v175, v229, v192
	v_dot4c_i32_i8 v174, v232, v193
	v_mov_b32_e32 v192, 0
	v_mov_b32_e32 v190, 0
	v_dot4c_i32_i8 v173, v235, v205
	v_dot4c_i32_i8 v175, v230, v193
	v_mov_b32_e32 v193, 0
	v_dot4c_i32_i8 v172, v208, v205
	v_dot4c_i32_i8 v42, v229, v205
	;; [unrolled: 1-line block ×3, first 2 shown]
	s_waitcnt lgkmcnt(1)
	v_dot4c_i32_i8 v192, v233, v182
	v_dot4c_i32_i8 v193, v237, v182
	;; [unrolled: 1-line block ×8, first 2 shown]
	ds_read_b128 v[203:206], v199 offset:33312
	ds_read_b128 v[225:228], v199 offset:33296
	v_dot4c_i32_i8 v192, v234, v183
	v_dot4c_i32_i8 v193, v238, v183
	v_dot4c_i32_i8 v191, v240, v183
	v_dot4c_i32_i8 v190, v246, v183
	v_mov_b32_e32 v183, 0
	v_dot4c_i32_i8 v192, v235, v184
	v_dot4c_i32_i8 v193, v208, v184
	v_dot4c_i32_i8 v191, v229, v184
	v_dot4c_i32_i8 v190, v231, v184
	v_mov_b32_e32 v184, 0
	;; [unrolled: 5-line block ×3, first 2 shown]
	v_mov_b32_e32 v182, 0
	s_waitcnt lgkmcnt(1)
	v_dot4c_i32_i8 v183, v233, v203
	v_dot4c_i32_i8 v185, v237, v203
	;; [unrolled: 1-line block ×12, first 2 shown]
	v_mov_b32_e32 v208, 0
	v_dot4c_i32_i8 v183, v236, v206
	v_dot4c_i32_i8 v185, v209, v206
	;; [unrolled: 1-line block ×4, first 2 shown]
	ds_read2_b32 v[245:246], v133 offset0:4 offset1:5
	ds_read_b128 v[203:206], v135 offset:33296
	ds_read_b128 v[229:232], v135 offset:33280
	ds_read2_b32 v[249:250], v134 offset0:4 offset1:5
	ds_read2_b32 v[251:252], v134 offset0:2 offset1:3
	ds_read2_b32 v[253:254], v207 offset0:4 offset1:5
	ds_read2_b32 v[47:48], v207 offset0:6 offset1:7
	ds_read2_b32 v[71:72], v207 offset0:2 offset1:3
	ds_read2_b32 v[73:74], v210 offset0:4 offset1:5
	ds_read2_b32 v[49:50], v210 offset0:2 offset1:3
	v_mov_b32_e32 v209, 0
	v_mov_b32_e32 v135, 0
	;; [unrolled: 1-line block ×3, first 2 shown]
	s_waitcnt lgkmcnt(9)
	v_dot4c_i32_i8 v58, v245, v213
	s_waitcnt lgkmcnt(8)
	v_dot4c_i32_i8 v0, v245, v203
	;; [unrolled: 2-line block ×5, first 2 shown]
	v_dot4c_i32_i8 v59, v249, v213
	v_dot4c_i32_i8 v0, v246, v204
	;; [unrolled: 1-line block ×15, first 2 shown]
	ds_read_b128 v[203:206], v8 offset:33296
	ds_read_b128 v[233:236], v8 offset:33280
	v_mov_b32_e32 v8, 0
	v_dot4c_i32_i8 v58, v246, v214
	v_dot4c_i32_i8 v59, v250, v214
	;; [unrolled: 1-line block ×20, first 2 shown]
	v_mov_b32_e32 v215, 0
	v_mov_b32_e32 v216, 0
	;; [unrolled: 1-line block ×4, first 2 shown]
	v_dot4c_i32_i8 v8, v241, v219
	v_dot4c_i32_i8 v63, v243, v219
	;; [unrolled: 1-line block ×4, first 2 shown]
	s_waitcnt lgkmcnt(1)
	v_dot4c_i32_i8 v215, v245, v203
	v_dot4c_i32_i8 v216, v249, v203
	;; [unrolled: 1-line block ×8, first 2 shown]
	ds_read_b128 v[217:220], v52 offset:33296
	ds_read_b128 v[237:240], v52 offset:33280
	v_dot4c_i32_i8 v215, v246, v204
	v_dot4c_i32_i8 v216, v250, v204
	v_dot4c_i32_i8 v214, v254, v204
	v_dot4c_i32_i8 v213, v74, v204
	v_mov_b32_e32 v52, 0
	v_dot4c_i32_i8 v215, v241, v205
	v_dot4c_i32_i8 v216, v243, v205
	v_dot4c_i32_i8 v214, v47, v205
	v_dot4c_i32_i8 v213, v247, v205
	v_mov_b32_e32 v205, 0
	;; [unrolled: 5-line block ×3, first 2 shown]
	v_dot4c_i32_i8 v52, v245, v221
	v_dot4c_i32_i8 v77, v249, v221
	;; [unrolled: 1-line block ×3, first 2 shown]
	s_waitcnt lgkmcnt(1)
	v_dot4c_i32_i8 v208, v245, v217
	v_dot4c_i32_i8 v209, v249, v217
	v_dot4c_i32_i8 v206, v253, v217
	v_dot4c_i32_i8 v205, v73, v217
	v_dot4c_i32_i8 v65, v73, v221
	v_dot4c_i32_i8 v208, v246, v218
	v_dot4c_i32_i8 v209, v250, v218
	v_dot4c_i32_i8 v206, v254, v218
	v_dot4c_i32_i8 v205, v74, v218
	v_dot4c_i32_i8 v52, v246, v222
	v_dot4c_i32_i8 v77, v250, v222
	v_dot4c_i32_i8 v255, v254, v222
	v_dot4c_i32_i8 v65, v74, v222
	v_dot4c_i32_i8 v208, v241, v219
	v_dot4c_i32_i8 v209, v243, v219
	v_dot4c_i32_i8 v206, v47, v219
	v_dot4c_i32_i8 v205, v247, v219
	v_dot4c_i32_i8 v52, v241, v223
	v_dot4c_i32_i8 v77, v243, v223
	v_dot4c_i32_i8 v255, v47, v223
	v_dot4c_i32_i8 v65, v247, v223
	v_dot4c_i32_i8 v208, v242, v220
	v_dot4c_i32_i8 v209, v244, v220
	v_dot4c_i32_i8 v206, v48, v220
	v_dot4c_i32_i8 v205, v248, v220
	v_dot4c_i32_i8 v52, v242, v224
	v_dot4c_i32_i8 v77, v244, v224
	v_dot4c_i32_i8 v255, v48, v224
	v_dot4c_i32_i8 v65, v248, v224
	ds_read_b128 v[217:220], v53 offset:33296
	ds_read_b128 v[221:224], v53 offset:33280
	v_mov_b32_e32 v203, 0
	v_mov_b32_e32 v204, 0
	v_mov_b32_e32 v53, 0
	s_waitcnt lgkmcnt(1)
	v_dot4c_i32_i8 v203, v245, v217
	v_dot4c_i32_i8 v204, v249, v217
	;; [unrolled: 1-line block ×4, first 2 shown]
	v_mov_b32_e32 v217, 0
	v_dot4c_i32_i8 v203, v246, v218
	v_dot4c_i32_i8 v204, v250, v218
	;; [unrolled: 1-line block ×4, first 2 shown]
	v_mov_b32_e32 v218, 0
	v_dot4c_i32_i8 v203, v241, v219
	v_dot4c_i32_i8 v204, v243, v219
	v_dot4c_i32_i8 v135, v47, v219
	v_dot4c_i32_i8 v134, v247, v219
	v_dot4c_i32_i8 v218, v253, v225
	v_dot4c_i32_i8 v203, v242, v220
	v_dot4c_i32_i8 v204, v244, v220
	v_dot4c_i32_i8 v135, v48, v220
	v_dot4c_i32_i8 v134, v248, v220
	v_mov_b32_e32 v220, 0
	v_mov_b32_e32 v219, 0
	v_dot4c_i32_i8 v218, v254, v226
	v_dot4c_i32_i8 v217, v73, v225
	v_dot4c_i32_i8 v220, v245, v225
	v_dot4c_i32_i8 v219, v249, v225
	v_dot4c_i32_i8 v218, v47, v227
	v_dot4c_i32_i8 v217, v74, v226
	ds_read2_b32 v[73:74], v207 offset1:1
	v_dot4c_i32_i8 v220, v246, v226
	v_dot4c_i32_i8 v219, v250, v226
	;; [unrolled: 1-line block ×3, first 2 shown]
	ds_read2_b32 v[47:48], v133 offset1:1
	ds_read2_b32 v[225:226], v210 offset1:1
	v_dot4c_i32_i8 v220, v241, v227
	v_dot4c_i32_i8 v219, v243, v227
	;; [unrolled: 1-line block ×3, first 2 shown]
	v_mov_b32_e32 v241, 0
	v_mov_b32_e32 v210, 0
	v_dot4c_i32_i8 v220, v242, v228
	v_dot4c_i32_i8 v219, v244, v228
	;; [unrolled: 1-line block ×3, first 2 shown]
	v_mov_b32_e32 v242, 0
	ds_read2_b32 v[227:228], v133 offset0:2 offset1:3
	v_mov_b32_e32 v207, 0
	v_dot4c_i32_i8 v241, v45, v229
	v_mov_b32_e32 v133, 0
	v_dot4c_i32_i8 v210, v45, v2
	s_waitcnt lgkmcnt(3)
	v_dot4c_i32_i8 v242, v73, v229
	v_mov_b32_e32 v243, 0
	v_dot4c_i32_i8 v241, v46, v230
	v_mov_b32_e32 v244, 0
	s_waitcnt lgkmcnt(2)
	v_dot4c_i32_i8 v53, v47, v229
	s_waitcnt lgkmcnt(1)
	v_dot4c_i32_i8 v207, v225, v229
	v_dot4c_i32_i8 v242, v74, v230
	v_mov_b32_e32 v229, 0
	v_dot4c_i32_i8 v133, v47, v2
	v_dot4c_i32_i8 v53, v48, v230
	;; [unrolled: 1-line block ×3, first 2 shown]
	v_mov_b32_e32 v230, 0
	v_dot4c_i32_i8 v229, v73, v2
	v_dot4c_i32_i8 v133, v48, v3
	;; [unrolled: 1-line block ×3, first 2 shown]
	s_waitcnt lgkmcnt(0)
	v_dot4c_i32_i8 v53, v227, v231
	v_dot4c_i32_i8 v230, v225, v2
	;; [unrolled: 1-line block ×19, first 2 shown]
	v_mov_b32_e32 v231, 0
	v_mov_b32_e32 v232, 0
	ds_read_b128 v[2:5], v211 offset:33280
	v_dot4c_i32_i8 v243, v73, v233
	v_dot4c_i32_i8 v244, v225, v233
	v_dot4c_i32_i8 v231, v47, v233
	v_dot4c_i32_i8 v232, v45, v233
	v_mov_b32_e32 v233, 0
	v_dot4c_i32_i8 v243, v74, v234
	v_dot4c_i32_i8 v244, v226, v234
	v_dot4c_i32_i8 v231, v48, v234
	v_dot4c_i32_i8 v232, v46, v234
	v_mov_b32_e32 v211, 0
	;; [unrolled: 5-line block ×3, first 2 shown]
	v_mov_b32_e32 v235, 0
	v_dot4c_i32_i8 v243, v72, v236
	v_dot4c_i32_i8 v231, v228, v236
	;; [unrolled: 1-line block ×3, first 2 shown]
	s_waitcnt lgkmcnt(0)
	v_dot4c_i32_i8 v233, v47, v2
	v_dot4c_i32_i8 v211, v45, v2
	;; [unrolled: 1-line block ×9, first 2 shown]
	v_mov_b32_e32 v236, 0
	v_dot4c_i32_i8 v233, v227, v4
	v_dot4c_i32_i8 v211, v251, v4
	;; [unrolled: 1-line block ×4, first 2 shown]
	v_mov_b32_e32 v245, 0
	v_dot4c_i32_i8 v233, v228, v5
	v_dot4c_i32_i8 v211, v252, v5
	v_dot4c_i32_i8 v234, v72, v5
	v_dot4c_i32_i8 v235, v50, v5
	v_mov_b32_e32 v246, 0
	v_mov_b32_e32 v247, 0
	ds_read_b128 v[2:5], v212 offset:33280
	v_dot4c_i32_i8 v236, v47, v237
	v_dot4c_i32_i8 v245, v45, v237
	v_dot4c_i32_i8 v246, v73, v237
	v_dot4c_i32_i8 v247, v225, v237
	v_mov_b32_e32 v237, 0
	v_dot4c_i32_i8 v236, v48, v238
	v_dot4c_i32_i8 v245, v46, v238
	v_dot4c_i32_i8 v246, v74, v238
	v_dot4c_i32_i8 v247, v226, v238
	v_mov_b32_e32 v212, 0
	v_dot4c_i32_i8 v236, v227, v239
	v_dot4c_i32_i8 v245, v251, v239
	v_dot4c_i32_i8 v246, v71, v239
	v_dot4c_i32_i8 v247, v49, v239
	v_mov_b32_e32 v238, 0
	v_mov_b32_e32 v239, 0
	v_dot4c_i32_i8 v236, v228, v240
	v_dot4c_i32_i8 v245, v252, v240
	;; [unrolled: 1-line block ×3, first 2 shown]
	s_waitcnt lgkmcnt(0)
	v_dot4c_i32_i8 v237, v47, v2
	v_dot4c_i32_i8 v212, v45, v2
	;; [unrolled: 1-line block ×9, first 2 shown]
	v_mov_b32_e32 v240, 0
	v_dot4c_i32_i8 v237, v227, v4
	v_dot4c_i32_i8 v212, v251, v4
	;; [unrolled: 1-line block ×4, first 2 shown]
	v_mov_b32_e32 v248, 0
	v_dot4c_i32_i8 v237, v228, v5
	v_dot4c_i32_i8 v212, v252, v5
	;; [unrolled: 1-line block ×4, first 2 shown]
	ds_read_b128 v[2:5], v199 offset:33280
	v_mov_b32_e32 v249, 0
	v_mov_b32_e32 v250, 0
	v_dot4c_i32_i8 v240, v47, v221
	v_dot4c_i32_i8 v248, v45, v221
	v_mov_b32_e32 v199, 0
	v_dot4c_i32_i8 v249, v73, v221
	v_dot4c_i32_i8 v250, v225, v221
	;; [unrolled: 1-line block ×4, first 2 shown]
	v_mov_b32_e32 v221, 0
	v_dot4c_i32_i8 v249, v74, v222
	v_dot4c_i32_i8 v250, v226, v222
	v_mov_b32_e32 v222, 0
	v_dot4c_i32_i8 v240, v227, v223
	v_dot4c_i32_i8 v248, v251, v223
	;; [unrolled: 1-line block ×5, first 2 shown]
	s_waitcnt lgkmcnt(0)
	v_dot4c_i32_i8 v222, v73, v2
	v_dot4c_i32_i8 v221, v47, v2
	;; [unrolled: 1-line block ×6, first 2 shown]
	v_mov_b32_e32 v74, 0
	v_dot4c_i32_i8 v221, v48, v3
	v_dot4c_i32_i8 v199, v46, v3
	;; [unrolled: 1-line block ×5, first 2 shown]
	v_add3_u32 v2, s14, v118, v119
	v_dot4c_i32_i8 v221, v227, v4
	v_dot4c_i32_i8 v199, v251, v4
	v_dot4c_i32_i8 v222, v72, v5
	v_dot4c_i32_i8 v74, v226, v3
	ds_read_b32 v45, v2
	v_lshrrev_b32_e32 v2, 1, v132
	v_dot4c_i32_i8 v221, v228, v5
	v_dot4c_i32_i8 v199, v252, v5
	v_dot4c_i32_i8 v74, v49, v4
	ds_read_b64 v[2:3], v2 offset:43584
	v_dot4c_i32_i8 v74, v50, v5
	s_waitcnt lgkmcnt(1)
	v_bfe_i32 v132, v45, 8, 8
	v_bfe_i32 v223, v45, 0, 8
	v_mul_lo_u32 v4, v58, v132
	v_ashrrev_i32_e32 v58, 24, v45
	v_mad_u64_u32 v[4:5], null, v133, v223, v[4:5]
	v_mul_lo_u32 v5, v171, v58
	v_bfe_i32 v133, v45, 16, 8
	v_bfe_i32 v171, v131, 8, 8
	v_mad_u64_u32 v[45:46], null, v202, v133, v[5:6]
	v_mul_lo_u32 v5, v59, v171
	v_bfe_i32 v202, v131, 0, 8
	v_ashrrev_i32_e32 v59, 24, v131
	v_bfe_i32 v131, v131, 16, 8
	v_cvt_f32_i32_e32 v45, v45
	v_mad_u64_u32 v[46:47], null, v210, v202, v[5:6]
	v_mul_lo_u32 v5, v170, v59
	v_cvt_f32_i32_e32 v46, v46
	v_mad_u64_u32 v[47:48], null, v201, v131, v[5:6]
	v_add3_u32 v5, s14, v120, v115
	ds_read_b32 v50, v5
	v_cvt_f32_i32_e32 v47, v47
	s_waitcnt lgkmcnt(0)
	v_bfe_i32 v170, v50, 8, 8
	v_bfe_i32 v201, v50, 0, 8
	;; [unrolled: 1-line block ×3, first 2 shown]
	v_mul_lo_u32 v5, v60, v170
	v_ashrrev_i32_e32 v60, 24, v50
	v_mad_u64_u32 v[48:49], null, v229, v201, v[5:6]
	v_mul_lo_u32 v5, v169, v60
	v_cvt_f32_i32_e32 v48, v48
	v_mad_u64_u32 v[49:50], null, v200, v210, v[5:6]
	v_add3_u32 v5, s14, v121, v116
	ds_read_b32 v50, v5
	v_cvt_f32_i32_e32 v49, v49
	s_waitcnt lgkmcnt(0)
	v_bfe_i32 v169, v50, 8, 8
	v_bfe_i32 v200, v50, 0, 8
	v_bfe_i32 v224, v50, 16, 8
	v_mul_lo_u32 v5, v61, v169
	v_ashrrev_i32_e32 v61, 24, v50
	v_cvt_f32_i32_e32 v50, v4
	v_lshrrev_b32_e32 v4, 1, v163
	v_mad_u64_u32 v[71:72], null, v230, v200, v[5:6]
	v_mul_lo_u32 v5, v168, v61
	v_cvt_f32_i32_e32 v71, v71
	v_mad_u64_u32 v[72:73], null, v198, v224, v[5:6]
	ds_read_b64 v[4:5], v4 offset:43584
	v_cvt_f32_i32_e32 v72, v72
	s_waitcnt lgkmcnt(0)
	v_fma_f32 v163, v4, v50, 0
	v_fma_f32 v168, v4, v46, 0
	;; [unrolled: 1-line block ×4, first 2 shown]
	v_mul_lo_u32 v4, v53, v223
	v_fmac_f32_e32 v163, v5, v45
	v_fmac_f32_e32 v168, v5, v47
	v_fmac_f32_e32 v198, v5, v49
	v_fmac_f32_e32 v225, v5, v72
	v_fmac_f32_e32 v37, v123, v168
	v_mad_u64_u32 v[4:5], null, v0, v132, v[4:5]
	v_mul_lo_u32 v5, v186, v133
	v_fmac_f32_e32 v35, v124, v198
	v_fmac_f32_e32 v39, v125, v225
	v_cvt_f32_i32_e32 v0, v4
	v_mad_u64_u32 v[45:46], null, v130, v58, v[5:6]
	v_mul_lo_u32 v5, v241, v202
	v_fma_f32 v0, v2, v0, 0
	v_cvt_f32_i32_e32 v4, v45
	v_mad_u64_u32 v[46:47], null, v54, v171, v[5:6]
	v_mul_lo_u32 v5, v188, v131
	v_fmac_f32_e32 v0, v3, v4
	v_fma_f32 v7, v126, v0, v7
	v_mad_u64_u32 v[47:48], null, v152, v59, v[5:6]
	v_mul_lo_u32 v5, v242, v201
	v_cvt_f32_i32_e32 v45, v47
	v_mad_u64_u32 v[48:49], null, v55, v170, v[5:6]
	v_mul_lo_u32 v5, v189, v210
	v_mad_u64_u32 v[49:50], null, v153, v60, v[5:6]
	v_mul_lo_u32 v5, v207, v200
	v_cvt_f32_i32_e32 v47, v49
	v_mad_u64_u32 v[71:72], null, v57, v169, v[5:6]
	v_mul_lo_u32 v5, v187, v224
	v_mad_u64_u32 v[72:73], null, v154, v61, v[5:6]
	v_cvt_f32_i32_e32 v5, v46
	v_cvt_f32_i32_e32 v46, v48
	;; [unrolled: 1-line block ×3, first 2 shown]
	v_fma_f32 v53, v2, v5, 0
	v_fma_f32 v54, v2, v46, 0
	;; [unrolled: 1-line block ×3, first 2 shown]
	v_mul_lo_u32 v2, v8, v132
	v_cvt_f32_i32_e32 v49, v72
	v_fmac_f32_e32 v53, v3, v45
	v_fmac_f32_e32 v54, v3, v47
	;; [unrolled: 1-line block ×3, first 2 shown]
	v_fma_f32 v38, v127, v53, v38
	v_mad_u64_u32 v[2:3], null, v233, v223, v[2:3]
	v_mul_lo_u32 v3, v166, v58
	v_fma_f32 v36, v128, v54, v36
	v_fma_f32 v40, v129, v55, v40
	v_mad_u64_u32 v[3:4], null, v196, v133, v[3:4]
	v_mul_lo_u32 v4, v63, v171
	v_cvt_f32_i32_e32 v8, v3
	v_mad_u64_u32 v[4:5], null, v211, v202, v[4:5]
	v_mul_lo_u32 v5, v167, v59
	v_cvt_f32_i32_e32 v4, v4
	;; [unrolled: 3-line block ×6, first 2 shown]
	v_mad_u64_u32 v[49:50], null, v194, v224, v[5:6]
	v_cvt_f32_i32_e32 v5, v2
	v_lshrrev_b32_e32 v2, 1, v160
	ds_read_b64 v[2:3], v2 offset:43584
	v_cvt_f32_i32_e32 v49, v49
	s_waitcnt lgkmcnt(0)
	v_fma_f32 v57, v2, v5, 0
	v_fma_f32 v63, v2, v46, 0
	;; [unrolled: 1-line block ×3, first 2 shown]
	v_fmac_f32_e32 v57, v3, v8
	v_fma_f32 v8, v2, v4, 0
	v_mul_lo_u32 v2, v231, v223
	v_fmac_f32_e32 v63, v3, v47
	v_fmac_f32_e32 v67, v3, v49
	;; [unrolled: 1-line block ×6, first 2 shown]
	v_mad_u64_u32 v[2:3], null, v215, v132, v[2:3]
	v_mul_lo_u32 v3, v181, v133
	v_fmac_f32_e32 v33, v123, v8
	v_mad_u64_u32 v[3:4], null, v149, v58, v[3:4]
	v_mul_lo_u32 v4, v232, v202
	v_mad_u64_u32 v[4:5], null, v216, v171, v[4:5]
	v_mul_lo_u32 v5, v180, v131
	v_cvt_f32_i32_e32 v4, v4
	v_mad_u64_u32 v[45:46], null, v151, v59, v[5:6]
	v_mul_lo_u32 v5, v243, v201
	v_cvt_f32_i32_e32 v45, v45
	;; [unrolled: 3-line block ×5, first 2 shown]
	v_mad_u64_u32 v[49:50], null, v148, v61, v[5:6]
	v_cvt_f32_i32_e32 v5, v2
	v_lshrrev_b32_e32 v2, 1, v145
	v_cvt_f32_i32_e32 v50, v3
	ds_read_b64 v[2:3], v2 offset:43584
	v_cvt_f32_i32_e32 v49, v49
	s_waitcnt lgkmcnt(0)
	v_fma_f32 v71, v2, v5, 0
	v_fma_f32 v72, v2, v4, 0
	;; [unrolled: 1-line block ×4, first 2 shown]
	v_mul_lo_u32 v2, v52, v132
	v_fmac_f32_e32 v71, v3, v50
	v_fmac_f32_e32 v72, v3, v45
	;; [unrolled: 1-line block ×4, first 2 shown]
	v_fma_f32 v32, v126, v71, v32
	v_fma_f32 v34, v127, v72, v34
	v_mad_u64_u32 v[2:3], null, v237, v223, v[2:3]
	v_mul_lo_u32 v3, v161, v58
	v_fma_f32 v28, v128, v73, v28
	v_fma_f32 v30, v129, v75, v30
	v_mad_u64_u32 v[3:4], null, v192, v133, v[3:4]
	v_mul_lo_u32 v4, v77, v171
	v_mad_u64_u32 v[4:5], null, v212, v202, v[4:5]
	v_mul_lo_u32 v5, v162, v59
	v_cvt_f32_i32_e32 v4, v4
	v_mad_u64_u32 v[45:46], null, v193, v131, v[5:6]
	v_mul_lo_u32 v5, v255, v170
	v_cvt_f32_i32_e32 v45, v45
	;; [unrolled: 3-line block ×5, first 2 shown]
	v_mad_u64_u32 v[49:50], null, v190, v224, v[5:6]
	v_cvt_f32_i32_e32 v5, v2
	v_lshrrev_b32_e32 v2, 1, v155
	v_cvt_f32_i32_e32 v50, v3
	ds_read_b64 v[2:3], v2 offset:43584
	v_cvt_f32_i32_e32 v49, v49
	s_waitcnt lgkmcnt(0)
	v_fma_f32 v52, v2, v5, 0
	v_fma_f32 v65, v2, v4, 0
	;; [unrolled: 1-line block ×4, first 2 shown]
	v_mul_lo_u32 v2, v236, v223
	v_fmac_f32_e32 v52, v3, v50
	v_fmac_f32_e32 v65, v3, v45
	;; [unrolled: 1-line block ×6, first 2 shown]
	v_mad_u64_u32 v[2:3], null, v208, v132, v[2:3]
	v_mul_lo_u32 v3, v177, v133
	v_fmac_f32_e32 v23, v124, v77
	v_fmac_f32_e32 v17, v125, v130
	v_mad_u64_u32 v[3:4], null, v143, v58, v[3:4]
	v_mul_lo_u32 v4, v245, v202
	v_mad_u64_u32 v[4:5], null, v209, v171, v[4:5]
	v_mul_lo_u32 v5, v176, v131
	v_cvt_f32_i32_e32 v4, v4
	v_mad_u64_u32 v[45:46], null, v146, v59, v[5:6]
	v_mul_lo_u32 v5, v246, v201
	v_cvt_f32_i32_e32 v45, v45
	;; [unrolled: 3-line block ×5, first 2 shown]
	v_mad_u64_u32 v[49:50], null, v142, v61, v[5:6]
	v_cvt_f32_i32_e32 v5, v2
	v_lshrrev_b32_e32 v2, 1, v140
	v_cvt_f32_i32_e32 v50, v3
	ds_read_b64 v[2:3], v2 offset:43584
	v_cvt_f32_i32_e32 v49, v49
	s_waitcnt lgkmcnt(0)
	v_fma_f32 v140, v2, v5, 0
	v_fma_f32 v142, v2, v46, 0
	;; [unrolled: 1-line block ×3, first 2 shown]
	v_fmac_f32_e32 v140, v3, v50
	v_fma_f32 v50, v2, v4, 0
	v_mul_lo_u32 v2, v220, v132
	v_fmac_f32_e32 v142, v3, v47
	v_fmac_f32_e32 v143, v3, v49
	v_fma_f32 v20, v126, v140, v20
	v_fmac_f32_e32 v50, v3, v45
	v_fma_f32 v24, v128, v142, v24
	v_fma_f32 v18, v129, v143, v18
	v_mad_u64_u32 v[2:3], null, v221, v223, v[2:3]
	v_mul_lo_u32 v3, v156, v58
	v_fma_f32 v22, v127, v50, v22
	v_mad_u64_u32 v[3:4], null, v183, v133, v[3:4]
	v_mul_lo_u32 v4, v219, v171
	v_mad_u64_u32 v[4:5], null, v199, v202, v[4:5]
	v_mul_lo_u32 v5, v157, v59
	v_cvt_f32_i32_e32 v4, v4
	v_mad_u64_u32 v[45:46], null, v185, v131, v[5:6]
	v_mul_lo_u32 v5, v218, v170
	v_cvt_f32_i32_e32 v45, v45
	;; [unrolled: 3-line block ×5, first 2 shown]
	v_mad_u64_u32 v[43:44], null, v182, v224, v[5:6]
	v_cvt_f32_i32_e32 v5, v2
	v_lshrrev_b32_e32 v2, 1, v147
	v_cvt_f32_i32_e32 v44, v3
	ds_read_b64 v[2:3], v2 offset:43584
	v_cvt_f32_i32_e32 v43, v43
	s_waitcnt lgkmcnt(0)
	v_fma_f32 v49, v2, v5, 0
	v_fma_f32 v74, v2, v4, 0
	;; [unrolled: 1-line block ×4, first 2 shown]
	v_mul_lo_u32 v2, v240, v223
	v_fmac_f32_e32 v49, v3, v44
	v_fmac_f32_e32 v74, v3, v45
	;; [unrolled: 1-line block ×6, first 2 shown]
	v_mad_u64_u32 v[2:3], null, v203, v132, v[2:3]
	v_mul_lo_u32 v3, v173, v133
	v_fmac_f32_e32 v13, v124, v144
	v_fmac_f32_e32 v15, v125, v48
	v_mad_u64_u32 v[3:4], null, v138, v58, v[3:4]
	v_mul_lo_u32 v4, v248, v202
	v_mad_u64_u32 v[4:5], null, v204, v171, v[4:5]
	v_mul_lo_u32 v5, v172, v131
	v_cvt_f32_i32_e32 v4, v4
	v_mad_u64_u32 v[43:44], null, v141, v59, v[5:6]
	v_mul_lo_u32 v5, v249, v201
	v_cvt_f32_i32_e32 v43, v43
	;; [unrolled: 3-line block ×5, first 2 shown]
	v_mad_u64_u32 v[41:42], null, v137, v61, v[5:6]
	v_cvt_f32_i32_e32 v5, v2
	v_lshrrev_b32_e32 v2, 1, v136
	v_cvt_f32_i32_e32 v42, v3
	v_fmac_f32_e32 v6, v122, v163
	ds_read_b64 v[2:3], v2 offset:43584
	v_cvt_f32_i32_e32 v41, v41
	s_waitcnt lgkmcnt(0)
	v_fma_f32 v5, v2, v5, 0
	v_fma_f32 v4, v2, v4, 0
	v_fmac_f32_e32 v5, v3, v42
	v_fma_f32 v42, v2, v44, 0
	v_fma_f32 v2, v2, v46, 0
	v_fmac_f32_e32 v4, v3, v43
	v_fma_f32 v10, v126, v5, v10
	v_fmac_f32_e32 v42, v3, v45
	v_fmac_f32_e32 v2, v3, v41
	v_fma_f32 v12, v127, v4, v12
	v_fma_f32 v14, v128, v42, v14
	;; [unrolled: 1-line block ×3, first 2 shown]
	s_cbranch_scc1 .LBB155_8
; %bb.9:                                ;   in Loop: Header=BB155_5 Depth=1
	s_add_i32 s11, s11, 1
	s_cmp_eq_u32 s11, s4
	s_barrier
	buffer_gl0_inv
	s_cbranch_scc0 .LBB155_5
; %bb.10:
	v_cvt_f16_f32_e32 v0, v7
	v_cvt_f16_f32_e32 v2, v6
	v_cvt_f16_f32_e32 v3, v38
	v_cvt_f16_f32_e32 v4, v37
	v_cvt_f16_f32_e32 v5, v36
	v_cvt_f16_f32_e32 v6, v39
	v_pack_b32_f16 v36, v2, v0
	v_cvt_f16_f32_e32 v0, v35
	v_cvt_f16_f32_e32 v2, v40
	;; [unrolled: 1-line block ×6, first 2 shown]
	v_pack_b32_f16 v33, v4, v3
	v_pack_b32_f16 v32, v0, v5
	;; [unrolled: 1-line block ×4, first 2 shown]
	v_cvt_f16_f32_e32 v0, v28
	v_cvt_f16_f32_e32 v2, v27
	;; [unrolled: 1-line block ×10, first 2 shown]
	v_pack_b32_f16 v23, v2, v0
	v_pack_b32_f16 v22, v4, v3
	;; [unrolled: 1-line block ×4, first 2 shown]
	v_cvt_f16_f32_e32 v0, v18
	v_cvt_f16_f32_e32 v2, v17
	;; [unrolled: 1-line block ×6, first 2 shown]
	v_pack_b32_f16 v9, v2, v0
	v_cvt_f16_f32_e32 v8, v14
	v_pack_b32_f16 v5, v4, v3
	v_cvt_f16_f32_e32 v10, v13
	v_pack_b32_f16 v4, v7, v6
	s_clause 0x1
	buffer_load_dword v6, off, s[20:23], 0 offset:96
	buffer_load_dword v0, off, s[20:23], 0 offset:92
	v_cvt_f16_f32_e32 v11, v16
	v_cvt_f16_f32_e32 v12, v15
	v_pack_b32_f16 v25, v34, v25
	v_pack_b32_f16 v19, v24, v19
	;; [unrolled: 1-line block ×4, first 2 shown]
.LBB155_11:
	s_mov_b32 s0, exec_lo
	s_waitcnt vmcnt(1)
	v_cmpx_gt_u32_e64 s8, v6
	s_cbranch_execz .LBB155_62
; %bb.12:
	s_waitcnt vmcnt(0)
	v_add_nc_u32_e32 v0, s6, v0
	v_mul_lo_u32 v10, v6, s10
	v_cmp_gt_u32_e32 vcc_lo, s10, v0
	s_and_saveexec_b32 s1, vcc_lo
	s_cbranch_execz .LBB155_14
; %bb.13:
	v_add_nc_u32_e32 v6, v0, v10
	v_mov_b32_e32 v7, 0
	v_lshlrev_b64 v[6:7], 1, v[6:7]
	s_waitcnt lgkmcnt(0)
	v_add_co_u32 v6, s0, s12, v6
	v_add_co_ci_u32_e64 v7, null, s13, v7, s0
	global_store_short_d16_hi v[6:7], v36, off
.LBB155_14:
	s_or_b32 exec_lo, exec_lo, s1
	v_add_nc_u32_e32 v6, 32, v0
	v_cmp_gt_u32_e64 s0, s10, v6
	s_and_saveexec_b32 s2, s0
	s_cbranch_execz .LBB155_16
; %bb.15:
	v_add_nc_u32_e32 v7, v6, v10
	v_mov_b32_e32 v8, 0
	v_lshlrev_b64 v[7:8], 1, v[7:8]
	s_waitcnt lgkmcnt(0)
	v_add_co_u32 v7, s1, s12, v7
	v_add_co_ci_u32_e64 v8, null, s13, v8, s1
	global_store_short_d16_hi v[7:8], v33, off
.LBB155_16:
	s_or_b32 exec_lo, exec_lo, s2
	v_add_nc_u32_e32 v7, 64, v0
	v_cmp_gt_u32_e64 s1, s10, v7
	s_and_saveexec_b32 s3, s1
	;; [unrolled: 14-line block ×3, first 2 shown]
	s_cbranch_execz .LBB155_20
; %bb.19:
	v_add_nc_u32_e32 v10, v8, v10
	v_mov_b32_e32 v11, 0
	v_lshlrev_b64 v[10:11], 1, v[10:11]
	s_waitcnt lgkmcnt(0)
	v_add_co_u32 v10, s3, s12, v10
	v_add_co_ci_u32_e64 v11, null, s13, v11, s3
	global_store_short_d16_hi v[10:11], v31, off
.LBB155_20:
	s_or_b32 exec_lo, exec_lo, s4
	v_add3_u32 v10, v1, s7, 8
	v_cmp_gt_u32_e64 s3, s8, v10
	s_and_b32 exec_lo, exec_lo, s3
	s_cbranch_execz .LBB155_62
; %bb.21:
	v_mul_lo_u32 v10, v10, s10
	s_and_saveexec_b32 s4, vcc_lo
	s_cbranch_execnz .LBB155_63
; %bb.22:
	s_or_b32 exec_lo, exec_lo, s4
	s_and_saveexec_b32 s4, s0
	s_cbranch_execnz .LBB155_64
.LBB155_23:
	s_or_b32 exec_lo, exec_lo, s4
	s_and_saveexec_b32 s4, s1
	s_cbranch_execnz .LBB155_65
.LBB155_24:
	s_or_b32 exec_lo, exec_lo, s4
	s_and_saveexec_b32 s4, s2
	s_cbranch_execz .LBB155_26
.LBB155_25:
	v_add_nc_u32_e32 v10, v10, v8
	v_mov_b32_e32 v11, 0
	v_lshlrev_b64 v[10:11], 1, v[10:11]
	s_waitcnt lgkmcnt(0)
	v_add_co_u32 v10, s3, s12, v10
	v_add_co_ci_u32_e64 v11, null, s13, v11, s3
	global_store_short v[10:11], v31, off
.LBB155_26:
	s_or_b32 exec_lo, exec_lo, s4
	v_add3_u32 v10, v1, s7, 16
	v_cmp_gt_u32_e64 s3, s8, v10
	s_and_b32 exec_lo, exec_lo, s3
	s_cbranch_execz .LBB155_62
; %bb.27:
	v_mul_lo_u32 v10, v10, s10
	s_and_saveexec_b32 s4, vcc_lo
	s_cbranch_execnz .LBB155_66
; %bb.28:
	s_or_b32 exec_lo, exec_lo, s4
	s_and_saveexec_b32 s4, s0
	s_cbranch_execnz .LBB155_67
.LBB155_29:
	s_or_b32 exec_lo, exec_lo, s4
	s_and_saveexec_b32 s4, s1
	s_cbranch_execnz .LBB155_68
.LBB155_30:
	s_or_b32 exec_lo, exec_lo, s4
	s_and_saveexec_b32 s4, s2
	s_cbranch_execz .LBB155_32
.LBB155_31:
	v_add_nc_u32_e32 v10, v10, v8
	v_mov_b32_e32 v11, 0
	v_lshlrev_b64 v[10:11], 1, v[10:11]
	s_waitcnt lgkmcnt(0)
	v_add_co_u32 v10, s3, s12, v10
	v_add_co_ci_u32_e64 v11, null, s13, v11, s3
	global_store_short_d16_hi v[10:11], v22, off
.LBB155_32:
	s_or_b32 exec_lo, exec_lo, s4
	v_add3_u32 v10, v1, s7, 24
	v_cmp_gt_u32_e64 s3, s8, v10
	s_and_b32 exec_lo, exec_lo, s3
	s_cbranch_execz .LBB155_62
; %bb.33:
	v_mul_lo_u32 v10, v10, s10
	s_and_saveexec_b32 s4, vcc_lo
	s_cbranch_execnz .LBB155_69
; %bb.34:
	s_or_b32 exec_lo, exec_lo, s4
	s_and_saveexec_b32 s4, s0
	s_cbranch_execnz .LBB155_70
.LBB155_35:
	s_or_b32 exec_lo, exec_lo, s4
	s_and_saveexec_b32 s4, s1
	s_cbranch_execnz .LBB155_71
.LBB155_36:
	s_or_b32 exec_lo, exec_lo, s4
	s_and_saveexec_b32 s4, s2
	s_cbranch_execz .LBB155_38
.LBB155_37:
	v_add_nc_u32_e32 v10, v10, v8
	v_mov_b32_e32 v11, 0
	v_lshlrev_b64 v[10:11], 1, v[10:11]
	s_waitcnt lgkmcnt(0)
	v_add_co_u32 v10, s3, s12, v10
	v_add_co_ci_u32_e64 v11, null, s13, v11, s3
	global_store_short v[10:11], v22, off
.LBB155_38:
	s_or_b32 exec_lo, exec_lo, s4
	v_add3_u32 v10, v1, s7, 32
	v_cmp_gt_u32_e64 s3, s8, v10
	s_and_b32 exec_lo, exec_lo, s3
	s_cbranch_execz .LBB155_62
; %bb.39:
	v_mul_lo_u32 v10, v10, s10
	s_and_saveexec_b32 s4, vcc_lo
	s_cbranch_execnz .LBB155_72
; %bb.40:
	s_or_b32 exec_lo, exec_lo, s4
	s_and_saveexec_b32 s4, s0
	s_cbranch_execnz .LBB155_73
.LBB155_41:
	s_or_b32 exec_lo, exec_lo, s4
	s_and_saveexec_b32 s4, s1
	s_cbranch_execnz .LBB155_74
.LBB155_42:
	s_or_b32 exec_lo, exec_lo, s4
	s_and_saveexec_b32 s4, s2
	s_cbranch_execz .LBB155_44
.LBB155_43:
	v_add_nc_u32_e32 v10, v10, v8
	v_mov_b32_e32 v11, 0
	v_lshlrev_b64 v[10:11], 1, v[10:11]
	s_waitcnt lgkmcnt(0)
	v_add_co_u32 v10, s3, s12, v10
	v_add_co_ci_u32_e64 v11, null, s13, v11, s3
	global_store_short_d16_hi v[10:11], v9, off
.LBB155_44:
	s_or_b32 exec_lo, exec_lo, s4
	v_add3_u32 v10, v1, s7, 40
	v_cmp_gt_u32_e64 s3, s8, v10
	s_and_b32 exec_lo, exec_lo, s3
	s_cbranch_execz .LBB155_62
; %bb.45:
	v_mul_lo_u32 v10, v10, s10
	s_and_saveexec_b32 s4, vcc_lo
	s_cbranch_execnz .LBB155_75
; %bb.46:
	s_or_b32 exec_lo, exec_lo, s4
	s_and_saveexec_b32 s4, s0
	s_cbranch_execnz .LBB155_76
.LBB155_47:
	s_or_b32 exec_lo, exec_lo, s4
	s_and_saveexec_b32 s4, s1
	s_cbranch_execnz .LBB155_77
.LBB155_48:
	s_or_b32 exec_lo, exec_lo, s4
	s_and_saveexec_b32 s4, s2
	s_cbranch_execz .LBB155_50
.LBB155_49:
	v_add_nc_u32_e32 v10, v10, v8
	v_mov_b32_e32 v11, 0
	v_lshlrev_b64 v[10:11], 1, v[10:11]
	s_waitcnt lgkmcnt(0)
	v_add_co_u32 v10, s3, s12, v10
	v_add_co_ci_u32_e64 v11, null, s13, v11, s3
	global_store_short v[10:11], v9, off
.LBB155_50:
	s_or_b32 exec_lo, exec_lo, s4
	v_add3_u32 v9, v1, s7, 48
	v_cmp_gt_u32_e64 s3, s8, v9
	s_and_b32 exec_lo, exec_lo, s3
	s_cbranch_execz .LBB155_62
; %bb.51:
	v_mul_lo_u32 v9, v9, s10
	s_and_saveexec_b32 s4, vcc_lo
	s_cbranch_execnz .LBB155_78
; %bb.52:
	s_or_b32 exec_lo, exec_lo, s4
	s_and_saveexec_b32 s4, s0
	s_cbranch_execnz .LBB155_79
.LBB155_53:
	s_or_b32 exec_lo, exec_lo, s4
	s_and_saveexec_b32 s4, s1
	s_cbranch_execnz .LBB155_80
.LBB155_54:
	s_or_b32 exec_lo, exec_lo, s4
	s_and_saveexec_b32 s4, s2
	s_cbranch_execz .LBB155_56
.LBB155_55:
	v_add_nc_u32_e32 v9, v9, v8
	v_mov_b32_e32 v10, 0
	v_lshlrev_b64 v[9:10], 1, v[9:10]
	s_waitcnt lgkmcnt(0)
	v_add_co_u32 v9, s3, s12, v9
	v_add_co_ci_u32_e64 v10, null, s13, v10, s3
	global_store_short_d16_hi v[9:10], v2, off
.LBB155_56:
	s_or_b32 exec_lo, exec_lo, s4
	v_add3_u32 v1, v1, s7, 56
	v_cmp_gt_u32_e64 s3, s8, v1
	s_and_b32 exec_lo, exec_lo, s3
	s_cbranch_execz .LBB155_62
; %bb.57:
	v_mul_lo_u32 v1, v1, s10
	s_and_saveexec_b32 s3, vcc_lo
	s_cbranch_execnz .LBB155_81
; %bb.58:
	s_or_b32 exec_lo, exec_lo, s3
	s_and_saveexec_b32 s3, s0
	s_cbranch_execnz .LBB155_82
.LBB155_59:
	s_or_b32 exec_lo, exec_lo, s3
	s_and_saveexec_b32 s0, s1
	s_cbranch_execnz .LBB155_83
.LBB155_60:
	s_or_b32 exec_lo, exec_lo, s0
	s_and_b32 exec_lo, exec_lo, s2
	s_cbranch_execz .LBB155_62
.LBB155_61:
	v_add_nc_u32_e32 v0, v1, v8
	v_mov_b32_e32 v1, 0
	v_lshlrev_b64 v[0:1], 1, v[0:1]
	s_waitcnt lgkmcnt(0)
	v_add_co_u32 v0, vcc_lo, s12, v0
	v_add_co_ci_u32_e64 v1, null, s13, v1, vcc_lo
	global_store_short v[0:1], v2, off
.LBB155_62:
	s_endpgm
.LBB155_63:
	v_add_nc_u32_e32 v11, v10, v0
	v_mov_b32_e32 v12, 0
	v_lshlrev_b64 v[11:12], 1, v[11:12]
	s_waitcnt lgkmcnt(0)
	v_add_co_u32 v11, s3, s12, v11
	v_add_co_ci_u32_e64 v12, null, s13, v12, s3
	global_store_short v[11:12], v36, off
	s_or_b32 exec_lo, exec_lo, s4
	s_and_saveexec_b32 s4, s0
	s_cbranch_execz .LBB155_23
.LBB155_64:
	v_add_nc_u32_e32 v11, v10, v6
	v_mov_b32_e32 v12, 0
	v_lshlrev_b64 v[11:12], 1, v[11:12]
	s_waitcnt lgkmcnt(0)
	v_add_co_u32 v11, s3, s12, v11
	v_add_co_ci_u32_e64 v12, null, s13, v12, s3
	global_store_short v[11:12], v33, off
	s_or_b32 exec_lo, exec_lo, s4
	s_and_saveexec_b32 s4, s1
	s_cbranch_execz .LBB155_24
.LBB155_65:
	v_add_nc_u32_e32 v11, v10, v7
	v_mov_b32_e32 v12, 0
	v_lshlrev_b64 v[11:12], 1, v[11:12]
	s_waitcnt lgkmcnt(0)
	v_add_co_u32 v11, s3, s12, v11
	v_add_co_ci_u32_e64 v12, null, s13, v12, s3
	global_store_short v[11:12], v32, off
	s_or_b32 exec_lo, exec_lo, s4
	s_and_saveexec_b32 s4, s2
	s_cbranch_execnz .LBB155_25
	s_branch .LBB155_26
.LBB155_66:
	v_add_nc_u32_e32 v11, v10, v0
	v_mov_b32_e32 v12, 0
	v_lshlrev_b64 v[11:12], 1, v[11:12]
	s_waitcnt lgkmcnt(0)
	v_add_co_u32 v11, s3, s12, v11
	v_add_co_ci_u32_e64 v12, null, s13, v12, s3
	global_store_short_d16_hi v[11:12], v26, off
	s_or_b32 exec_lo, exec_lo, s4
	s_and_saveexec_b32 s4, s0
	s_cbranch_execz .LBB155_29
.LBB155_67:
	v_add_nc_u32_e32 v11, v10, v6
	v_mov_b32_e32 v12, 0
	v_lshlrev_b64 v[11:12], 1, v[11:12]
	s_waitcnt lgkmcnt(0)
	v_add_co_u32 v11, s3, s12, v11
	v_add_co_ci_u32_e64 v12, null, s13, v12, s3
	global_store_short_d16_hi v[11:12], v25, off
	s_or_b32 exec_lo, exec_lo, s4
	s_and_saveexec_b32 s4, s1
	s_cbranch_execz .LBB155_30
.LBB155_68:
	v_add_nc_u32_e32 v11, v10, v7
	v_mov_b32_e32 v12, 0
	v_lshlrev_b64 v[11:12], 1, v[11:12]
	s_waitcnt lgkmcnt(0)
	v_add_co_u32 v11, s3, s12, v11
	v_add_co_ci_u32_e64 v12, null, s13, v12, s3
	global_store_short_d16_hi v[11:12], v23, off
	s_or_b32 exec_lo, exec_lo, s4
	s_and_saveexec_b32 s4, s2
	s_cbranch_execnz .LBB155_31
	s_branch .LBB155_32
.LBB155_69:
	v_add_nc_u32_e32 v11, v10, v0
	v_mov_b32_e32 v12, 0
	v_lshlrev_b64 v[11:12], 1, v[11:12]
	s_waitcnt lgkmcnt(0)
	v_add_co_u32 v11, s3, s12, v11
	v_add_co_ci_u32_e64 v12, null, s13, v12, s3
	global_store_short v[11:12], v26, off
	s_or_b32 exec_lo, exec_lo, s4
	s_and_saveexec_b32 s4, s0
	s_cbranch_execz .LBB155_35
.LBB155_70:
	v_add_nc_u32_e32 v11, v10, v6
	v_mov_b32_e32 v12, 0
	v_lshlrev_b64 v[11:12], 1, v[11:12]
	s_waitcnt lgkmcnt(0)
	v_add_co_u32 v11, s3, s12, v11
	v_add_co_ci_u32_e64 v12, null, s13, v12, s3
	global_store_short v[11:12], v25, off
	s_or_b32 exec_lo, exec_lo, s4
	s_and_saveexec_b32 s4, s1
	s_cbranch_execz .LBB155_36
.LBB155_71:
	v_add_nc_u32_e32 v11, v10, v7
	v_mov_b32_e32 v12, 0
	v_lshlrev_b64 v[11:12], 1, v[11:12]
	s_waitcnt lgkmcnt(0)
	v_add_co_u32 v11, s3, s12, v11
	v_add_co_ci_u32_e64 v12, null, s13, v12, s3
	global_store_short v[11:12], v23, off
	s_or_b32 exec_lo, exec_lo, s4
	s_and_saveexec_b32 s4, s2
	s_cbranch_execnz .LBB155_37
	s_branch .LBB155_38
.LBB155_72:
	v_add_nc_u32_e32 v11, v10, v0
	v_mov_b32_e32 v12, 0
	v_lshlrev_b64 v[11:12], 1, v[11:12]
	s_waitcnt lgkmcnt(0)
	v_add_co_u32 v11, s3, s12, v11
	v_add_co_ci_u32_e64 v12, null, s13, v12, s3
	global_store_short_d16_hi v[11:12], v21, off
	s_or_b32 exec_lo, exec_lo, s4
	s_and_saveexec_b32 s4, s0
	s_cbranch_execz .LBB155_41
.LBB155_73:
	v_add_nc_u32_e32 v11, v10, v6
	v_mov_b32_e32 v12, 0
	v_lshlrev_b64 v[11:12], 1, v[11:12]
	s_waitcnt lgkmcnt(0)
	v_add_co_u32 v11, s3, s12, v11
	v_add_co_ci_u32_e64 v12, null, s13, v12, s3
	global_store_short_d16_hi v[11:12], v20, off
	s_or_b32 exec_lo, exec_lo, s4
	s_and_saveexec_b32 s4, s1
	s_cbranch_execz .LBB155_42
.LBB155_74:
	v_add_nc_u32_e32 v11, v10, v7
	v_mov_b32_e32 v12, 0
	v_lshlrev_b64 v[11:12], 1, v[11:12]
	s_waitcnt lgkmcnt(0)
	v_add_co_u32 v11, s3, s12, v11
	v_add_co_ci_u32_e64 v12, null, s13, v12, s3
	global_store_short_d16_hi v[11:12], v19, off
	s_or_b32 exec_lo, exec_lo, s4
	s_and_saveexec_b32 s4, s2
	s_cbranch_execnz .LBB155_43
	s_branch .LBB155_44
.LBB155_75:
	v_add_nc_u32_e32 v11, v10, v0
	v_mov_b32_e32 v12, 0
	v_lshlrev_b64 v[11:12], 1, v[11:12]
	s_waitcnt lgkmcnt(0)
	v_add_co_u32 v11, s3, s12, v11
	v_add_co_ci_u32_e64 v12, null, s13, v12, s3
	global_store_short v[11:12], v21, off
	s_or_b32 exec_lo, exec_lo, s4
	s_and_saveexec_b32 s4, s0
	s_cbranch_execz .LBB155_47
.LBB155_76:
	v_add_nc_u32_e32 v11, v10, v6
	v_mov_b32_e32 v12, 0
	v_lshlrev_b64 v[11:12], 1, v[11:12]
	s_waitcnt lgkmcnt(0)
	v_add_co_u32 v11, s3, s12, v11
	v_add_co_ci_u32_e64 v12, null, s13, v12, s3
	global_store_short v[11:12], v20, off
	s_or_b32 exec_lo, exec_lo, s4
	s_and_saveexec_b32 s4, s1
	s_cbranch_execz .LBB155_48
.LBB155_77:
	v_add_nc_u32_e32 v11, v10, v7
	v_mov_b32_e32 v12, 0
	v_lshlrev_b64 v[11:12], 1, v[11:12]
	s_waitcnt lgkmcnt(0)
	v_add_co_u32 v11, s3, s12, v11
	v_add_co_ci_u32_e64 v12, null, s13, v12, s3
	global_store_short v[11:12], v19, off
	s_or_b32 exec_lo, exec_lo, s4
	s_and_saveexec_b32 s4, s2
	s_cbranch_execnz .LBB155_49
	s_branch .LBB155_50
.LBB155_78:
	v_add_nc_u32_e32 v10, v9, v0
	v_mov_b32_e32 v11, 0
	v_lshlrev_b64 v[10:11], 1, v[10:11]
	s_waitcnt lgkmcnt(0)
	v_add_co_u32 v10, s3, s12, v10
	v_add_co_ci_u32_e64 v11, null, s13, v11, s3
	global_store_short_d16_hi v[10:11], v5, off
	s_or_b32 exec_lo, exec_lo, s4
	s_and_saveexec_b32 s4, s0
	s_cbranch_execz .LBB155_53
.LBB155_79:
	v_add_nc_u32_e32 v10, v9, v6
	v_mov_b32_e32 v11, 0
	v_lshlrev_b64 v[10:11], 1, v[10:11]
	s_waitcnt lgkmcnt(0)
	v_add_co_u32 v10, s3, s12, v10
	v_add_co_ci_u32_e64 v11, null, s13, v11, s3
	global_store_short_d16_hi v[10:11], v4, off
	s_or_b32 exec_lo, exec_lo, s4
	s_and_saveexec_b32 s4, s1
	s_cbranch_execz .LBB155_54
.LBB155_80:
	v_add_nc_u32_e32 v10, v9, v7
	v_mov_b32_e32 v11, 0
	v_lshlrev_b64 v[10:11], 1, v[10:11]
	s_waitcnt lgkmcnt(0)
	v_add_co_u32 v10, s3, s12, v10
	v_add_co_ci_u32_e64 v11, null, s13, v11, s3
	global_store_short_d16_hi v[10:11], v3, off
	s_or_b32 exec_lo, exec_lo, s4
	s_and_saveexec_b32 s4, s2
	s_cbranch_execnz .LBB155_55
	s_branch .LBB155_56
.LBB155_81:
	v_add_nc_u32_e32 v9, v1, v0
	v_mov_b32_e32 v10, 0
	v_lshlrev_b64 v[9:10], 1, v[9:10]
	s_waitcnt lgkmcnt(0)
	v_add_co_u32 v9, vcc_lo, s12, v9
	v_add_co_ci_u32_e64 v10, null, s13, v10, vcc_lo
	global_store_short v[9:10], v5, off
	s_or_b32 exec_lo, exec_lo, s3
	s_and_saveexec_b32 s3, s0
	s_cbranch_execz .LBB155_59
.LBB155_82:
	v_add_nc_u32_e32 v5, v1, v6
	v_mov_b32_e32 v6, 0
	v_lshlrev_b64 v[5:6], 1, v[5:6]
	s_waitcnt lgkmcnt(0)
	v_add_co_u32 v5, vcc_lo, s12, v5
	v_add_co_ci_u32_e64 v6, null, s13, v6, vcc_lo
	global_store_short v[5:6], v4, off
	s_or_b32 exec_lo, exec_lo, s3
	s_and_saveexec_b32 s0, s1
	s_cbranch_execz .LBB155_60
.LBB155_83:
	v_add_nc_u32_e32 v4, v1, v7
	v_mov_b32_e32 v5, 0
	v_lshlrev_b64 v[4:5], 1, v[4:5]
	s_waitcnt lgkmcnt(0)
	v_add_co_u32 v4, vcc_lo, s12, v4
	v_add_co_ci_u32_e64 v5, null, s13, v5, vcc_lo
	global_store_short v[4:5], v3, off
	s_or_b32 exec_lo, exec_lo, s0
	s_and_b32 exec_lo, exec_lo, s2
	s_cbranch_execnz .LBB155_61
	s_branch .LBB155_62
	.section	.rodata,"a",@progbits
	.p2align	6, 0x0
	.amdhsa_kernel _ZL12mul_mat_q6_KIN3c104HalfELb0EEvPKvS3_PT_iiiii
		.amdhsa_group_segment_fixed_size 45136
		.amdhsa_private_segment_fixed_size 104
		.amdhsa_kernarg_size 44
		.amdhsa_user_sgpr_count 6
		.amdhsa_user_sgpr_private_segment_buffer 1
		.amdhsa_user_sgpr_dispatch_ptr 0
		.amdhsa_user_sgpr_queue_ptr 0
		.amdhsa_user_sgpr_kernarg_segment_ptr 1
		.amdhsa_user_sgpr_dispatch_id 0
		.amdhsa_user_sgpr_flat_scratch_init 0
		.amdhsa_user_sgpr_private_segment_size 0
		.amdhsa_wavefront_size32 1
		.amdhsa_uses_dynamic_stack 0
		.amdhsa_system_sgpr_private_segment_wavefront_offset 1
		.amdhsa_system_sgpr_workgroup_id_x 1
		.amdhsa_system_sgpr_workgroup_id_y 1
		.amdhsa_system_sgpr_workgroup_id_z 0
		.amdhsa_system_sgpr_workgroup_info 0
		.amdhsa_system_vgpr_workitem_id 1
		.amdhsa_next_free_vgpr 256
		.amdhsa_next_free_sgpr 24
		.amdhsa_reserve_vcc 1
		.amdhsa_reserve_flat_scratch 0
		.amdhsa_float_round_mode_32 0
		.amdhsa_float_round_mode_16_64 0
		.amdhsa_float_denorm_mode_32 3
		.amdhsa_float_denorm_mode_16_64 3
		.amdhsa_dx10_clamp 1
		.amdhsa_ieee_mode 1
		.amdhsa_fp16_overflow 0
		.amdhsa_workgroup_processor_mode 1
		.amdhsa_memory_ordered 1
		.amdhsa_forward_progress 1
		.amdhsa_shared_vgpr_count 0
		.amdhsa_exception_fp_ieee_invalid_op 0
		.amdhsa_exception_fp_denorm_src 0
		.amdhsa_exception_fp_ieee_div_zero 0
		.amdhsa_exception_fp_ieee_overflow 0
		.amdhsa_exception_fp_ieee_underflow 0
		.amdhsa_exception_fp_ieee_inexact 0
		.amdhsa_exception_int_div_zero 0
	.end_amdhsa_kernel
	.section	.text._ZL12mul_mat_q6_KIN3c104HalfELb0EEvPKvS3_PT_iiiii,"axG",@progbits,_ZL12mul_mat_q6_KIN3c104HalfELb0EEvPKvS3_PT_iiiii,comdat
.Lfunc_end155:
	.size	_ZL12mul_mat_q6_KIN3c104HalfELb0EEvPKvS3_PT_iiiii, .Lfunc_end155-_ZL12mul_mat_q6_KIN3c104HalfELb0EEvPKvS3_PT_iiiii
                                        ; -- End function
	.set _ZL12mul_mat_q6_KIN3c104HalfELb0EEvPKvS3_PT_iiiii.num_vgpr, 256
	.set _ZL12mul_mat_q6_KIN3c104HalfELb0EEvPKvS3_PT_iiiii.num_agpr, 0
	.set _ZL12mul_mat_q6_KIN3c104HalfELb0EEvPKvS3_PT_iiiii.numbered_sgpr, 24
	.set _ZL12mul_mat_q6_KIN3c104HalfELb0EEvPKvS3_PT_iiiii.num_named_barrier, 0
	.set _ZL12mul_mat_q6_KIN3c104HalfELb0EEvPKvS3_PT_iiiii.private_seg_size, 104
	.set _ZL12mul_mat_q6_KIN3c104HalfELb0EEvPKvS3_PT_iiiii.uses_vcc, 1
	.set _ZL12mul_mat_q6_KIN3c104HalfELb0EEvPKvS3_PT_iiiii.uses_flat_scratch, 0
	.set _ZL12mul_mat_q6_KIN3c104HalfELb0EEvPKvS3_PT_iiiii.has_dyn_sized_stack, 0
	.set _ZL12mul_mat_q6_KIN3c104HalfELb0EEvPKvS3_PT_iiiii.has_recursion, 0
	.set _ZL12mul_mat_q6_KIN3c104HalfELb0EEvPKvS3_PT_iiiii.has_indirect_call, 0
	.section	.AMDGPU.csdata,"",@progbits
; Kernel info:
; codeLenInByte = 22076
; TotalNumSgprs: 26
; NumVgprs: 256
; ScratchSize: 104
; MemoryBound: 0
; FloatMode: 240
; IeeeMode: 1
; LDSByteSize: 45136 bytes/workgroup (compile time only)
; SGPRBlocks: 0
; VGPRBlocks: 31
; NumSGPRsForWavesPerEU: 26
; NumVGPRsForWavesPerEU: 256
; Occupancy: 4
; WaveLimiterHint : 0
; COMPUTE_PGM_RSRC2:SCRATCH_EN: 1
; COMPUTE_PGM_RSRC2:USER_SGPR: 6
; COMPUTE_PGM_RSRC2:TRAP_HANDLER: 0
; COMPUTE_PGM_RSRC2:TGID_X_EN: 1
; COMPUTE_PGM_RSRC2:TGID_Y_EN: 1
; COMPUTE_PGM_RSRC2:TGID_Z_EN: 0
; COMPUTE_PGM_RSRC2:TIDIG_COMP_CNT: 1
	.section	.text._ZL12mul_mat_q6_KIN3c104HalfELb1EEvPKvS3_PT_iiiii,"axG",@progbits,_ZL12mul_mat_q6_KIN3c104HalfELb1EEvPKvS3_PT_iiiii,comdat
	.globl	_ZL12mul_mat_q6_KIN3c104HalfELb1EEvPKvS3_PT_iiiii ; -- Begin function _ZL12mul_mat_q6_KIN3c104HalfELb1EEvPKvS3_PT_iiiii
	.p2align	8
	.type	_ZL12mul_mat_q6_KIN3c104HalfELb1EEvPKvS3_PT_iiiii,@function
_ZL12mul_mat_q6_KIN3c104HalfELb1EEvPKvS3_PT_iiiii: ; @_ZL12mul_mat_q6_KIN3c104HalfELb1EEvPKvS3_PT_iiiii
; %bb.0:
	s_mov_b64 s[22:23], s[2:3]
	s_mov_b64 s[20:21], s[0:1]
	s_add_u32 s20, s20, s8
	s_clause 0x1
	s_load_dwordx4 s[8:11], s[4:5], 0x18
	s_load_dword s14, s[4:5], 0x28
	s_addc_u32 s21, s21, 0
	s_lshl_b32 s7, s7, 6
	v_add_nc_u32_e32 v22, s7, v1
	s_waitcnt lgkmcnt(0)
	s_cmpk_gt_i32 s8, 0xff
	s_cbranch_scc1 .LBB156_2
; %bb.1:
	v_add_nc_u32_e32 v6, s7, v1
	s_mov_b32 s0, 0
	s_branch .LBB156_3
.LBB156_2:
	s_mov_b32 s0, -1
                                        ; implicit-def: $vgpr6
.LBB156_3:
	s_load_dwordx2 s[12:13], s[4:5], 0x10
	v_mov_b32_e32 v2, 0
	v_mov_b32_e32 v9, 0
	;; [unrolled: 1-line block ×16, first 2 shown]
	s_lshl_b32 s6, s6, 7
	s_andn2_b32 vcc_lo, exec_lo, s0
	s_mov_b32 s15, 0
	s_cbranch_vccnz .LBB156_11
; %bb.4:
	s_load_dwordx4 s[0:3], s[4:5], 0x0
	v_and_b32_e32 v7, 31, v0
	s_ashr_i32 s4, s8, 31
	s_ashr_i32 s5, s11, 31
	s_lshr_b32 s4, s4, 24
	v_lshrrev_b32_e32 v6, 1, v0
	v_lshlrev_b32_e32 v3, 1, v7
	v_cmp_gt_u32_e32 vcc_lo, 16, v7
	s_add_i32 s4, s8, s4
	v_and_b32_e32 v2, 7, v0
	s_ashr_i32 s4, s4, 8
	v_add_nc_u32_e32 v5, 0xe0, v3
	s_lshr_b32 s5, s5, 27
	s_mul_i32 s8, s4, s6
	s_add_i32 s5, s11, s5
	s_mul_hi_i32 s16, s8, 0xd2
	v_cndmask_b32_e32 v5, v5, v3, vcc_lo
	s_mulk_i32 s8, 0xd2
	s_ashr_i32 s11, s5, 5
	v_and_or_b32 v6, v6, 8, v2
	s_waitcnt lgkmcnt(0)
	s_add_u32 s5, s0, s8
	v_and_b32_e32 v2, 0xfe, v5
	s_addc_u32 s8, s1, s16
	s_not_b32 s0, s6
	v_add_nc_u16 v4, v7, -16
	s_add_i32 s0, s9, s0
	v_sub_nc_u32_e32 v5, v3, v2
	v_and_b32_e32 v3, 15, v0
	v_min_i32_e32 v2, s0, v1
	v_cndmask_b32_e32 v4, v4, v7, vcc_lo
	v_add_nc_u32_e32 v23, 8, v1
	v_lshlrev_b32_e32 v102, 2, v6
	v_add_lshl_u32 v3, v5, v3, 2
	v_mul_lo_u32 v5, v2, s4
	v_cmp_lt_u16_e32 vcc_lo, 7, v4
	v_min_i32_e32 v4, s0, v23
	v_add_nc_u32_e32 v32, 16, v1
	v_add_nc_u32_e32 v24, 24, v1
	;; [unrolled: 1-line block ×5, first 2 shown]
	buffer_store_dword v5, off, s[20:23], 0 offset:28 ; 4-byte Folded Spill
	v_mad_u64_u32 v[5:6], null, 0x104, v2, v[3:4]
	v_mul_lo_u32 v2, v4, s4
	v_add_nc_u32_e32 v27, 56, v1
	buffer_store_dword v5, off, s[20:23], 0 offset:32 ; 4-byte Folded Spill
	buffer_store_dword v6, off, s[20:23], 0 offset:36 ; 4-byte Folded Spill
	v_mad_u64_u32 v[4:5], null, 0x104, v4, v[3:4]
	buffer_store_dword v2, off, s[20:23], 0 offset:40 ; 4-byte Folded Spill
	v_min_i32_e32 v2, s0, v32
	buffer_store_dword v4, off, s[20:23], 0 offset:44 ; 4-byte Folded Spill
	buffer_store_dword v5, off, s[20:23], 0 offset:48 ; 4-byte Folded Spill
	v_mul_lo_u32 v4, v2, s4
	v_lshlrev_b32_e32 v101, 2, v7
	v_lshlrev_b32_e32 v115, 5, v1
	s_add_i32 s1, s10, -1
	v_add_nc_u32_e32 v10, 16, v22
	v_add_nc_u32_e32 v13, 24, v22
	;; [unrolled: 1-line block ×4, first 2 shown]
	buffer_store_dword v4, off, s[20:23], 0 offset:52 ; 4-byte Folded Spill
	v_min_i32_e32 v4, s0, v24
	v_cvt_f64_u32_e32 v[10:11], v10
	v_cvt_f64_u32_e32 v[14:15], v14
	v_add_nc_u32_e32 v20, 48, v22
	v_cvt_f64_u32_e32 v[16:17], v16
	v_mad_u64_u32 v[5:6], null, 0x104, v2, v[3:4]
	v_min_i32_e32 v2, s0, v33
	buffer_store_dword v5, off, s[20:23], 0 offset:56 ; 4-byte Folded Spill
	buffer_store_dword v6, off, s[20:23], 0 offset:60 ; 4-byte Folded Spill
	v_mul_lo_u32 v5, v4, s4
	v_lshrrev_b32_e32 v34, 5, v0
	v_lshlrev_b32_e32 v126, 2, v0
	v_mov_b32_e32 v18, 0
	v_lshrrev_b32_e32 v128, 3, v0
	v_mul_u32_u24_e32 v151, 0x104, v0
	v_cndmask_b32_e64 v103, 0, 2, vcc_lo
	v_lshlrev_b32_e32 v144, 5, v23
	buffer_store_dword v5, off, s[20:23], 0 offset:64 ; 4-byte Folded Spill
	v_mad_u64_u32 v[4:5], null, 0x104, v4, v[3:4]
	buffer_store_dword v4, off, s[20:23], 0 offset:68 ; 4-byte Folded Spill
	buffer_store_dword v5, off, s[20:23], 0 offset:72 ; 4-byte Folded Spill
	v_mul_lo_u32 v4, v2, s4
	v_lshlrev_b32_e32 v145, 5, v32
	v_lshlrev_b32_e32 v146, 5, v24
	;; [unrolled: 1-line block ×6, first 2 shown]
	buffer_store_dword v4, off, s[20:23], 0 offset:76 ; 4-byte Folded Spill
	v_min_i32_e32 v4, s0, v25
	v_mad_u64_u32 v[5:6], null, 0x104, v2, v[3:4]
	v_mul_lo_u32 v2, v4, s4
	buffer_store_dword v5, off, s[20:23], 0 offset:80 ; 4-byte Folded Spill
	buffer_store_dword v6, off, s[20:23], 0 offset:84 ; 4-byte Folded Spill
	v_mad_u64_u32 v[4:5], null, 0x104, v4, v[3:4]
	buffer_store_dword v2, off, s[20:23], 0 offset:88 ; 4-byte Folded Spill
	v_min_i32_e32 v2, s0, v26
	buffer_store_dword v4, off, s[20:23], 0 offset:92 ; 4-byte Folded Spill
	buffer_store_dword v5, off, s[20:23], 0 offset:96 ; 4-byte Folded Spill
	v_mul_lo_u32 v6, v2, s4
	v_min_i32_e32 v4, s0, v27
	v_add_nc_u32_e32 v5, 64, v1
	buffer_store_dword v6, off, s[20:23], 0 offset:100 ; 4-byte Folded Spill
	v_mad_u64_u32 v[6:7], null, 0x104, v2, v[3:4]
	v_mul_lo_u32 v2, v4, s4
	buffer_store_dword v6, off, s[20:23], 0 offset:104 ; 4-byte Folded Spill
	buffer_store_dword v7, off, s[20:23], 0 offset:108 ; 4-byte Folded Spill
	v_mad_u64_u32 v[6:7], null, 0x104, v4, v[3:4]
	buffer_store_dword v2, off, s[20:23], 0 offset:112 ; 4-byte Folded Spill
	v_min_i32_e32 v2, s0, v5
	buffer_store_dword v6, off, s[20:23], 0 offset:116 ; 4-byte Folded Spill
	buffer_store_dword v7, off, s[20:23], 0 offset:120 ; 4-byte Folded Spill
	v_mul_lo_u32 v6, v2, s4
	v_add_nc_u32_e32 v4, 0x50, v1
	v_add_nc_u32_e32 v5, 0x48, v1
	v_min_i32_e32 v5, s0, v5
	buffer_store_dword v6, off, s[20:23], 0 offset:124 ; 4-byte Folded Spill
	v_mad_u64_u32 v[6:7], null, 0x104, v2, v[3:4]
	buffer_store_dword v6, off, s[20:23], 0 offset:128 ; 4-byte Folded Spill
	buffer_store_dword v7, off, s[20:23], 0 offset:132 ; 4-byte Folded Spill
	v_mul_lo_u32 v6, v5, s4
	v_min_i32_e32 v2, s0, v4
	v_add_nc_u32_e32 v4, 0x58, v1
	buffer_store_dword v6, off, s[20:23], 0 offset:136 ; 4-byte Folded Spill
	v_mad_u64_u32 v[5:6], null, 0x104, v5, v[3:4]
	buffer_store_dword v5, off, s[20:23], 0 offset:140 ; 4-byte Folded Spill
	buffer_store_dword v6, off, s[20:23], 0 offset:144 ; 4-byte Folded Spill
	v_mul_lo_u32 v5, v2, s4
	v_min_i32_e32 v4, s0, v4
	v_mad_u64_u32 v[6:7], null, 0x104, v2, v[3:4]
	v_mul_lo_u32 v2, v4, s4
	buffer_store_dword v5, off, s[20:23], 0 offset:148 ; 4-byte Folded Spill
	v_add_nc_u32_e32 v5, 0x60, v1
	buffer_store_dword v6, off, s[20:23], 0 offset:152 ; 4-byte Folded Spill
	buffer_store_dword v7, off, s[20:23], 0 offset:156 ; 4-byte Folded Spill
	v_mad_u64_u32 v[7:8], null, 0x104, v4, v[3:4]
	buffer_store_dword v2, off, s[20:23], 0 offset:160 ; 4-byte Folded Spill
	v_min_i32_e32 v2, s0, v5
	v_add_nc_u32_e32 v5, v115, v0
	v_add_nc_u32_e32 v6, 0x68, v1
	buffer_store_dword v7, off, s[20:23], 0 offset:164 ; 4-byte Folded Spill
	buffer_store_dword v8, off, s[20:23], 0 offset:168 ; 4-byte Folded Spill
	v_mul_lo_u32 v4, v2, s4
	buffer_store_dword v4, off, s[20:23], 0 offset:172 ; 4-byte Folded Spill
	v_and_b32_e32 v4, 0x7f, v5
	v_min_i32_e32 v5, s0, v6
	v_add_nc_u32_e32 v6, 0x70, v1
	v_mad_u64_u32 v[7:8], null, 0x104, v2, v[3:4]
	v_min_i32_e32 v28, s0, v4
	v_mul_lo_u32 v4, v5, s4
	buffer_store_dword v7, off, s[20:23], 0 offset:176 ; 4-byte Folded Spill
	buffer_store_dword v8, off, s[20:23], 0 offset:180 ; 4-byte Folded Spill
	v_lshrrev_b32_e32 v2, 2, v0
	v_ashrrev_i32_e32 v7, 31, v28
	buffer_store_dword v4, off, s[20:23], 0 offset:184 ; 4-byte Folded Spill
	v_min_i32_e32 v4, s0, v6
	v_add_nc_u32_e32 v6, 0x78, v1
	v_lshl_add_u32 v29, v1, 3, v2
	v_mad_u64_u32 v[8:9], null, 0x104, v5, v[3:4]
	v_mul_lo_u32 v2, v4, s4
	buffer_store_dword v8, off, s[20:23], 0 offset:188 ; 4-byte Folded Spill
	buffer_store_dword v9, off, s[20:23], 0 offset:192 ; 4-byte Folded Spill
	v_lshrrev_b32_e32 v5, 27, v7
	buffer_store_dword v2, off, s[20:23], 0 offset:196 ; 4-byte Folded Spill
	v_min_i32_e32 v2, s0, v6
	v_mad_u64_u32 v[6:7], null, 0x104, v4, v[3:4]
	buffer_store_dword v6, off, s[20:23], 0 offset:200 ; 4-byte Folded Spill
	buffer_store_dword v7, off, s[20:23], 0 offset:204 ; 4-byte Folded Spill
	v_mul_lo_u32 v4, v2, s4
	v_add_nc_u32_e32 v19, v28, v5
	v_cvt_f64_u32_e32 v[6:7], v22
	v_and_b32_e32 v12, 0x7f, v29
	v_add_nc_u32_e32 v8, 8, v22
	buffer_store_dword v22, off, s[20:23], 0 offset:260 ; 4-byte Folded Spill
	v_ashrrev_i32_e32 v31, 5, v19
	v_cvt_f64_u32_e32 v[19:20], v20
	buffer_store_dword v4, off, s[20:23], 0 offset:208 ; 4-byte Folded Spill
	v_cvt_f64_i32_e32 v[4:5], s1
	v_min_i32_e32 v30, s0, v12
	v_cvt_f64_u32_e32 v[8:9], v8
	v_xor_b32_e32 v21, 64, v12
	v_cvt_f64_u32_e32 v[12:13], v13
	v_add_nc_u32_e32 v22, 56, v22
	v_lshlrev_b32_e32 v31, 2, v31
	v_ashrrev_i32_e32 v37, 31, v30
	v_min_i32_e32 v38, s0, v21
	s_movk_i32 s0, 0x2080
	v_cvt_f64_u32_e32 v[21:22], v22
	v_mad_u32_u24 v152, 0x104, v0, s0
	v_lshrrev_b32_e32 v36, 29, v37
	v_ashrrev_i32_e32 v37, 31, v38
	s_movk_i32 s0, 0x4100
	v_mad_u32_u24 v153, 0x104, v0, s0
	v_add_nc_u32_e32 v36, v30, v36
	v_lshrrev_b32_e32 v37, 29, v37
	v_mad_u64_u32 v[2:3], null, 0x104, v2, v[3:4]
	buffer_store_dword v2, off, s[20:23], 0 offset:212 ; 4-byte Folded Spill
	buffer_store_dword v3, off, s[20:23], 0 offset:216 ; 4-byte Folded Spill
	v_mul_lo_u32 v2, v28, s4
	v_min_f64 v[19:20], v[19:20], v[4:5]
	v_ashrrev_i32_e32 v36, 3, v36
	v_add_nc_u32_e32 v37, v38, v37
	buffer_store_dword v2, off, s[20:23], 0 offset:220 ; 4-byte Folded Spill
	v_min_f64 v[2:3], v[6:7], v[4:5]
	v_min_f64 v[6:7], v[8:9], v[4:5]
	;; [unrolled: 1-line block ×6, first 2 shown]
	v_and_b32_e32 v10, 3, v0
	v_lshlrev_b32_e32 v17, 2, v28
	v_min_f64 v[4:5], v[21:22], v[4:5]
	v_lshlrev_b32_e32 v28, 2, v36
	v_ashrrev_i32_e32 v36, 3, v37
	v_lshlrev_b32_e32 v122, 2, v10
	v_add3_u32 v17, v31, v17, 0xae40
	v_lshlrev_b32_e32 v21, 4, v30
	v_lshlrev_b32_e32 v22, 2, v36
	buffer_store_dword v17, off, s[20:23], 0 offset:224 ; 4-byte Folded Spill
	v_mul_lo_u32 v17, v30, s4
	v_cvt_i32_f64_e32 v2, v[2:3]
	v_mul_lo_u32 v3, v38, s4
	buffer_store_dword v17, off, s[20:23], 0 offset:228 ; 4-byte Folded Spill
	v_add3_u32 v17, v28, v122, 0xa200
	v_cvt_i32_f64_e32 v4, v[4:5]
	buffer_store_dword v3, off, s[20:23], 0 offset:232 ; 4-byte Folded Spill
	v_cvt_i32_f64_e32 v3, v[6:7]
	v_cvt_i32_f64_e32 v7, v[8:9]
	;; [unrolled: 1-line block ×4, first 2 shown]
	v_and_b32_e32 v6, 63, v29
	v_cvt_i32_f64_e32 v13, v[15:16]
	v_cvt_i32_f64_e32 v15, v[19:20]
	v_and_b32_e32 v16, 28, v126
	v_add3_u32 v8, v22, v122, 0xa200
	v_or_b32_e32 v12, s7, v6
	v_lshl_or_b32 v6, v6, 4, v122
	v_lshlrev_b32_e32 v14, 4, v38
	v_mul_lo_u32 v2, s11, v2
	v_or_b32_e32 v5, 0x8200, v101
	v_min_i32_e32 v12, s1, v12
	v_add_nc_u32_e32 v6, 0xaa40, v6
	s_movk_i32 s1, 0x6180
	v_add_co_u32 v53, s0, s2, v16
	v_mad_u32_u24 v154, 0x104, v0, s1
	v_mul_lo_u32 v136, s11, v4
	v_add_nc_u32_e32 v4, 0x60, v0
	v_add_co_ci_u32_e64 v54, null, s3, 0, s0
	v_mad_u64_u32 v[19:20], null, v12, s11, v[10:11]
	buffer_store_dword v19, off, s[20:23], 0 offset:236 ; 4-byte Folded Spill
	buffer_store_dword v20, off, s[20:23], 0 offset:240 ; 4-byte Folded Spill
	buffer_store_dword v6, off, s[20:23], 0 ; 4-byte Folded Spill
	buffer_store_dword v2, off, s[20:23], 0 offset:4 ; 4-byte Folded Spill
	buffer_store_dword v1, off, s[20:23], 0 offset:252 ; 4-byte Folded Spill
	v_lshlrev_b32_e32 v2, 7, v1
	v_mul_lo_u32 v1, s11, v3
	v_mul_lo_u32 v134, s11, v13
	v_add_nc_u32_e32 v13, 64, v0
	v_mul_lo_u32 v135, s11, v15
	v_lshlrev_b32_e32 v15, 2, v34
	v_lshrrev_b32_e32 v139, 3, v4
	v_lshlrev_b32_e32 v3, 7, v23
	v_lshrrev_b32_e32 v138, 3, v13
	buffer_store_dword v1, off, s[20:23], 0 offset:8 ; 4-byte Folded Spill
	v_mul_lo_u32 v1, s11, v7
	v_lshlrev_b32_e32 v6, 7, v32
	v_lshlrev_b32_e32 v7, 7, v24
	;; [unrolled: 1-line block ×5, first 2 shown]
	v_add3_u32 v140, v126, v15, 0xae40
	v_and_b32_e32 v15, 60, v138
	buffer_store_dword v1, off, s[20:23], 0 offset:12 ; 4-byte Folded Spill
	v_mul_lo_u32 v1, s11, v9
	v_lshlrev_b32_e32 v9, 7, v33
	v_and_b32_e32 v22, 60, v139
	v_lshlrev_b32_e32 v13, 2, v13
	v_lshlrev_b32_e32 v4, 2, v4
	buffer_store_dword v0, off, s[20:23], 0 offset:256 ; 4-byte Folded Spill
	v_add3_u32 v142, v126, v15, 0xae40
	v_add3_u32 v143, v126, v22, 0xae40
	buffer_store_dword v1, off, s[20:23], 0 offset:16 ; 4-byte Folded Spill
	v_mul_lo_u32 v1, s11, v11
	v_add_nc_u32_e32 v11, 32, v0
	v_add_nc_u32_e32 v0, v17, v21
	;; [unrolled: 1-line block ×5, first 2 shown]
	v_lshrrev_b32_e32 v137, 3, v11
	v_lshlrev_b32_e32 v11, 2, v11
	buffer_store_dword v0, off, s[20:23], 0 offset:244 ; 4-byte Folded Spill
	v_add_nc_u32_e32 v0, v8, v14
	v_add_nc_u32_e32 v160, v5, v7
	v_and_b32_e32 v19, 60, v137
	v_add_nc_u32_e32 v161, v5, v9
	v_add_nc_u32_e32 v162, v5, v10
	;; [unrolled: 1-line block ×4, first 2 shown]
	v_add3_u32 v141, v126, v19, 0xae40
	v_mov_b32_e32 v19, v18
	v_lshlrev_b32_e32 v165, 2, v11
	v_lshlrev_b32_e32 v166, 2, v13
	;; [unrolled: 1-line block ×3, first 2 shown]
	buffer_store_dword v1, off, s[20:23], 0 offset:20 ; 4-byte Folded Spill
	v_mov_b32_e32 v60, v19
	v_mov_b32_e32 v48, v19
	;; [unrolled: 1-line block ×30, first 2 shown]
	buffer_store_dword v34, off, s[20:23], 0 offset:24 ; 4-byte Folded Spill
	buffer_store_dword v0, off, s[20:23], 0 offset:248 ; 4-byte Folded Spill
.LBB156_5:                              ; =>This Loop Header: Depth=1
                                        ;     Child Loop BB156_6 Depth 2
                                        ;     Child Loop BB156_8 Depth 2
	buffer_load_dword v0, off, s[20:23], 0 offset:24 ; 4-byte Folded Reload
	s_mul_i32 s0, s15, 0xd2
	s_mul_hi_u32 s1, s15, 0xd2
	s_add_u32 s0, s5, s0
	s_addc_u32 s1, s8, s1
	s_mov_b32 s9, 0
	s_waitcnt vmcnt(0)
	v_mad_u64_u32 v[2:3], null, 0xd2, v0, s[0:1]
	buffer_load_dword v0, off, s[20:23], 0 offset:28 ; 4-byte Folded Reload
	s_waitcnt vmcnt(0)
	v_mad_i64_i32 v[4:5], null, 0xd2, v0, v[2:3]
	buffer_load_dword v0, off, s[20:23], 0 offset:40 ; 4-byte Folded Reload
	v_add_co_u32 v10, vcc_lo, v4, v101
	v_add_co_ci_u32_e64 v11, null, 0, v5, vcc_lo
	v_add_co_u32 v4, vcc_lo, v4, v102
	v_add_co_ci_u32_e64 v5, null, 0, v5, vcc_lo
	s_waitcnt vmcnt(0)
	v_mad_i64_i32 v[6:7], null, 0xd2, v0, v[2:3]
	buffer_load_dword v0, off, s[20:23], 0 offset:52 ; 4-byte Folded Reload
	v_add_co_u32 v12, vcc_lo, v6, v101
	v_add_co_ci_u32_e64 v13, null, 0, v7, vcc_lo
	v_add_co_u32 v6, vcc_lo, v6, v102
	v_add_co_ci_u32_e64 v7, null, 0, v7, vcc_lo
	;; [unrolled: 7-line block ×4, first 2 shown]
	s_waitcnt vmcnt(0)
	v_mad_i64_i32 v[20:21], null, 0xd2, v0, v[2:3]
	v_add_co_u32 v76, vcc_lo, v20, v101
	v_add_co_ci_u32_e64 v77, null, 0, v21, vcc_lo
	s_clause 0x8
	global_load_dword v72, v[10:11], off
	global_load_dword v73, v[4:5], off offset:128
	global_load_dword v70, v[12:13], off
	global_load_dword v71, v[6:7], off offset:128
	;; [unrolled: 2-line block ×4, first 2 shown]
	global_load_dword v69, v[76:77], off
	buffer_load_dword v0, off, s[20:23], 0 offset:88 ; 4-byte Folded Reload
	v_add_co_u32 v6, vcc_lo, v20, v102
	v_add_co_ci_u32_e64 v7, null, 0, v21, vcc_lo
	s_waitcnt vmcnt(6)
	v_ashrrev_i32_e32 v71, v103, v71
	s_waitcnt vmcnt(4)
	v_ashrrev_i32_e32 v17, v103, v17
	;; [unrolled: 2-line block ×3, first 2 shown]
	s_waitcnt vmcnt(0)
	v_mad_i64_i32 v[4:5], null, 0xd2, v0, v[2:3]
	buffer_load_dword v0, off, s[20:23], 0 offset:100 ; 4-byte Folded Reload
	v_add_co_u32 v10, vcc_lo, v4, v101
	v_add_co_ci_u32_e64 v11, null, 0, v5, vcc_lo
	v_add_co_u32 v4, vcc_lo, v4, v102
	v_add_co_ci_u32_e64 v5, null, 0, v5, vcc_lo
	s_waitcnt vmcnt(0)
	v_mad_i64_i32 v[8:9], null, 0xd2, v0, v[2:3]
	v_add_co_u32 v12, vcc_lo, v8, v101
	v_add_co_ci_u32_e64 v13, null, 0, v9, vcc_lo
	v_add_co_u32 v8, vcc_lo, v8, v102
	v_add_co_ci_u32_e64 v9, null, 0, v9, vcc_lo
	s_clause 0x4
	global_load_dword v0, v[6:7], off offset:128
	global_load_dword v1, v[10:11], off
	global_load_dword v24, v[4:5], off offset:128
	global_load_dword v25, v[12:13], off
	global_load_dword v26, v[8:9], off offset:128
	buffer_load_dword v4, off, s[20:23], 0 offset:112 ; 4-byte Folded Reload
	s_waitcnt vmcnt(5)
	v_ashrrev_i32_e32 v0, v103, v0
	s_waitcnt vmcnt(3)
	v_ashrrev_i32_e32 v24, v103, v24
	;; [unrolled: 2-line block ×3, first 2 shown]
	s_waitcnt vmcnt(0)
	v_mad_i64_i32 v[4:5], null, 0xd2, v4, v[2:3]
	v_add_co_u32 v6, vcc_lo, v4, v101
	v_add_co_ci_u32_e64 v7, null, 0, v5, vcc_lo
	v_add_co_u32 v8, vcc_lo, v4, v102
	buffer_load_dword v4, off, s[20:23], 0 offset:124 ; 4-byte Folded Reload
	v_add_co_ci_u32_e64 v9, null, 0, v5, vcc_lo
	s_waitcnt vmcnt(0)
	v_mad_i64_i32 v[12:13], null, 0xd2, v4, v[2:3]
	buffer_load_dword v4, off, s[20:23], 0 offset:136 ; 4-byte Folded Reload
	v_add_co_u32 v76, vcc_lo, v12, v101
	v_add_co_ci_u32_e64 v77, null, 0, v13, vcc_lo
	v_add_co_u32 v12, vcc_lo, v12, v102
	v_add_co_ci_u32_e64 v13, null, 0, v13, vcc_lo
	s_waitcnt vmcnt(0)
	v_mad_i64_i32 v[20:21], null, 0xd2, v4, v[2:3]
	s_clause 0x1
	global_load_dword v4, v[6:7], off
	global_load_dword v11, v[8:9], off offset:128
	s_clause 0x4
	buffer_load_dword v5, off, s[20:23], 0 offset:148
	buffer_load_dword v7, off, s[20:23], 0 offset:160
	;; [unrolled: 1-line block ×5, first 2 shown]
	v_add_co_u32 v78, vcc_lo, v20, v101
	v_add_co_ci_u32_e64 v79, null, 0, v21, vcc_lo
	v_add_co_u32 v20, vcc_lo, v20, v102
	v_add_co_ci_u32_e64 v21, null, 0, v21, vcc_lo
	s_waitcnt vmcnt(5)
	v_ashrrev_i32_e32 v11, v103, v11
	s_waitcnt vmcnt(4)
	v_mad_i64_i32 v[5:6], null, 0xd2, v5, v[2:3]
	s_waitcnt vmcnt(3)
	v_mad_i64_i32 v[7:8], null, 0xd2, v7, v[2:3]
	;; [unrolled: 2-line block ×4, first 2 shown]
	v_add_co_u32 v80, vcc_lo, v5, v101
	v_add_co_ci_u32_e64 v81, null, 0, v6, vcc_lo
	v_add_co_u32 v5, vcc_lo, v5, v102
	v_add_co_ci_u32_e64 v6, null, 0, v6, vcc_lo
	;; [unrolled: 2-line block ×3, first 2 shown]
	v_add_co_u32 v7, vcc_lo, v7, v102
	s_waitcnt vmcnt(0)
	v_mad_i64_i32 v[74:75], null, 0xd2, v27, v[2:3]
	v_add_co_ci_u32_e64 v8, null, 0, v8, vcc_lo
	v_add_co_u32 v84, vcc_lo, v9, v101
	v_add_co_ci_u32_e64 v85, null, 0, v10, vcc_lo
	v_add_co_u32 v86, vcc_lo, v9, v102
	;; [unrolled: 2-line block ×6, first 2 shown]
	v_add_co_ci_u32_e64 v75, null, 0, v75, vcc_lo
	s_clause 0xd
	global_load_dword v27, v[76:77], off
	global_load_dword v28, v[12:13], off offset:128
	global_load_dword v29, v[78:79], off
	global_load_dword v30, v[20:21], off offset:128
	;; [unrolled: 2-line block ×7, first 2 shown]
	s_clause 0x1
	buffer_load_dword v32, off, s[20:23], 0 offset:32
	buffer_load_dword v33, off, s[20:23], 0 offset:36
	v_lshrrev_b32_e32 v21, 4, v72
	v_ashrrev_i32_e32 v22, v103, v73
	v_and_b32_e32 v20, 0xf0f0f0f, v72
	v_and_b32_e32 v23, 0xf0f0f0f, v70
	v_lshrrev_b32_e32 v70, 4, v70
	v_and_b32_e32 v72, 0xf0f0f0f, v16
	v_lshrrev_b32_e32 v16, 4, v16
	v_and_b32_e32 v21, 0xf0f0f0f, v21
	v_lshlrev_b32_e32 v77, 4, v22
	v_and_b32_e32 v73, 0xf0f0f0f, v14
	v_and_b32_e32 v70, 0xf0f0f0f, v70
	v_lshlrev_b32_e32 v79, 4, v71
	v_and_b32_e32 v16, 0xf0f0f0f, v16
	v_lshlrev_b32_e32 v80, 4, v17
	v_lshlrev_b32_e32 v81, 4, v15
	v_and_or_b32 v20, 0x30303030, v77, v20
	v_and_or_b32 v21, 0x30303030, v22, v21
	v_lshrrev_b32_e32 v14, 4, v14
	v_and_or_b32 v22, 0x30303030, v79, v23
	v_and_or_b32 v23, 0x30303030, v71, v70
	;; [unrolled: 1-line block ×5, first 2 shown]
	v_lshrrev_b32_e32 v71, 16, v20
	v_and_b32_e32 v72, 0x3f00, v20
	v_lshlrev_b16 v20, 8, v20
	v_lshrrev_b32_e32 v73, 16, v21
	v_and_b32_e32 v74, 0xf0f0f0f, v69
	v_and_b32_e32 v14, 0xf0f0f0f, v14
	v_lshlrev_b32_e32 v82, 4, v0
	v_add_nc_u16 v20, 0xe000, v20
	v_and_b32_e32 v98, 0x3f00, v71
	v_lshlrev_b16 v71, 8, v71
	v_and_b32_e32 v99, 0x3f00, v73
	v_lshlrev_b16 v73, 8, v73
	v_and_or_b32 v14, 0x30303030, v15, v14
	v_and_or_b32 v15, 0x30303030, v82, v74
	v_and_b32_e32 v74, 0x3f00, v21
	v_lshlrev_b16 v21, 8, v21
	v_or_b32_sdwa v20, v72, v20 dst_sel:DWORD dst_unused:UNUSED_PAD src0_sel:DWORD src1_sel:BYTE_1
	v_add_nc_u16 v71, 0xe000, v71
	v_add_nc_u16 v72, 0xe000, v73
	v_lshrrev_b32_e32 v69, 4, v69
	v_add_nc_u16 v21, 0xe000, v21
	v_add_nc_u16 v20, 0xe000, v20
	v_or_b32_sdwa v71, v98, v71 dst_sel:DWORD dst_unused:UNUSED_PAD src0_sel:DWORD src1_sel:BYTE_1
	v_or_b32_sdwa v72, v99, v72 dst_sel:DWORD dst_unused:UNUSED_PAD src0_sel:DWORD src1_sel:BYTE_1
	v_and_b32_e32 v75, 0xf0f0f0f, v1
	v_or_b32_sdwa v21, v74, v21 dst_sel:DWORD dst_unused:UNUSED_PAD src0_sel:DWORD src1_sel:BYTE_1
	v_and_b32_e32 v69, 0xf0f0f0f, v69
	v_add_nc_u16 v71, 0xe000, v71
	v_add_nc_u16 v72, 0xe000, v72
	v_lshlrev_b32_e32 v83, 4, v24
	v_add_nc_u16 v21, 0xe000, v21
	v_lshrrev_b32_e32 v1, 4, v1
	v_lshlrev_b32_e32 v71, 16, v71
	v_lshlrev_b32_e32 v72, 16, v72
	v_and_or_b32 v0, 0x30303030, v0, v69
	v_and_or_b32 v69, 0x30303030, v83, v75
	v_lshrrev_b32_e32 v75, 16, v22
	v_or_b32_sdwa v20, v20, v71 dst_sel:DWORD dst_unused:UNUSED_PAD src0_sel:WORD_0 src1_sel:DWORD
	v_or_b32_sdwa v21, v21, v72 dst_sel:DWORD dst_unused:UNUSED_PAD src0_sel:WORD_0 src1_sel:DWORD
	v_lshrrev_b32_e32 v77, 16, v23
	v_and_b32_e32 v76, 0xf0f0f0f, v25
	v_and_b32_e32 v1, 0xf0f0f0f, v1
	v_lshlrev_b32_e32 v84, 4, v26
	v_and_b32_e32 v100, 0x3f00, v75
	v_lshlrev_b16 v75, 8, v75
	v_and_b32_e32 v104, 0x3f00, v77
	v_lshlrev_b16 v77, 8, v77
	v_and_or_b32 v1, 0x30303030, v24, v1
	v_and_or_b32 v24, 0x30303030, v84, v76
	v_and_b32_e32 v76, 0x3f00, v22
	v_lshlrev_b16 v22, 8, v22
	v_and_b32_e32 v79, 0x3f00, v23
	v_lshlrev_b16 v23, 8, v23
	v_add_nc_u16 v73, 0xe000, v75
	v_add_nc_u16 v74, 0xe000, v77
	v_add_nc_u16 v22, 0xe000, v22
	v_lshrrev_b32_e32 v80, 16, v70
	v_add_nc_u16 v23, 0xe000, v23
	v_or_b32_sdwa v73, v100, v73 dst_sel:DWORD dst_unused:UNUSED_PAD src0_sel:DWORD src1_sel:BYTE_1
	v_or_b32_sdwa v74, v104, v74 dst_sel:DWORD dst_unused:UNUSED_PAD src0_sel:DWORD src1_sel:BYTE_1
	v_or_b32_sdwa v22, v76, v22 dst_sel:DWORD dst_unused:UNUSED_PAD src0_sel:DWORD src1_sel:BYTE_1
	v_lshrrev_b32_e32 v82, 16, v16
	v_or_b32_sdwa v23, v79, v23 dst_sel:DWORD dst_unused:UNUSED_PAD src0_sel:DWORD src1_sel:BYTE_1
	v_add_nc_u16 v73, 0xe000, v73
	v_add_nc_u16 v74, 0xe000, v74
	v_add_nc_u16 v22, 0xe000, v22
	v_and_b32_e32 v105, 0x3f00, v80
	v_add_nc_u16 v23, 0xe000, v23
	v_lshlrev_b32_e32 v73, 16, v73
	v_lshlrev_b32_e32 v74, 16, v74
	v_lshlrev_b16 v80, 8, v80
	v_and_b32_e32 v106, 0x3f00, v82
	v_lshlrev_b16 v82, 8, v82
	v_or_b32_sdwa v22, v22, v73 dst_sel:DWORD dst_unused:UNUSED_PAD src0_sel:WORD_0 src1_sel:DWORD
	v_or_b32_sdwa v23, v23, v74 dst_sel:DWORD dst_unused:UNUSED_PAD src0_sel:WORD_0 src1_sel:DWORD
	v_and_b32_e32 v81, 0x3f00, v70
	v_lshlrev_b16 v70, 8, v70
	v_and_b32_e32 v83, 0x3f00, v16
	v_lshlrev_b16 v16, 8, v16
	v_add_nc_u16 v75, 0xe000, v80
	v_add_nc_u16 v76, 0xe000, v82
	v_add_nc_u16 v70, 0xe000, v70
	v_lshrrev_b32_e32 v84, 16, v17
	v_add_nc_u16 v16, 0xe000, v16
	v_or_b32_sdwa v75, v105, v75 dst_sel:DWORD dst_unused:UNUSED_PAD src0_sel:DWORD src1_sel:BYTE_1
	v_or_b32_sdwa v76, v106, v76 dst_sel:DWORD dst_unused:UNUSED_PAD src0_sel:DWORD src1_sel:BYTE_1
	v_or_b32_sdwa v70, v81, v70 dst_sel:DWORD dst_unused:UNUSED_PAD src0_sel:DWORD src1_sel:BYTE_1
	v_lshrrev_b32_e32 v86, 16, v14
	v_or_b32_sdwa v16, v83, v16 dst_sel:DWORD dst_unused:UNUSED_PAD src0_sel:DWORD src1_sel:BYTE_1
	v_add_nc_u16 v75, 0xe000, v75
	v_add_nc_u16 v76, 0xe000, v76
	v_add_nc_u16 v70, 0xe000, v70
	v_and_b32_e32 v107, 0x3f00, v84
	v_add_nc_u16 v16, 0xe000, v16
	v_lshlrev_b32_e32 v75, 16, v75
	v_lshlrev_b32_e32 v76, 16, v76
	v_lshlrev_b16 v84, 8, v84
	v_and_b32_e32 v108, 0x3f00, v86
	v_lshlrev_b16 v86, 8, v86
	v_or_b32_sdwa v70, v70, v75 dst_sel:DWORD dst_unused:UNUSED_PAD src0_sel:WORD_0 src1_sel:DWORD
	v_or_b32_sdwa v16, v16, v76 dst_sel:DWORD dst_unused:UNUSED_PAD src0_sel:WORD_0 src1_sel:DWORD
	;; [unrolled: 26-line block ×4, first 2 shown]
	v_and_b32_e32 v93, 0x3f00, v69
	v_lshlrev_b16 v69, 8, v69
	v_and_b32_e32 v95, 0x3f00, v1
	v_lshlrev_b16 v1, 8, v1
	v_add_nc_u16 v82, 0xe000, v92
	v_add_nc_u16 v83, 0xe000, v94
	;; [unrolled: 1-line block ×3, first 2 shown]
	v_lshrrev_b32_e32 v96, 16, v24
	v_add_nc_u16 v1, 0xe000, v1
	v_or_b32_sdwa v82, v111, v82 dst_sel:DWORD dst_unused:UNUSED_PAD src0_sel:DWORD src1_sel:BYTE_1
	v_or_b32_sdwa v83, v112, v83 dst_sel:DWORD dst_unused:UNUSED_PAD src0_sel:DWORD src1_sel:BYTE_1
	v_lshrrev_b32_e32 v25, 4, v25
	v_or_b32_sdwa v69, v93, v69 dst_sel:DWORD dst_unused:UNUSED_PAD src0_sel:DWORD src1_sel:BYTE_1
	v_or_b32_sdwa v1, v95, v1 dst_sel:DWORD dst_unused:UNUSED_PAD src0_sel:DWORD src1_sel:BYTE_1
	v_add_nc_u16 v82, 0xe000, v82
	v_add_nc_u16 v83, 0xe000, v83
	v_and_b32_e32 v113, 0x3f00, v96
	v_lshlrev_b16 v96, 8, v96
	v_add_nc_u16 v69, 0xe000, v69
	v_add_nc_u16 v1, 0xe000, v1
	v_lshlrev_b32_e32 v82, 16, v82
	v_lshlrev_b32_e32 v83, 16, v83
	v_and_b32_e32 v97, 0x3f00, v24
	v_lshlrev_b16 v24, 8, v24
	v_or_b32_sdwa v1, v1, v83 dst_sel:DWORD dst_unused:UNUSED_PAD src0_sel:WORD_0 src1_sel:DWORD
	v_add_nc_u16 v24, 0xe000, v24
	s_waitcnt vmcnt(14)
	v_ashrrev_i32_e32 v28, v103, v28
	s_waitcnt vmcnt(8)
	v_ashrrev_i32_e32 v13, v103, v13
	;; [unrolled: 2-line block ×4, first 2 shown]
	s_waitcnt vmcnt(1)
	ds_write2_b32 v32, v20, v21 offset1:16
	s_clause 0x1
	buffer_load_dword v20, off, s[20:23], 0 offset:44
	buffer_load_dword v21, off, s[20:23], 0 offset:48
	v_ashrrev_i32_e32 v6, v103, v6
	s_waitcnt vmcnt(1)
	ds_write2_b32 v20, v22, v23 offset1:16
	s_clause 0x1
	buffer_load_dword v20, off, s[20:23], 0 offset:56
	buffer_load_dword v21, off, s[20:23], 0 offset:60
	s_waitcnt vmcnt(1)
	ds_write2_b32 v20, v70, v16 offset1:16
	s_clause 0x2
	buffer_load_dword v20, off, s[20:23], 0 offset:68
	buffer_load_dword v21, off, s[20:23], 0 offset:72
	;; [unrolled: 1-line block ×3, first 2 shown]
	v_and_b32_e32 v16, 0xf0f0f0f, v25
	v_and_or_b32 v16, 0x30303030, v26, v16
	s_waitcnt vmcnt(2)
	ds_write2_b32 v20, v17, v14 offset1:16
	v_add_nc_u16 v14, 0xe000, v96
	s_waitcnt vmcnt(0)
	v_mad_i64_i32 v[2:3], null, 0xd2, v21, v[2:3]
	s_clause 0x1
	buffer_load_dword v21, off, s[20:23], 0 offset:80
	buffer_load_dword v22, off, s[20:23], 0 offset:84
	v_or_b32_sdwa v17, v69, v82 dst_sel:DWORD dst_unused:UNUSED_PAD src0_sel:WORD_0 src1_sel:DWORD
	v_or_b32_sdwa v14, v113, v14 dst_sel:DWORD dst_unused:UNUSED_PAD src0_sel:DWORD src1_sel:BYTE_1
	v_or_b32_sdwa v20, v97, v24 dst_sel:DWORD dst_unused:UNUSED_PAD src0_sel:DWORD src1_sel:BYTE_1
	s_waitcnt vmcnt(1)
	ds_write2_b32 v21, v15, v0 offset1:16
	s_clause 0x1
	buffer_load_dword v21, off, s[20:23], 0 offset:92
	buffer_load_dword v22, off, s[20:23], 0 offset:96
	v_add_nc_u16 v0, 0xe000, v20
	v_lshlrev_b16 v20, 8, v16
	v_add_nc_u16 v20, 0xe000, v20
	s_waitcnt vmcnt(1)
	ds_write2_b32 v21, v17, v1 offset1:16
	v_lshrrev_b32_e32 v17, 16, v16
	v_add_nc_u16 v1, 0xe000, v14
	v_add_co_u32 v14, vcc_lo, v2, v101
	v_add_co_ci_u32_e64 v15, null, 0, v3, vcc_lo
	v_add_co_u32 v2, vcc_lo, v2, v102
	v_lshlrev_b16 v21, 8, v17
	v_add_co_ci_u32_e64 v3, null, 0, v3, vcc_lo
	s_clause 0x1
	global_load_dword v24, v[14:15], off
	global_load_dword v25, v[2:3], off offset:128
	v_and_b32_e32 v2, 0x3f00, v17
	v_add_nc_u16 v3, 0xe000, v21
	v_and_b32_e32 v16, 0x3f00, v16
	v_and_b32_e32 v14, 0xf0f0f0f, v4
	v_lshlrev_b32_e32 v15, 4, v11
	v_lshrrev_b32_e32 v4, 4, v4
	v_or_b32_sdwa v79, v2, v3 dst_sel:DWORD dst_unused:UNUSED_PAD src0_sel:DWORD src1_sel:BYTE_1
	buffer_load_dword v2, off, s[20:23], 0 offset:228 ; 4-byte Folded Reload
	v_or_b32_sdwa v26, v16, v20 dst_sel:DWORD dst_unused:UNUSED_PAD src0_sel:DWORD src1_sel:BYTE_1
	s_clause 0x1
	buffer_load_dword v16, off, s[20:23], 0 offset:232
	buffer_load_dword v20, off, s[20:23], 0 offset:4
	v_and_or_b32 v80, 0x30303030, v15, v14
	buffer_load_dword v14, off, s[20:23], 0 offset:220 ; 4-byte Folded Reload
	v_and_b32_e32 v4, 0xf0f0f0f, v4
	v_lshlrev_b32_e32 v1, 16, v1
	v_lshrrev_b32_e32 v81, 16, v80
	v_and_or_b32 v4, 0x30303030, v11, v4
	v_or_b32_sdwa v0, v0, v1 dst_sel:DWORD dst_unused:UNUSED_PAD src0_sel:WORD_0 src1_sel:DWORD
	s_waitcnt vmcnt(3)
	v_mad_i64_i32 v[2:3], null, 0xd2, v2, s[0:1]
	s_waitcnt vmcnt(2)
	v_mad_i64_i32 v[16:17], null, 0xd2, v16, s[0:1]
	;; [unrolled: 2-line block ×3, first 2 shown]
	s_lshl_b32 s0, s15, 3
	v_add_co_u32 v2, vcc_lo, v2, v122
	v_add_co_ci_u32_e64 v3, null, 0, v3, vcc_lo
	v_add_co_u32 v16, vcc_lo, v16, v122
	v_add_co_ci_u32_e64 v17, null, 0, v17, vcc_lo
	s_clause 0x2
	global_load_ushort v82, v[14:15], off offset:208
	global_load_dword v83, v[2:3], off offset:192
	global_load_dword v84, v[16:17], off offset:192
	s_clause 0x1
	buffer_load_dword v2, off, s[20:23], 0 offset:236
	buffer_load_dword v3, off, s[20:23], 0 offset:240
	v_add_nc_u32_e32 v72, s0, v128
	s_mov_b32 s1, -1
	s_clause 0x2
	buffer_load_dword v15, off, s[20:23], 0 offset:12
	buffer_load_dword v17, off, s[20:23], 0 offset:16
	;; [unrolled: 1-line block ×3, first 2 shown]
	v_add_nc_u32_e32 v20, v72, v20
	v_add_nc_u32_e32 v69, v72, v134
	;; [unrolled: 1-line block ×4, first 2 shown]
	v_mad_i64_i32 v[69:70], null, v69, 36, v[53:54]
	v_mad_i64_i32 v[74:75], null, v74, 36, v[53:54]
	;; [unrolled: 1-line block ×3, first 2 shown]
	s_waitcnt vmcnt(4)
	v_add_nc_u32_e32 v71, s0, v2
	buffer_load_dword v2, off, s[20:23], 0 offset:8 ; 4-byte Folded Reload
	s_waitcnt vmcnt(3)
	v_add_nc_u32_e32 v16, v72, v15
	s_waitcnt vmcnt(1)
	v_add_nc_u32_e32 v22, v72, v21
	v_mad_i64_i32 v[22:23], null, v22, 36, v[53:54]
	s_waitcnt vmcnt(0)
	v_add_nc_u32_e32 v14, v72, v2
	v_mad_i64_i32 v[2:3], null, v20, 36, v[53:54]
	v_add_nc_u32_e32 v20, v72, v17
	v_mad_i64_i32 v[16:17], null, v16, 36, v[53:54]
	v_mad_i64_i32 v[14:15], null, v14, 36, v[53:54]
	;; [unrolled: 1-line block ×3, first 2 shown]
	v_mad_u64_u32 v[72:73], null, v71, 36, s[2:3]
	s_clause 0x8
	global_load_dword v2, v[2:3], off offset:4
	global_load_dword v3, v[14:15], off offset:4
	;; [unrolled: 1-line block ×4, first 2 shown]
	global_load_dword v16, v[72:73], off
	global_load_dword v17, v[22:23], off offset:4
	global_load_dword v20, v[69:70], off offset:4
	;; [unrolled: 1-line block ×4, first 2 shown]
	s_clause 0x1
	buffer_load_dword v32, off, s[20:23], 0 offset:104
	buffer_load_dword v33, off, s[20:23], 0 offset:108
	v_add_nc_u16 v69, 0xe000, v79
	v_add_nc_u16 v23, 0xe000, v26
	v_lshlrev_b16 v26, 8, v80
	v_lshlrev_b16 v70, 8, v81
	v_and_b32_e32 v72, 0x3f00, v80
	v_lshlrev_b32_e32 v11, 16, v69
	v_and_b32_e32 v73, 0x3f00, v81
	v_add_nc_u16 v26, 0xe000, v26
	v_add_nc_u16 v70, 0xe000, v70
	v_lshrrev_b32_e32 v69, 16, v4
	v_or_b32_sdwa v11, v23, v11 dst_sel:DWORD dst_unused:UNUSED_PAD src0_sel:WORD_0 src1_sel:DWORD
	v_or_b32_sdwa v26, v72, v26 dst_sel:DWORD dst_unused:UNUSED_PAD src0_sel:DWORD src1_sel:BYTE_1
	v_or_b32_sdwa v1, v73, v70 dst_sel:DWORD dst_unused:UNUSED_PAD src0_sel:DWORD src1_sel:BYTE_1
	v_lshlrev_b16 v70, 8, v69
	v_and_b32_e32 v69, 0x3f00, v69
	v_and_b32_e32 v72, 0xf0f0f0f, v27
	v_add_nc_u16 v23, 0xe000, v26
	v_lshlrev_b16 v26, 8, v4
	v_add_nc_u16 v1, 0xe000, v1
	v_add_nc_u16 v70, 0xe000, v70
	v_and_b32_e32 v4, 0x3f00, v4
	v_lshlrev_b32_e32 v73, 4, v28
	v_add_nc_u16 v26, 0xe000, v26
	v_lshlrev_b32_e32 v1, 16, v1
	v_or_b32_sdwa v4, v4, v26 dst_sel:DWORD dst_unused:UNUSED_PAD src0_sel:DWORD src1_sel:BYTE_1
	v_or_b32_sdwa v1, v23, v1 dst_sel:DWORD dst_unused:UNUSED_PAD src0_sel:WORD_0 src1_sel:DWORD
	v_lshrrev_b32_e32 v23, 4, v27
	v_add_nc_u16 v4, 0xe000, v4
	v_and_b32_e32 v23, 0xf0f0f0f, v23
	v_and_or_b32 v23, 0x30303030, v28, v23
	s_waitcnt vmcnt(1)
	ds_write2_b32 v32, v0, v11 offset1:16
	s_clause 0x1
	buffer_load_dword v32, off, s[20:23], 0 offset:116
	buffer_load_dword v33, off, s[20:23], 0 offset:120
	v_or_b32_sdwa v0, v69, v70 dst_sel:DWORD dst_unused:UNUSED_PAD src0_sel:DWORD src1_sel:BYTE_1
	v_and_or_b32 v11, 0x30303030, v73, v72
	v_add_nc_u16 v0, 0xe000, v0
	v_lshrrev_b32_e32 v26, 16, v11
	v_lshlrev_b16 v27, 8, v11
	v_and_b32_e32 v11, 0x3f00, v11
	v_lshlrev_b32_e32 v0, 16, v0
	v_lshlrev_b16 v69, 8, v26
	v_add_nc_u16 v27, 0xe000, v27
	v_or_b32_sdwa v0, v4, v0 dst_sel:DWORD dst_unused:UNUSED_PAD src0_sel:WORD_0 src1_sel:DWORD
	v_and_b32_e32 v4, 0x3f00, v26
	v_add_nc_u16 v26, 0xe000, v69
	v_or_b32_sdwa v11, v11, v27 dst_sel:DWORD dst_unused:UNUSED_PAD src0_sel:DWORD src1_sel:BYTE_1
	v_lshrrev_b32_e32 v27, 16, v23
	s_waitcnt vmcnt(1)
	ds_write2_b32 v32, v1, v0 offset1:16
	v_ashrrev_i32_e32 v0, v103, v30
	v_or_b32_sdwa v1, v4, v26 dst_sel:DWORD dst_unused:UNUSED_PAD src0_sel:DWORD src1_sel:BYTE_1
	v_add_nc_u16 v4, 0xe000, v11
	v_lshlrev_b16 v11, 8, v27
	v_and_b32_e32 v26, 0xf0f0f0f, v29
	v_lshlrev_b32_e32 v28, 4, v0
	v_lshlrev_b16 v30, 8, v23
	v_and_b32_e32 v27, 0x3f00, v27
	v_add_nc_u16 v11, 0xe000, v11
	v_and_b32_e32 v23, 0x3f00, v23
	v_and_or_b32 v26, 0x30303030, v28, v26
	v_add_nc_u16 v28, 0xe000, v30
	v_lshrrev_b32_e32 v29, 4, v29
	v_or_b32_sdwa v11, v27, v11 dst_sel:DWORD dst_unused:UNUSED_PAD src0_sel:DWORD src1_sel:BYTE_1
	v_add_nc_u16 v1, 0xe000, v1
	v_lshrrev_b32_e32 v27, 16, v26
	v_or_b32_sdwa v23, v23, v28 dst_sel:DWORD dst_unused:UNUSED_PAD src0_sel:DWORD src1_sel:BYTE_1
	v_lshlrev_b16 v28, 8, v26
	v_and_b32_e32 v29, 0xf0f0f0f, v29
	v_add_nc_u16 v11, 0xe000, v11
	v_lshlrev_b16 v30, 8, v27
	v_and_b32_e32 v26, 0x3f00, v26
	v_add_nc_u16 v28, 0xe000, v28
	v_and_or_b32 v0, 0x30303030, v0, v29
	v_lshlrev_b32_e32 v1, 16, v1
	v_and_b32_e32 v27, 0x3f00, v27
	v_add_nc_u16 v30, 0xe000, v30
	v_add_nc_u16 v23, 0xe000, v23
	v_lshlrev_b32_e32 v11, 16, v11
	v_or_b32_sdwa v26, v26, v28 dst_sel:DWORD dst_unused:UNUSED_PAD src0_sel:DWORD src1_sel:BYTE_1
	v_lshrrev_b32_e32 v28, 16, v0
	v_or_b32_sdwa v27, v27, v30 dst_sel:DWORD dst_unused:UNUSED_PAD src0_sel:DWORD src1_sel:BYTE_1
	v_or_b32_sdwa v1, v4, v1 dst_sel:DWORD dst_unused:UNUSED_PAD src0_sel:WORD_0 src1_sel:DWORD
	v_or_b32_sdwa v4, v23, v11 dst_sel:DWORD dst_unused:UNUSED_PAD src0_sel:WORD_0 src1_sel:DWORD
	v_add_nc_u16 v11, 0xe000, v26
	v_lshlrev_b16 v26, 8, v28
	v_ashrrev_i32_e32 v29, v103, v78
	v_add_nc_u16 v23, 0xe000, v27
	v_lshlrev_b16 v27, 8, v0
	v_and_b32_e32 v28, 0x3f00, v28
	v_add_nc_u16 v26, 0xe000, v26
	v_and_b32_e32 v30, 0xf0f0f0f, v31
	v_lshlrev_b32_e32 v69, 4, v29
	v_and_b32_e32 v0, 0x3f00, v0
	v_add_nc_u16 v27, 0xe000, v27
	v_or_b32_sdwa v26, v28, v26 dst_sel:DWORD dst_unused:UNUSED_PAD src0_sel:DWORD src1_sel:BYTE_1
	v_lshlrev_b32_e32 v23, 16, v23
	v_and_or_b32 v28, 0x30303030, v69, v30
	v_or_b32_sdwa v0, v0, v27 dst_sel:DWORD dst_unused:UNUSED_PAD src0_sel:DWORD src1_sel:BYTE_1
	v_lshrrev_b32_e32 v27, 4, v31
	v_or_b32_sdwa v11, v11, v23 dst_sel:DWORD dst_unused:UNUSED_PAD src0_sel:WORD_0 src1_sel:DWORD
	v_lshlrev_b16 v30, 8, v28
	v_add_nc_u16 v23, 0xe000, v26
	v_add_nc_u16 v0, 0xe000, v0
	v_and_b32_e32 v26, 0xf0f0f0f, v27
	v_lshrrev_b32_e32 v27, 16, v28
	v_and_b32_e32 v28, 0x3f00, v28
	v_add_nc_u16 v30, 0xe000, v30
	v_lshlrev_b32_e32 v23, 16, v23
	v_and_or_b32 v26, 0x30303030, v29, v26
	v_lshlrev_b16 v29, 8, v27
	v_or_b32_sdwa v28, v28, v30 dst_sel:DWORD dst_unused:UNUSED_PAD src0_sel:DWORD src1_sel:BYTE_1
	s_clause 0x1
	buffer_load_dword v30, off, s[20:23], 0 offset:128
	buffer_load_dword v31, off, s[20:23], 0 offset:132
	v_or_b32_sdwa v0, v0, v23 dst_sel:DWORD dst_unused:UNUSED_PAD src0_sel:WORD_0 src1_sel:DWORD
	v_and_b32_e32 v23, 0x3f00, v27
	v_lshrrev_b32_e32 v27, 16, v26
	v_add_nc_u16 v29, 0xe000, v29
	s_waitcnt vmcnt(1)
	ds_write2_b32 v30, v1, v4 offset1:16
	s_clause 0x1
	buffer_load_dword v30, off, s[20:23], 0 offset:140
	buffer_load_dword v31, off, s[20:23], 0 offset:144
	v_or_b32_sdwa v1, v23, v29 dst_sel:DWORD dst_unused:UNUSED_PAD src0_sel:DWORD src1_sel:BYTE_1
	v_and_b32_e32 v23, 0x3f00, v27
	v_add_nc_u16 v4, 0xe000, v28
	v_add_nc_u16 v1, 0xe000, v1
	v_lshlrev_b32_e32 v1, 16, v1
	v_or_b32_sdwa v1, v4, v1 dst_sel:DWORD dst_unused:UNUSED_PAD src0_sel:WORD_0 src1_sel:DWORD
	s_waitcnt vmcnt(1)
	ds_write2_b32 v30, v11, v0 offset1:16
	v_lshlrev_b16 v0, 8, v27
	v_lshlrev_b32_e32 v27, 4, v13
	v_lshlrev_b16 v11, 8, v26
	v_and_b32_e32 v26, 0x3f00, v26
	v_add_nc_u16 v0, 0xe000, v0
	v_add_nc_u16 v11, 0xe000, v11
	v_or_b32_sdwa v0, v23, v0 dst_sel:DWORD dst_unused:UNUSED_PAD src0_sel:DWORD src1_sel:BYTE_1
	v_and_b32_e32 v23, 0xf0f0f0f, v12
	v_lshrrev_b32_e32 v12, 4, v12
	v_or_b32_sdwa v11, v26, v11 dst_sel:DWORD dst_unused:UNUSED_PAD src0_sel:DWORD src1_sel:BYTE_1
	v_add_nc_u16 v0, 0xe000, v0
	v_and_or_b32 v23, 0x30303030, v27, v23
	s_clause 0x1
	buffer_load_dword v27, off, s[20:23], 0 offset:152
	buffer_load_dword v28, off, s[20:23], 0 offset:156
	v_and_b32_e32 v12, 0xf0f0f0f, v12
	v_add_nc_u16 v11, 0xe000, v11
	v_lshlrev_b32_e32 v0, 16, v0
	v_and_or_b32 v4, 0x30303030, v13, v12
	v_lshrrev_b32_e32 v12, 16, v23
	v_or_b32_sdwa v0, v11, v0 dst_sel:DWORD dst_unused:UNUSED_PAD src0_sel:WORD_0 src1_sel:DWORD
	v_lshlrev_b16 v13, 8, v23
	v_and_b32_e32 v11, 0x3f00, v23
	v_lshrrev_b32_e32 v23, 16, v4
	v_lshlrev_b16 v26, 8, v12
	v_add_nc_u16 v13, 0xe000, v13
	v_or_b32_sdwa v11, v11, v13 dst_sel:DWORD dst_unused:UNUSED_PAD src0_sel:DWORD src1_sel:BYTE_1
	v_lshlrev_b16 v13, 8, v4
	v_and_b32_e32 v4, 0x3f00, v4
	v_add_nc_u16 v11, 0xe000, v11
	s_waitcnt vmcnt(1)
	ds_write2_b32 v27, v1, v0 offset1:16
	v_and_b32_e32 v0, 0x3f00, v12
	v_add_nc_u16 v12, 0xe000, v26
	s_clause 0x1
	buffer_load_dword v26, off, s[20:23], 0 offset:164
	buffer_load_dword v27, off, s[20:23], 0 offset:168
	v_lshlrev_b16 v1, 8, v23
	v_and_b32_e32 v23, 0x3f00, v23
	v_or_b32_sdwa v0, v0, v12 dst_sel:DWORD dst_unused:UNUSED_PAD src0_sel:DWORD src1_sel:BYTE_1
	v_add_nc_u16 v12, 0xe000, v13
	v_add_nc_u16 v1, 0xe000, v1
	v_and_b32_e32 v13, 0xf0f0f0f, v9
	v_lshrrev_b32_e32 v9, 4, v9
	v_add_nc_u16 v0, 0xe000, v0
	v_or_b32_sdwa v4, v4, v12 dst_sel:DWORD dst_unused:UNUSED_PAD src0_sel:DWORD src1_sel:BYTE_1
	v_or_b32_sdwa v1, v23, v1 dst_sel:DWORD dst_unused:UNUSED_PAD src0_sel:DWORD src1_sel:BYTE_1
	v_lshlrev_b32_e32 v23, 4, v10
	v_and_b32_e32 v9, 0xf0f0f0f, v9
	v_lshlrev_b32_e32 v0, 16, v0
	v_add_nc_u16 v4, 0xe000, v4
	v_add_nc_u16 v1, 0xe000, v1
	v_and_or_b32 v12, 0x30303030, v23, v13
	v_and_or_b32 v9, 0x30303030, v10, v9
	v_or_b32_sdwa v0, v11, v0 dst_sel:DWORD dst_unused:UNUSED_PAD src0_sel:WORD_0 src1_sel:DWORD
	v_and_b32_e32 v23, 0xf0f0f0f, v24
	v_lshlrev_b32_e32 v1, 16, v1
	v_lshrrev_b32_e32 v13, 16, v12
	v_lshlrev_b16 v11, 8, v12
	v_and_b32_e32 v12, 0x3f00, v12
	v_or_b32_sdwa v1, v4, v1 dst_sel:DWORD dst_unused:UNUSED_PAD src0_sel:WORD_0 src1_sel:DWORD
	v_lshlrev_b16 v4, 8, v13
	v_add_nc_u16 v10, 0xe000, v11
	v_and_b32_e32 v11, 0x3f00, v13
	v_lshlrev_b32_e32 v13, 4, v8
	v_add_nc_u16 v4, 0xe000, v4
	v_or_b32_sdwa v4, v11, v4 dst_sel:DWORD dst_unused:UNUSED_PAD src0_sel:DWORD src1_sel:BYTE_1
	v_add_nc_u16 v4, 0xe000, v4
	v_lshlrev_b32_e32 v4, 16, v4
	s_waitcnt vmcnt(1)
	ds_write2_b32 v26, v0, v1 offset1:16
	v_lshrrev_b32_e32 v0, 16, v9
	v_or_b32_sdwa v1, v12, v10 dst_sel:DWORD dst_unused:UNUSED_PAD src0_sel:DWORD src1_sel:BYTE_1
	v_lshlrev_b16 v10, 8, v9
	v_and_b32_e32 v12, 0xf0f0f0f, v7
	v_and_b32_e32 v9, 0x3f00, v9
	v_lshlrev_b16 v11, 8, v0
	v_and_b32_e32 v0, 0x3f00, v0
	v_add_nc_u16 v10, 0xe000, v10
	v_and_or_b32 v12, 0x30303030, v13, v12
	v_lshrrev_b32_e32 v7, 4, v7
	v_add_nc_u16 v11, 0xe000, v11
	v_add_nc_u16 v1, 0xe000, v1
	v_or_b32_sdwa v9, v9, v10 dst_sel:DWORD dst_unused:UNUSED_PAD src0_sel:DWORD src1_sel:BYTE_1
	v_lshrrev_b32_e32 v10, 16, v12
	v_and_b32_e32 v7, 0xf0f0f0f, v7
	v_or_b32_sdwa v0, v0, v11 dst_sel:DWORD dst_unused:UNUSED_PAD src0_sel:DWORD src1_sel:BYTE_1
	v_lshlrev_b16 v13, 8, v12
	v_add_nc_u16 v9, 0xe000, v9
	v_lshlrev_b16 v11, 8, v10
	v_and_b32_e32 v10, 0x3f00, v10
	v_add_nc_u16 v0, 0xe000, v0
	v_or_b32_sdwa v1, v1, v4 dst_sel:DWORD dst_unused:UNUSED_PAD src0_sel:WORD_0 src1_sel:DWORD
	v_and_or_b32 v4, 0x30303030, v8, v7
	v_add_nc_u16 v11, 0xe000, v11
	v_and_b32_e32 v12, 0x3f00, v12
	v_lshlrev_b32_e32 v0, 16, v0
	v_add_nc_u16 v13, 0xe000, v13
	v_or_b32_sdwa v7, v10, v11 dst_sel:DWORD dst_unused:UNUSED_PAD src0_sel:DWORD src1_sel:BYTE_1
	v_and_b32_e32 v10, 0xf0f0f0f, v5
	v_or_b32_sdwa v0, v9, v0 dst_sel:DWORD dst_unused:UNUSED_PAD src0_sel:WORD_0 src1_sel:DWORD
	v_lshrrev_b32_e32 v9, 16, v4
	v_or_b32_sdwa v8, v12, v13 dst_sel:DWORD dst_unused:UNUSED_PAD src0_sel:DWORD src1_sel:BYTE_1
	v_add_nc_u16 v7, 0xe000, v7
	v_lshlrev_b32_e32 v11, 4, v6
	v_lshlrev_b16 v13, 8, v4
	v_lshlrev_b16 v12, 8, v9
	v_add_nc_u16 v8, 0xe000, v8
	v_lshlrev_b32_e32 v7, 16, v7
	v_and_b32_e32 v9, 0x3f00, v9
	v_and_or_b32 v10, 0x30303030, v11, v10
	v_add_nc_u16 v11, 0xe000, v12
	v_and_b32_e32 v4, 0x3f00, v4
	v_or_b32_sdwa v7, v8, v7 dst_sel:DWORD dst_unused:UNUSED_PAD src0_sel:WORD_0 src1_sel:DWORD
	v_add_nc_u16 v8, 0xe000, v13
	v_lshlrev_b16 v12, 8, v10
	v_or_b32_sdwa v9, v9, v11 dst_sel:DWORD dst_unused:UNUSED_PAD src0_sel:DWORD src1_sel:BYTE_1
	v_lshrrev_b32_e32 v11, 16, v10
	v_lshrrev_b32_e32 v5, 4, v5
	v_or_b32_sdwa v4, v4, v8 dst_sel:DWORD dst_unused:UNUSED_PAD src0_sel:DWORD src1_sel:BYTE_1
	v_and_b32_e32 v10, 0x3f00, v10
	v_add_nc_u16 v12, 0xe000, v12
	v_lshlrev_b16 v8, 8, v11
	v_and_b32_e32 v5, 0xf0f0f0f, v5
	v_and_b32_e32 v11, 0x3f00, v11
	v_add_nc_u16 v9, 0xe000, v9
	v_or_b32_sdwa v10, v10, v12 dst_sel:DWORD dst_unused:UNUSED_PAD src0_sel:DWORD src1_sel:BYTE_1
	v_add_nc_u16 v8, 0xe000, v8
	v_and_or_b32 v5, 0x30303030, v6, v5
	v_lshrrev_b32_e32 v13, 4, v24
	v_lshlrev_b32_e32 v6, 16, v9
	v_add_nc_u16 v9, 0xe000, v10
	v_or_b32_sdwa v8, v11, v8 dst_sel:DWORD dst_unused:UNUSED_PAD src0_sel:DWORD src1_sel:BYTE_1
	v_ashrrev_i32_e32 v11, v103, v25
	v_lshrrev_b32_e32 v10, 16, v5
	v_lshlrev_b16 v12, 8, v5
	v_and_b32_e32 v13, 0xf0f0f0f, v13
	v_and_b32_e32 v5, 0x3f00, v5
	v_lshlrev_b32_e32 v24, 4, v11
	v_lshlrev_b16 v25, 8, v10
	v_add_nc_u16 v12, 0xe000, v12
	v_and_or_b32 v11, 0x30303030, v11, v13
	v_and_b32_e32 v10, 0x3f00, v10
	v_and_or_b32 v23, 0x30303030, v24, v23
	v_add_nc_u16 v8, 0xe000, v8
	v_or_b32_sdwa v5, v5, v12 dst_sel:DWORD dst_unused:UNUSED_PAD src0_sel:DWORD src1_sel:BYTE_1
	v_add_nc_u16 v12, 0xe000, v25
	v_lshrrev_b32_e32 v24, 16, v11
	v_lshrrev_b32_e32 v13, 16, v23
	v_and_b32_e32 v25, 0x3f00, v23
	v_lshlrev_b16 v23, 8, v23
	v_or_b32_sdwa v10, v10, v12 dst_sel:DWORD dst_unused:UNUSED_PAD src0_sel:DWORD src1_sel:BYTE_1
	v_lshlrev_b16 v26, 8, v24
	v_lshlrev_b16 v12, 8, v13
	v_and_b32_e32 v13, 0x3f00, v13
	s_waitcnt vmcnt(0)
	v_lshlrev_b16 v27, 8, v11
	v_and_b32_e32 v24, 0x3f00, v24
	v_add_nc_u16 v26, 0xe000, v26
	v_add_nc_u16 v12, 0xe000, v12
	;; [unrolled: 1-line block ×3, first 2 shown]
	v_and_b32_e32 v11, 0x3f00, v11
	v_add_nc_u16 v4, 0xe000, v4
	v_or_b32_sdwa v24, v24, v26 dst_sel:DWORD dst_unused:UNUSED_PAD src0_sel:DWORD src1_sel:BYTE_1
	v_or_b32_sdwa v12, v13, v12 dst_sel:DWORD dst_unused:UNUSED_PAD src0_sel:DWORD src1_sel:BYTE_1
	v_add_nc_u16 v13, 0xe000, v27
	v_or_b32_sdwa v23, v25, v23 dst_sel:DWORD dst_unused:UNUSED_PAD src0_sel:DWORD src1_sel:BYTE_1
	v_lshlrev_b32_e32 v8, 16, v8
	v_or_b32_sdwa v4, v4, v6 dst_sel:DWORD dst_unused:UNUSED_PAD src0_sel:WORD_0 src1_sel:DWORD
	v_add_nc_u16 v12, 0xe000, v12
	v_or_b32_sdwa v11, v11, v13 dst_sel:DWORD dst_unused:UNUSED_PAD src0_sel:DWORD src1_sel:BYTE_1
	v_add_nc_u16 v13, 0xe000, v24
	v_add_nc_u16 v23, 0xe000, v23
	v_or_b32_sdwa v6, v9, v8 dst_sel:DWORD dst_unused:UNUSED_PAD src0_sel:WORD_0 src1_sel:DWORD
	v_lshlrev_b32_e32 v12, 16, v12
	v_add_nc_u16 v11, 0xe000, v11
	v_lshlrev_b32_e32 v13, 16, v13
	v_add_nc_u16 v10, 0xe000, v10
	v_add_nc_u16 v5, 0xe000, v5
	v_or_b32_sdwa v8, v23, v12 dst_sel:DWORD dst_unused:UNUSED_PAD src0_sel:WORD_0 src1_sel:DWORD
	v_or_b32_sdwa v9, v11, v13 dst_sel:DWORD dst_unused:UNUSED_PAD src0_sel:WORD_0 src1_sel:DWORD
	s_clause 0x1
	buffer_load_dword v11, off, s[20:23], 0 offset:176
	buffer_load_dword v12, off, s[20:23], 0 offset:180
	v_lshlrev_b32_e32 v10, 16, v10
	v_or_b32_sdwa v5, v5, v10 dst_sel:DWORD dst_unused:UNUSED_PAD src0_sel:WORD_0 src1_sel:DWORD
	v_cvt_f32_f16_e32 v10, v82
	s_waitcnt vmcnt(1)
	ds_write2_b32 v11, v1, v0 offset1:16
	s_clause 0x1
	buffer_load_dword v0, off, s[20:23], 0 offset:188
	buffer_load_dword v1, off, s[20:23], 0 offset:192
	s_waitcnt vmcnt(1)
	ds_write2_b32 v0, v7, v4 offset1:16
	s_clause 0x1
	buffer_load_dword v0, off, s[20:23], 0 offset:200
	buffer_load_dword v1, off, s[20:23], 0 offset:204
	;; [unrolled: 5-line block ×3, first 2 shown]
	s_waitcnt vmcnt(1)
	ds_write2_b32 v0, v8, v9 offset1:16
	buffer_load_dword v0, off, s[20:23], 0 offset:224 ; 4-byte Folded Reload
	s_waitcnt vmcnt(0)
	ds_write_b32 v0, v10
	buffer_load_dword v0, off, s[20:23], 0 offset:244 ; 4-byte Folded Reload
	s_waitcnt vmcnt(0)
	ds_write_b32 v0, v83
	;; [unrolled: 3-line block ×3, first 2 shown]
	ds_write_b32 v157, v2
	ds_write_b32 v158, v3
	;; [unrolled: 1-line block ×8, first 2 shown]
	buffer_load_dword v1, off, s[20:23], 0  ; 4-byte Folded Reload
	v_cvt_f32_f16_e32 v0, v16
	s_waitcnt vmcnt(0)
	ds_write_b32 v1, v0
	s_waitcnt lgkmcnt(0)
	s_waitcnt_vscnt null, 0x0
	s_barrier
	buffer_gl0_inv
	ds_read_b32 v72, v140
	ds_read_b32 v73, v141 offset:128
	ds_read_b32 v74, v142 offset:256
	;; [unrolled: 1-line block ×3, first 2 shown]
	s_waitcnt lgkmcnt(3)
	v_mov_b32_e32 v76, v72
	s_waitcnt lgkmcnt(2)
	v_mov_b32_e32 v77, v73
	;; [unrolled: 2-line block ×4, first 2 shown]
.LBB156_6:                              ;   Parent Loop BB156_5 Depth=1
                                        ; =>  This Inner Loop Header: Depth=2
	s_lshl_b32 s11, s9, 1
	v_lshlrev_b32_e32 v168, 2, v137
	s_lshl_b32 s16, s9, 3
	s_lshr_b32 s9, s9, 1
	v_lshlrev_b32_e32 v169, 2, v138
	v_or_b32_e32 v90, s11, v115
	v_add_nc_u32_e32 v185, s16, v151
	s_add_i32 s9, s9, 0xa200
	v_add_nc_u32_e32 v186, s16, v152
	v_add_nc_u32_e32 v191, s16, v153
	;; [unrolled: 1-line block ×3, first 2 shown]
	v_add3_u32 v0, s9, v168, v165
	v_add3_u32 v1, s9, v169, v166
	v_lshlrev_b32_e32 v170, 2, v90
	ds_read2_b32 v[20:21], v185 offset0:12 offset1:13
	ds_read2_b32 v[22:23], v185 offset0:14 offset1:15
	ds_read_b32 v89, v0
	ds_read_b32 v88, v1
	ds_read_b128 v[4:7], v170 offset:33328
	ds_read_b128 v[196:199], v170 offset:33312
	ds_read2_b32 v[104:105], v186 offset0:12 offset1:13
	ds_read2_b32 v[106:107], v186 offset0:14 offset1:15
	;; [unrolled: 1-line block ×8, first 2 shown]
	v_mov_b32_e32 v80, 0
	v_mov_b32_e32 v81, 0
	;; [unrolled: 1-line block ×4, first 2 shown]
	v_or_b32_e32 v0, s11, v144
	v_mov_b32_e32 v98, 0
	v_mov_b32_e32 v97, 0
	;; [unrolled: 1-line block ×4, first 2 shown]
	v_lshlrev_b32_e32 v24, 2, v0
	v_lshrrev_b32_e32 v0, 1, v0
	v_or_b32_e32 v193, s11, v145
	v_mov_b32_e32 v85, 0
	v_mov_b32_e32 v87, 0
	;; [unrolled: 1-line block ×3, first 2 shown]
	s_waitcnt lgkmcnt(9)
	v_dot4c_i32_i8 v80, v20, v4
	s_waitcnt lgkmcnt(7)
	v_dot4c_i32_i8 v81, v104, v4
	;; [unrolled: 2-line block ×4, first 2 shown]
	v_lshlrev_b32_e32 v171, 2, v193
	v_dot4c_i32_i8 v80, v21, v5
	v_dot4c_i32_i8 v81, v105, v5
	;; [unrolled: 1-line block ×4, first 2 shown]
	ds_read2_b32 v[220:221], v192 offset0:14 offset1:15
	ds_read_b128 v[2:5], v24 offset:33280
	v_dot4c_i32_i8 v80, v22, v6
	v_dot4c_i32_i8 v81, v106, v6
	;; [unrolled: 1-line block ×3, first 2 shown]
	v_mov_b32_e32 v84, 0
	v_mov_b32_e32 v179, 0
	v_dot4c_i32_i8 v80, v23, v7
	v_dot4c_i32_i8 v81, v107, v7
	;; [unrolled: 1-line block ×3, first 2 shown]
	v_mov_b32_e32 v180, 0
	v_mov_b32_e32 v178, 0
	;; [unrolled: 1-line block ×3, first 2 shown]
	v_or_b32_e32 v194, s11, v147
	v_mov_b32_e32 v92, 0
	v_mov_b32_e32 v94, 0
	;; [unrolled: 1-line block ×4, first 2 shown]
	v_lshlrev_b32_e32 v26, 2, v194
	v_or_b32_e32 v200, s11, v149
	s_waitcnt lgkmcnt(1)
	v_dot4c_i32_i8 v83, v220, v6
	v_mov_b32_e32 v183, 0
	v_mov_b32_e32 v184, 0
	;; [unrolled: 1-line block ×4, first 2 shown]
	v_dot4c_i32_i8 v83, v221, v7
	ds_read_b64 v[6:7], v0 offset:43584
	ds_read_b128 v[8:11], v24 offset:33328
	v_or_b32_e32 v0, s11, v146
	v_lshlrev_b32_e32 v27, 2, v200
	v_mov_b32_e32 v176, 0
	v_mov_b32_e32 v230, 0
	;; [unrolled: 1-line block ×3, first 2 shown]
	v_lshrrev_b32_e32 v1, 1, v0
	v_lshlrev_b32_e32 v195, 2, v0
	v_or_b32_e32 v0, s11, v148
	v_mov_b32_e32 v228, 0
	v_mov_b32_e32 v227, 0
	;; [unrolled: 1-line block ×4, first 2 shown]
	v_lshlrev_b32_e32 v215, 2, v0
	v_mov_b32_e32 v223, 0
	v_mov_b32_e32 v222, 0
	;; [unrolled: 1-line block ×6, first 2 shown]
	s_waitcnt lgkmcnt(0)
	v_dot4c_i32_i8 v98, v20, v8
	v_dot4c_i32_i8 v97, v104, v8
	v_dot4c_i32_i8 v96, v213, v8
	v_dot4c_i32_i8 v95, v218, v8
	v_mov_b32_e32 v110, 0
	v_dot4c_i32_i8 v98, v21, v9
	v_dot4c_i32_i8 v97, v105, v9
	v_dot4c_i32_i8 v96, v214, v9
	v_dot4c_i32_i8 v95, v219, v9
	v_mov_b32_e32 v111, 0
	;; [unrolled: 5-line block ×3, first 2 shown]
	v_dot4c_i32_i8 v98, v23, v11
	v_dot4c_i32_i8 v97, v107, v11
	;; [unrolled: 1-line block ×4, first 2 shown]
	ds_read_b128 v[8:11], v171 offset:33328
	ds_read_b128 v[201:204], v171 offset:33312
	v_mov_b32_e32 v113, 0
	v_mov_b32_e32 v116, 0
	;; [unrolled: 1-line block ×18, first 2 shown]
	s_waitcnt lgkmcnt(1)
	v_dot4c_i32_i8 v85, v20, v8
	v_dot4c_i32_i8 v87, v104, v8
	v_dot4c_i32_i8 v86, v213, v8
	v_dot4c_i32_i8 v84, v218, v8
	v_mov_b32_e32 v156, 0
	v_dot4c_i32_i8 v85, v21, v9
	v_dot4c_i32_i8 v87, v105, v9
	v_dot4c_i32_i8 v86, v214, v9
	v_dot4c_i32_i8 v84, v219, v9
	v_mov_b32_e32 v127, 0
	;; [unrolled: 5-line block ×3, first 2 shown]
	v_dot4c_i32_i8 v85, v23, v11
	v_dot4c_i32_i8 v87, v107, v11
	;; [unrolled: 1-line block ×4, first 2 shown]
	ds_read_b64 v[8:9], v1 offset:43584
	ds_read_b128 v[10:13], v195 offset:33328
	v_lshrrev_b32_e32 v1, 1, v0
	v_or_b32_e32 v0, s11, v150
	v_mov_b32_e32 v130, 0
	v_mov_b32_e32 v131, 0
	;; [unrolled: 1-line block ×4, first 2 shown]
	v_lshlrev_b32_e32 v226, 2, v0
	s_and_b32 vcc_lo, exec_lo, s1
	s_mov_b32 s1, 0
	s_waitcnt lgkmcnt(0)
	v_dot4c_i32_i8 v179, v20, v10
	v_dot4c_i32_i8 v180, v104, v10
	;; [unrolled: 1-line block ×16, first 2 shown]
	ds_read_b128 v[10:13], v26 offset:33328
	ds_read_b128 v[209:212], v26 offset:33312
	s_waitcnt lgkmcnt(1)
	v_dot4c_i32_i8 v92, v20, v10
	v_dot4c_i32_i8 v94, v104, v10
	;; [unrolled: 1-line block ×8, first 2 shown]
	ds_read_b64 v[10:11], v1 offset:43584
	ds_read_b128 v[172:175], v215 offset:33328
	ds_read_b128 v[187:190], v27 offset:33328
	ds_read_b128 v[231:234], v27 offset:33312
	v_dot4c_i32_i8 v92, v22, v12
	v_dot4c_i32_i8 v94, v106, v12
	;; [unrolled: 1-line block ×4, first 2 shown]
	v_lshrrev_b32_e32 v1, 1, v0
	v_dot4c_i32_i8 v92, v23, v13
	v_dot4c_i32_i8 v94, v107, v13
	;; [unrolled: 1-line block ×4, first 2 shown]
	ds_read_b64 v[12:13], v1 offset:43584
	ds_read_b128 v[205:208], v226 offset:33328
	s_waitcnt lgkmcnt(4)
	v_dot4c_i32_i8 v183, v20, v172
	v_dot4c_i32_i8 v184, v104, v172
	;; [unrolled: 1-line block ×4, first 2 shown]
	s_waitcnt lgkmcnt(3)
	v_dot4c_i32_i8 v176, v104, v187
	v_dot4c_i32_i8 v183, v21, v173
	;; [unrolled: 1-line block ×5, first 2 shown]
	v_mov_b32_e32 v173, 0
	v_dot4c_i32_i8 v183, v22, v174
	v_dot4c_i32_i8 v184, v106, v174
	;; [unrolled: 1-line block ×4, first 2 shown]
	v_mov_b32_e32 v174, 0
	v_dot4c_i32_i8 v183, v23, v175
	v_dot4c_i32_i8 v184, v107, v175
	;; [unrolled: 1-line block ×4, first 2 shown]
	v_mov_b32_e32 v175, 0
	v_dot4c_i32_i8 v174, v20, v187
	v_dot4c_i32_i8 v173, v218, v187
	;; [unrolled: 1-line block ×3, first 2 shown]
	v_lshlrev_b32_e32 v172, 2, v139
	v_dot4c_i32_i8 v175, v213, v187
	v_dot4c_i32_i8 v174, v21, v188
	;; [unrolled: 1-line block ×4, first 2 shown]
	v_mov_b32_e32 v187, 0
	v_dot4c_i32_i8 v175, v214, v188
	v_dot4c_i32_i8 v174, v22, v189
	v_dot4c_i32_i8 v173, v220, v189
	v_dot4c_i32_i8 v176, v107, v190
	v_mov_b32_e32 v188, 0
	v_dot4c_i32_i8 v175, v216, v189
	v_dot4c_i32_i8 v174, v23, v190
	;; [unrolled: 1-line block ×3, first 2 shown]
	v_mov_b32_e32 v189, 0
	s_waitcnt lgkmcnt(0)
	v_dot4c_i32_i8 v188, v20, v205
	v_dot4c_i32_i8 v175, v217, v190
	v_mov_b32_e32 v190, 0
	v_dot4c_i32_i8 v187, v218, v205
	v_dot4c_i32_i8 v189, v213, v205
	;; [unrolled: 1-line block ×3, first 2 shown]
	v_mov_b32_e32 v213, 0
	v_dot4c_i32_i8 v190, v104, v205
	v_dot4c_i32_i8 v187, v219, v206
	;; [unrolled: 1-line block ×4, first 2 shown]
	v_mov_b32_e32 v214, 0
	v_dot4c_i32_i8 v190, v105, v206
	v_dot4c_i32_i8 v187, v220, v207
	;; [unrolled: 1-line block ×4, first 2 shown]
	ds_read2_b32 v[20:21], v185 offset0:8 offset1:9
	ds_read2_b32 v[22:23], v185 offset0:10 offset1:11
	ds_read2_b32 v[104:105], v185 offset0:6 offset1:7
	v_dot4c_i32_i8 v190, v106, v207
	v_mov_b32_e32 v216, 0
	v_dot4c_i32_i8 v189, v217, v208
	v_mov_b32_e32 v217, 0
	v_dot4c_i32_i8 v187, v221, v208
	v_dot4c_i32_i8 v190, v107, v208
	ds_read2_b32 v[106:107], v186 offset0:8 offset1:9
	ds_read2_b32 v[251:252], v186 offset0:6 offset1:7
	;; [unrolled: 1-line block ×5, first 2 shown]
	v_mov_b32_e32 v220, 0
	v_mov_b32_e32 v221, 0
	;; [unrolled: 1-line block ×8, first 2 shown]
	s_waitcnt lgkmcnt(7)
	v_dot4c_i32_i8 v213, v20, v196
	v_dot4c_i32_i8 v208, v20, v201
	;; [unrolled: 1-line block ×4, first 2 shown]
	s_waitcnt lgkmcnt(4)
	v_dot4c_i32_i8 v216, v106, v196
	v_dot4c_i32_i8 v207, v106, v201
	s_waitcnt lgkmcnt(2)
	v_dot4c_i32_i8 v217, v0, v196
	s_waitcnt lgkmcnt(1)
	v_dot4c_i32_i8 v214, v253, v196
	v_dot4c_i32_i8 v213, v22, v198
	;; [unrolled: 1-line block ×16, first 2 shown]
	ds_read_b128 v[196:199], v24 offset:33312
	ds_read_b128 v[235:238], v24 offset:33296
	v_dot4c_i32_i8 v205, v254, v202
	v_dot4c_i32_i8 v208, v22, v203
	;; [unrolled: 1-line block ×4, first 2 shown]
	v_mov_b32_e32 v202, 0
	v_dot4c_i32_i8 v205, v69, v203
	v_dot4c_i32_i8 v208, v23, v204
	;; [unrolled: 1-line block ×4, first 2 shown]
	v_mov_b32_e32 v203, 0
	v_dot4c_i32_i8 v205, v70, v204
	v_mov_b32_e32 v204, 0
	v_mov_b32_e32 v201, 0
	v_dot4c_i32_i8 v202, v0, v209
	v_dot4c_i32_i8 v203, v106, v209
	;; [unrolled: 1-line block ×4, first 2 shown]
	s_waitcnt lgkmcnt(1)
	v_dot4c_i32_i8 v230, v20, v196
	v_dot4c_i32_i8 v229, v106, v196
	;; [unrolled: 1-line block ×19, first 2 shown]
	ds_read_b128 v[196:199], v195 offset:33312
	ds_read_b128 v[239:242], v195 offset:33296
	v_dot4c_i32_i8 v201, v254, v210
	v_dot4c_i32_i8 v204, v22, v211
	;; [unrolled: 1-line block ×4, first 2 shown]
	v_mov_b32_e32 v210, 0
	v_dot4c_i32_i8 v201, v69, v211
	v_dot4c_i32_i8 v204, v23, v212
	v_dot4c_i32_i8 v203, v15, v212
	v_dot4c_i32_i8 v202, v17, v212
	v_mov_b32_e32 v211, 0
	v_dot4c_i32_i8 v201, v70, v212
	v_mov_b32_e32 v212, 0
	v_mov_b32_e32 v209, 0
	s_waitcnt lgkmcnt(1)
	v_dot4c_i32_i8 v224, v20, v196
	v_dot4c_i32_i8 v225, v106, v196
	;; [unrolled: 1-line block ×16, first 2 shown]
	ds_read_b128 v[196:199], v215 offset:33312
	ds_read_b128 v[243:246], v215 offset:33296
	s_waitcnt lgkmcnt(1)
	v_dot4c_i32_i8 v220, v20, v196
	v_dot4c_i32_i8 v221, v106, v196
	v_dot4c_i32_i8 v219, v0, v196
	v_dot4c_i32_i8 v218, v253, v196
	v_mov_b32_e32 v196, 0
	v_dot4c_i32_i8 v220, v21, v197
	v_dot4c_i32_i8 v221, v107, v197
	v_dot4c_i32_i8 v219, v1, v197
	v_dot4c_i32_i8 v218, v254, v197
	v_mov_b32_e32 v197, 0
	v_dot4c_i32_i8 v220, v22, v198
	v_dot4c_i32_i8 v221, v14, v198
	v_dot4c_i32_i8 v219, v16, v198
	v_dot4c_i32_i8 v218, v69, v198
	v_mov_b32_e32 v198, 0
	v_dot4c_i32_i8 v220, v23, v199
	v_dot4c_i32_i8 v221, v15, v199
	v_dot4c_i32_i8 v219, v17, v199
	v_dot4c_i32_i8 v218, v70, v199
	v_mov_b32_e32 v199, 0
	v_dot4c_i32_i8 v198, v106, v231
	v_dot4c_i32_i8 v197, v0, v231
	;; [unrolled: 1-line block ×16, first 2 shown]
	ds_read_b128 v[231:234], v226 offset:33312
	ds_read_b128 v[247:250], v226 offset:33296
	s_waitcnt lgkmcnt(1)
	v_dot4c_i32_i8 v210, v20, v231
	v_dot4c_i32_i8 v212, v106, v231
	;; [unrolled: 1-line block ×16, first 2 shown]
	ds_read2_b32 v[0:1], v185 offset0:4 offset1:5
	ds_read_b128 v[14:17], v170 offset:33296
	ds_read_b128 v[231:234], v170 offset:33280
	ds_read2_b32 v[20:21], v186 offset0:4 offset1:5
	ds_read2_b32 v[22:23], v186 offset0:2 offset1:3
	;; [unrolled: 1-line block ×7, first 2 shown]
	v_lshlrev_b32_e32 v170, 2, v128
	s_waitcnt lgkmcnt(9)
	v_dot4c_i32_i8 v110, v0, v235
	s_waitcnt lgkmcnt(8)
	v_dot4c_i32_i8 v28, v0, v14
	;; [unrolled: 2-line block ×5, first 2 shown]
	v_dot4c_i32_i8 v111, v20, v235
	v_dot4c_i32_i8 v112, v69, v235
	;; [unrolled: 1-line block ×27, first 2 shown]
	ds_read_b128 v[14:17], v171 offset:33296
	ds_read_b128 v[235:238], v171 offset:33280
	v_dot4c_i32_i8 v32, v0, v239
	v_dot4c_i32_i8 v118, v20, v239
	;; [unrolled: 1-line block ×18, first 2 shown]
	s_waitcnt lgkmcnt(1)
	v_dot4c_i32_i8 v116, v0, v14
	v_dot4c_i32_i8 v117, v20, v14
	;; [unrolled: 1-line block ×19, first 2 shown]
	ds_read_b128 v[14:17], v26 offset:33296
	ds_read_b128 v[239:242], v26 offset:33280
	v_mov_b32_e32 v26, 0
	v_dot4c_i32_i8 v123, v21, v244
	v_dot4c_i32_i8 v124, v70, v244
	;; [unrolled: 1-line block ×4, first 2 shown]
	v_lshlrev_b32_e32 v171, 2, v126
	v_dot4c_i32_i8 v123, v251, v245
	v_dot4c_i32_i8 v124, v106, v245
	;; [unrolled: 1-line block ×12, first 2 shown]
	s_waitcnt lgkmcnt(1)
	v_dot4c_i32_i8 v34, v0, v14
	v_dot4c_i32_i8 v26, v20, v14
	;; [unrolled: 1-line block ×19, first 2 shown]
	ds_read_b128 v[14:17], v27 offset:33296
	ds_read_b128 v[243:246], v27 offset:33280
	v_mov_b32_e32 v27, 0
	v_mov_b32_e32 v247, 0
	v_dot4c_i32_i8 v131, v99, v249
	v_dot4c_i32_i8 v127, v104, v249
	;; [unrolled: 1-line block ×4, first 2 shown]
	v_mov_b32_e32 v248, 0
	v_dot4c_i32_i8 v131, v100, v250
	v_dot4c_i32_i8 v127, v105, v250
	;; [unrolled: 1-line block ×4, first 2 shown]
	v_mov_b32_e32 v249, 0
	v_mov_b32_e32 v250, 0
	s_waitcnt lgkmcnt(1)
	v_dot4c_i32_i8 v36, v0, v14
	v_dot4c_i32_i8 v27, v20, v14
	;; [unrolled: 1-line block ×4, first 2 shown]
	v_add3_u32 v14, s9, v170, v171
	v_dot4c_i32_i8 v36, v1, v15
	v_dot4c_i32_i8 v27, v21, v15
	;; [unrolled: 1-line block ×4, first 2 shown]
	ds_read2_b32 v[0:1], v185 offset0:2 offset1:3
	ds_read_b32 v108, v14
	v_dot4c_i32_i8 v36, v104, v16
	v_dot4c_i32_i8 v27, v251, v16
	;; [unrolled: 1-line block ×4, first 2 shown]
	v_add3_u32 v14, s9, v172, v167
	v_dot4c_i32_i8 v36, v105, v17
	v_dot4c_i32_i8 v27, v252, v17
	;; [unrolled: 1-line block ×4, first 2 shown]
	ds_read_b32 v109, v14
	ds_read2_b32 v[16:17], v186 offset1:1
	ds_read2_b32 v[69:70], v192 offset1:1
	;; [unrolled: 1-line block ×4, first 2 shown]
	v_mov_b32_e32 v185, 0
	v_mov_b32_e32 v186, 0
	;; [unrolled: 1-line block ×6, first 2 shown]
	s_mov_b32 s9, 8
	s_waitcnt lgkmcnt(3)
	v_dot4c_i32_i8 v185, v16, v231
	s_waitcnt lgkmcnt(2)
	v_dot4c_i32_i8 v191, v69, v231
	;; [unrolled: 2-line block ×4, first 2 shown]
	v_mov_b32_e32 v231, 0
	v_dot4c_i32_i8 v185, v17, v232
	v_dot4c_i32_i8 v191, v70, v232
	v_dot4c_i32_i8 v247, v15, v232
	v_dot4c_i32_i8 v186, v21, v232
	v_mov_b32_e32 v232, 0
	v_dot4c_i32_i8 v185, v22, v233
	v_dot4c_i32_i8 v191, v24, v233
	v_dot4c_i32_i8 v247, v0, v233
	v_dot4c_i32_i8 v186, v253, v233
	;; [unrolled: 5-line block ×3, first 2 shown]
	v_dot4c_i32_i8 v233, v69, v2
	v_dot4c_i32_i8 v192, v15, v3
	;; [unrolled: 1-line block ×4, first 2 shown]
	v_lshrrev_b32_e32 v2, 1, v193
	v_dot4c_i32_i8 v233, v70, v3
	v_dot4c_i32_i8 v192, v0, v4
	;; [unrolled: 1-line block ×11, first 2 shown]
	ds_read_b64 v[99:100], v2 offset:43584
	ds_read_b128 v[2:5], v195 offset:33280
	v_dot4c_i32_i8 v191, v25, v234
	v_mov_b32_e32 v234, 0
	v_dot4c_i32_i8 v248, v16, v235
	v_dot4c_i32_i8 v249, v20, v235
	;; [unrolled: 1-line block ×3, first 2 shown]
	v_mov_b32_e32 v193, 0
	v_dot4c_i32_i8 v234, v14, v235
	v_dot4c_i32_i8 v248, v17, v236
	;; [unrolled: 1-line block ×4, first 2 shown]
	v_mov_b32_e32 v195, 0
	v_dot4c_i32_i8 v234, v15, v236
	v_mov_b32_e32 v235, 0
	v_mov_b32_e32 v236, 0
	v_dot4c_i32_i8 v248, v22, v237
	v_dot4c_i32_i8 v249, v253, v237
	;; [unrolled: 1-line block ×4, first 2 shown]
	v_mov_b32_e32 v237, 0
	s_waitcnt lgkmcnt(0)
	v_dot4c_i32_i8 v193, v14, v2
	v_dot4c_i32_i8 v195, v16, v2
	;; [unrolled: 1-line block ×4, first 2 shown]
	v_lshrrev_b32_e32 v2, 1, v194
	v_dot4c_i32_i8 v193, v15, v3
	v_dot4c_i32_i8 v195, v17, v3
	;; [unrolled: 1-line block ×14, first 2 shown]
	ds_read_b64 v[104:105], v2 offset:43584
	ds_read_b128 v[2:5], v215 offset:33280
	v_dot4c_i32_i8 v249, v254, v238
	v_dot4c_i32_i8 v250, v25, v238
	v_mov_b32_e32 v238, 0
	v_dot4c_i32_i8 v237, v14, v239
	v_dot4c_i32_i8 v251, v20, v239
	;; [unrolled: 1-line block ×3, first 2 shown]
	v_mov_b32_e32 v194, 0
	v_dot4c_i32_i8 v238, v16, v239
	v_dot4c_i32_i8 v237, v15, v240
	;; [unrolled: 1-line block ×4, first 2 shown]
	v_mov_b32_e32 v215, 0
	v_dot4c_i32_i8 v238, v17, v240
	v_mov_b32_e32 v239, 0
	v_mov_b32_e32 v240, 0
	v_dot4c_i32_i8 v237, v0, v241
	v_dot4c_i32_i8 v251, v253, v241
	;; [unrolled: 1-line block ×4, first 2 shown]
	s_waitcnt lgkmcnt(0)
	v_dot4c_i32_i8 v194, v14, v2
	v_dot4c_i32_i8 v215, v16, v2
	;; [unrolled: 1-line block ×4, first 2 shown]
	v_lshrrev_b32_e32 v2, 1, v200
	v_dot4c_i32_i8 v194, v15, v3
	v_dot4c_i32_i8 v215, v17, v3
	;; [unrolled: 1-line block ×14, first 2 shown]
	ds_read_b64 v[106:107], v2 offset:43584
	ds_read_b128 v[2:5], v226 offset:33280
	v_dot4c_i32_i8 v251, v254, v242
	v_dot4c_i32_i8 v252, v25, v242
	v_mov_b32_e32 v241, 0
	v_mov_b32_e32 v242, 0
	;; [unrolled: 1-line block ×3, first 2 shown]
	v_dot4c_i32_i8 v132, v20, v243
	v_dot4c_i32_i8 v133, v69, v243
	;; [unrolled: 1-line block ×4, first 2 shown]
	v_mov_b32_e32 v200, 0
	v_dot4c_i32_i8 v132, v21, v244
	v_dot4c_i32_i8 v133, v70, v244
	;; [unrolled: 1-line block ×4, first 2 shown]
	v_mov_b32_e32 v244, 0
	v_mov_b32_e32 v243, 0
	v_dot4c_i32_i8 v133, v24, v245
	v_dot4c_i32_i8 v241, v0, v245
	;; [unrolled: 1-line block ×3, first 2 shown]
	s_waitcnt lgkmcnt(0)
	v_dot4c_i32_i8 v226, v16, v2
	v_dot4c_i32_i8 v244, v69, v2
	;; [unrolled: 1-line block ×12, first 2 shown]
	v_bfe_i32 v24, v108, 0, 8
	v_bfe_i32 v69, v108, 16, 8
	;; [unrolled: 1-line block ×3, first 2 shown]
	v_dot4c_i32_i8 v226, v23, v5
	v_bfe_i32 v23, v108, 8, 8
	v_dot4c_i32_i8 v244, v25, v5
	v_ashrrev_i32_e32 v25, 24, v108
	v_dot4c_i32_i8 v200, v0, v4
	v_dot4c_i32_i8 v243, v253, v4
	v_mul_lo_u32 v2, v110, v23
	v_lshrrev_b32_e32 v0, 1, v90
	v_bfe_i32 v90, v89, 0, 8
	v_dot4c_i32_i8 v200, v1, v5
	v_dot4c_i32_i8 v243, v254, v5
	v_bfe_i32 v108, v88, 0, 8
	v_ashrrev_i32_e32 v110, 24, v88
	v_dot4c_i32_i8 v241, v1, v246
	v_mad_u64_u32 v[2:3], null, v192, v24, v[2:3]
	v_mul_lo_u32 v3, v98, v25
	v_ashrrev_i32_e32 v98, 24, v89
	v_bfe_i32 v89, v89, 16, 8
	ds_read_b64 v[0:1], v0 offset:43584
	v_dot4c_i32_i8 v132, v253, v245
	v_cvt_f32_i32_e32 v2, v2
	v_mad_u64_u32 v[3:4], null, v230, v69, v[3:4]
	v_mul_lo_u32 v4, v111, v70
	v_bfe_i32 v111, v109, 0, 8
	v_dot4c_i32_i8 v132, v254, v246
	v_cvt_f32_i32_e32 v3, v3
	v_mad_u64_u32 v[4:5], null, v231, v90, v[4:5]
	v_mul_lo_u32 v5, v97, v98
	v_bfe_i32 v97, v88, 8, 8
	v_bfe_i32 v88, v88, 16, 8
	v_cvt_f32_i32_e32 v4, v4
	v_mad_u64_u32 v[14:15], null, v229, v89, v[5:6]
	v_mul_lo_u32 v5, v112, v97
	v_ashrrev_i32_e32 v112, 24, v109
	v_mad_u64_u32 v[15:16], null, v232, v108, v[5:6]
	v_mul_lo_u32 v5, v96, v110
	v_bfe_i32 v96, v109, 8, 8
	v_bfe_i32 v109, v109, 16, 8
	v_mad_u64_u32 v[16:17], null, v228, v88, v[5:6]
	v_mul_lo_u32 v5, v113, v96
	v_mad_u64_u32 v[20:21], null, v233, v111, v[5:6]
	v_mul_lo_u32 v5, v95, v112
	v_mad_u64_u32 v[21:22], null, v227, v109, v[5:6]
	v_cvt_f32_i32_e32 v5, v14
	v_cvt_f32_i32_e32 v14, v15
	;; [unrolled: 1-line block ×4, first 2 shown]
	v_fma_f32 v20, v6, v2, 0
	v_mul_lo_u32 v2, v247, v24
	v_cvt_f32_i32_e32 v17, v21
	v_fma_f32 v21, v6, v4, 0
	v_fma_f32 v22, v6, v14, 0
	v_fmac_f32_e32 v20, v7, v3
	v_fma_f32 v95, v6, v16, 0
	v_fmac_f32_e32 v21, v7, v5
	v_mad_u64_u32 v[2:3], null, v28, v23, v[2:3]
	v_mul_lo_u32 v3, v213, v69
	v_fmac_f32_e32 v22, v7, v15
	v_fmac_f32_e32 v95, v7, v17
	;; [unrolled: 1-line block ×4, first 2 shown]
	v_cvt_f32_i32_e32 v2, v2
	v_fmac_f32_e32 v63, v74, v22
	v_mad_u64_u32 v[3:4], null, v80, v25, v[3:4]
	v_mul_lo_u32 v4, v185, v90
	v_fmac_f32_e32 v67, v75, v95
	v_cvt_f32_i32_e32 v3, v3
	v_mad_u64_u32 v[4:5], null, v29, v70, v[4:5]
	v_mul_lo_u32 v5, v216, v89
	v_cvt_f32_i32_e32 v4, v4
	v_mad_u64_u32 v[5:6], null, v81, v98, v[5:6]
	v_mul_lo_u32 v6, v186, v108
	;; [unrolled: 3-line block ×4, first 2 shown]
	s_waitcnt lgkmcnt(0)
	v_fma_f32 v28, v0, v6, 0
	v_mad_u64_u32 v[15:16], null, v31, v96, v[7:8]
	v_mul_lo_u32 v7, v214, v109
	v_mad_u64_u32 v[16:17], null, v83, v112, v[7:8]
	v_cvt_f32_i32_e32 v7, v14
	v_cvt_f32_i32_e32 v14, v15
	v_fma_f32 v17, v0, v4, 0
	v_fmac_f32_e32 v28, v1, v7
	v_cvt_f32_i32_e32 v15, v16
	v_fma_f32 v16, v0, v2, 0
	v_fma_f32 v29, v0, v14, 0
	v_mul_lo_u32 v0, v32, v23
	v_fmac_f32_e32 v17, v1, v5
	v_fma_f32 v64, v78, v28, v64
	v_fmac_f32_e32 v16, v1, v3
	v_fmac_f32_e32 v29, v1, v15
	v_fma_f32 v66, v77, v17, v66
	v_mad_u64_u32 v[0:1], null, v193, v24, v[0:1]
	v_mul_lo_u32 v1, v179, v25
	v_fma_f32 v19, v76, v16, v19
	v_fma_f32 v68, v79, v29, v68
	v_cvt_f32_i32_e32 v0, v0
	v_mad_u64_u32 v[1:2], null, v224, v69, v[1:2]
	v_mul_lo_u32 v2, v118, v70
	v_cvt_f32_i32_e32 v1, v1
	v_mad_u64_u32 v[2:3], null, v195, v90, v[2:3]
	v_mul_lo_u32 v3, v180, v98
	;; [unrolled: 3-line block ×5, first 2 shown]
	v_fma_f32 v30, v8, v4, 0
	v_cvt_f32_i32_e32 v5, v5
	v_mad_u64_u32 v[6:7], null, v236, v111, v[6:7]
	v_mul_lo_u32 v7, v177, v112
	v_fmac_f32_e32 v30, v9, v5
	v_cvt_f32_i32_e32 v6, v6
	v_fmac_f32_e32 v55, v74, v30
	v_mad_u64_u32 v[14:15], null, v222, v109, v[7:8]
	v_fma_f32 v15, v8, v2, 0
	v_fma_f32 v31, v8, v6, 0
	v_fmac_f32_e32 v15, v9, v3
	v_cvt_f32_i32_e32 v7, v14
	v_fma_f32 v14, v8, v0, 0
	v_mul_lo_u32 v0, v234, v24
	v_fmac_f32_e32 v61, v73, v15
	v_fmac_f32_e32 v31, v9, v7
	;; [unrolled: 1-line block ×3, first 2 shown]
	v_mad_u64_u32 v[0:1], null, v116, v23, v[0:1]
	v_mul_lo_u32 v1, v208, v69
	v_fmac_f32_e32 v59, v72, v14
	v_fmac_f32_e32 v57, v75, v31
	v_cvt_f32_i32_e32 v0, v0
	v_mad_u64_u32 v[1:2], null, v85, v25, v[1:2]
	v_mul_lo_u32 v2, v248, v90
	v_fma_f32 v9, v99, v0, 0
	v_mul_lo_u32 v0, v121, v23
	v_cvt_f32_i32_e32 v1, v1
	v_mad_u64_u32 v[2:3], null, v117, v70, v[2:3]
	v_mul_lo_u32 v3, v207, v89
	v_fmac_f32_e32 v9, v100, v1
	v_mad_u64_u32 v[0:1], null, v194, v24, v[0:1]
	v_mul_lo_u32 v1, v183, v25
	v_cvt_f32_i32_e32 v2, v2
	v_fma_f32 v60, v76, v9, v60
	v_mad_u64_u32 v[3:4], null, v87, v98, v[3:4]
	v_mul_lo_u32 v4, v249, v108
	v_fma_f32 v32, v99, v2, 0
	v_mad_u64_u32 v[1:2], null, v220, v69, v[1:2]
	v_mul_lo_u32 v2, v123, v70
	v_cvt_f32_i32_e32 v0, v0
	v_cvt_f32_i32_e32 v3, v3
	v_mad_u64_u32 v[4:5], null, v255, v97, v[4:5]
	v_mul_lo_u32 v5, v206, v88
	v_fmac_f32_e32 v32, v100, v3
	v_mad_u64_u32 v[2:3], null, v215, v90, v[2:3]
	v_mul_lo_u32 v3, v184, v98
	v_fma_f32 v81, v10, v0, 0
	v_cvt_f32_i32_e32 v4, v4
	v_mul_lo_u32 v0, v237, v24
	v_mad_u64_u32 v[5:6], null, v86, v110, v[5:6]
	v_mul_lo_u32 v6, v250, v111
	v_fma_f32 v33, v99, v4, 0
	v_mad_u64_u32 v[3:4], null, v221, v89, v[3:4]
	v_mul_lo_u32 v4, v124, v97
	v_cvt_f32_i32_e32 v1, v1
	v_cvt_f32_i32_e32 v5, v5
	;; [unrolled: 1-line block ×3, first 2 shown]
	v_mad_u64_u32 v[6:7], null, v114, v96, v[6:7]
	v_mul_lo_u32 v7, v205, v109
	v_fmac_f32_e32 v33, v100, v5
	v_mad_u64_u32 v[4:5], null, v239, v108, v[4:5]
	v_mul_lo_u32 v5, v182, v110
	v_fmac_f32_e32 v81, v11, v1
	v_cvt_f32_i32_e32 v6, v6
	v_mad_u64_u32 v[0:1], null, v34, v23, v[0:1]
	v_mad_u64_u32 v[7:8], null, v84, v112, v[7:8]
	v_fma_f32 v80, v99, v6, 0
	v_mad_u64_u32 v[5:6], null, v219, v88, v[5:6]
	v_mul_lo_u32 v6, v125, v96
	v_mul_lo_u32 v1, v204, v69
	v_cvt_f32_i32_e32 v4, v4
	v_cvt_f32_i32_e32 v7, v7
	;; [unrolled: 1-line block ×3, first 2 shown]
	v_fma_f32 v82, v10, v2, 0
	v_cvt_f32_i32_e32 v5, v5
	v_fma_f32 v83, v10, v4, 0
	v_fmac_f32_e32 v80, v100, v7
	v_mad_u64_u32 v[6:7], null, v240, v111, v[6:7]
	v_mul_lo_u32 v7, v181, v112
	v_mad_u64_u32 v[1:2], null, v92, v25, v[1:2]
	v_cvt_f32_i32_e32 v0, v0
	v_mul_lo_u32 v2, v238, v90
	v_fmac_f32_e32 v82, v11, v3
	v_cvt_f32_i32_e32 v6, v6
	v_fmac_f32_e32 v83, v11, v5
	v_mad_u64_u32 v[7:8], null, v218, v109, v[7:8]
	v_cvt_f32_i32_e32 v1, v1
	v_fma_f32 v10, v10, v6, 0
	v_mad_u64_u32 v[2:3], null, v26, v70, v[2:3]
	v_mul_lo_u32 v3, v203, v89
	v_fma_f32 v62, v77, v32, v62
	v_cvt_f32_i32_e32 v7, v7
	v_fma_f32 v56, v78, v33, v56
	v_fma_f32 v58, v79, v80, v58
	v_fmac_f32_e32 v47, v72, v81
	v_cvt_f32_i32_e32 v2, v2
	v_fmac_f32_e32 v10, v11, v7
	v_fma_f32 v11, v104, v0, 0
	v_mul_lo_u32 v0, v127, v23
	v_mad_u64_u32 v[3:4], null, v94, v98, v[3:4]
	v_mul_lo_u32 v4, v251, v108
	v_fmac_f32_e32 v11, v105, v1
	v_fma_f32 v26, v104, v2, 0
	v_fmac_f32_e32 v49, v73, v82
	v_fmac_f32_e32 v51, v74, v83
	v_mad_u64_u32 v[0:1], null, v200, v24, v[0:1]
	v_mul_lo_u32 v1, v188, v25
	v_cvt_f32_i32_e32 v3, v3
	v_mad_u64_u32 v[4:5], null, v120, v97, v[4:5]
	v_mul_lo_u32 v5, v202, v88
	v_fma_f32 v48, v76, v11, v48
	v_cvt_f32_i32_e32 v0, v0
	v_fmac_f32_e32 v26, v105, v3
	v_mad_u64_u32 v[1:2], null, v210, v69, v[1:2]
	v_mul_lo_u32 v2, v129, v70
	v_fma_f32 v84, v12, v0, 0
	v_mul_lo_u32 v0, v241, v24
	v_cvt_f32_i32_e32 v4, v4
	v_mad_u64_u32 v[5:6], null, v93, v110, v[5:6]
	v_cvt_f32_i32_e32 v1, v1
	v_mul_lo_u32 v6, v252, v111
	v_mad_u64_u32 v[2:3], null, v226, v90, v[2:3]
	v_mul_lo_u32 v3, v190, v98
	v_fmac_f32_e32 v84, v13, v1
	v_mad_u64_u32 v[0:1], null, v36, v23, v[0:1]
	v_mul_lo_u32 v1, v199, v69
	v_fma_f32 v34, v104, v4, 0
	v_cvt_f32_i32_e32 v2, v2
	v_cvt_f32_i32_e32 v5, v5
	v_mad_u64_u32 v[3:4], null, v212, v89, v[3:4]
	v_mul_lo_u32 v4, v130, v97
	v_fma_f32 v85, v12, v2, 0
	v_mad_u64_u32 v[1:2], null, v174, v25, v[1:2]
	v_mad_u64_u32 v[6:7], null, v35, v96, v[6:7]
	v_mul_lo_u32 v2, v242, v90
	v_mul_lo_u32 v7, v201, v109
	v_cvt_f32_i32_e32 v3, v3
	v_fmac_f32_e32 v34, v105, v5
	v_mad_u64_u32 v[4:5], null, v243, v108, v[4:5]
	v_mul_lo_u32 v5, v189, v110
	v_cvt_f32_i32_e32 v6, v6
	v_fmac_f32_e32 v85, v13, v3
	v_mad_u64_u32 v[2:3], null, v27, v70, v[2:3]
	v_mad_u64_u32 v[7:8], null, v91, v112, v[7:8]
	v_mul_lo_u32 v3, v198, v89
	v_cvt_f32_i32_e32 v4, v4
	v_fma_f32 v35, v104, v6, 0
	v_mad_u64_u32 v[5:6], null, v211, v88, v[5:6]
	v_mul_lo_u32 v6, v131, v96
	v_cvt_f32_i32_e32 v7, v7
	v_fma_f32 v86, v12, v4, 0
	v_mad_u64_u32 v[3:4], null, v176, v98, v[3:4]
	v_mul_lo_u32 v4, v132, v108
	v_cvt_f32_i32_e32 v5, v5
	v_fmac_f32_e32 v35, v105, v7
	v_mad_u64_u32 v[6:7], null, v244, v111, v[6:7]
	v_mul_lo_u32 v7, v187, v112
	v_fmac_f32_e32 v86, v13, v5
	v_cvt_f32_i32_e32 v0, v0
	v_mad_u64_u32 v[4:5], null, v155, v97, v[4:5]
	v_mul_lo_u32 v5, v197, v88
	v_cvt_f32_i32_e32 v6, v6
	v_cvt_f32_i32_e32 v1, v1
	v_mad_u64_u32 v[7:8], null, v209, v109, v[7:8]
	v_cvt_f32_i32_e32 v2, v2
	v_fma_f32 v12, v12, v6, 0
	v_fma_f32 v0, v106, v0, 0
	v_mad_u64_u32 v[5:6], null, v175, v110, v[5:6]
	v_mul_lo_u32 v6, v133, v111
	v_cvt_f32_i32_e32 v7, v7
	v_cvt_f32_i32_e32 v3, v3
	;; [unrolled: 1-line block ×3, first 2 shown]
	v_fmac_f32_e32 v0, v107, v1
	v_fma_f32 v1, v106, v2, 0
	v_fmac_f32_e32 v12, v13, v7
	v_cvt_f32_i32_e32 v5, v5
	v_mad_u64_u32 v[6:7], null, v156, v96, v[6:7]
	v_mul_lo_u32 v7, v196, v109
	v_fmac_f32_e32 v1, v107, v3
	v_fma_f32 v2, v106, v4, 0
	v_fma_f32 v50, v77, v26, v50
	;; [unrolled: 1-line block ×4, first 2 shown]
	v_cvt_f32_i32_e32 v6, v6
	v_fmac_f32_e32 v2, v107, v5
	v_mad_u64_u32 v[7:8], null, v173, v112, v[7:8]
	v_fmac_f32_e32 v45, v75, v10
	v_fma_f32 v3, v106, v6, 0
	v_fma_f32 v38, v76, v0, v38
	v_fmac_f32_e32 v37, v72, v84
	v_fma_f32 v40, v77, v1, v40
	v_fmac_f32_e32 v39, v73, v85
	v_cvt_f32_i32_e32 v7, v7
	v_fma_f32 v42, v78, v2, v42
	v_fmac_f32_e32 v41, v74, v86
	v_fmac_f32_e32 v43, v75, v12
	;; [unrolled: 1-line block ×3, first 2 shown]
	v_fma_f32 v44, v79, v3, v44
	s_cbranch_vccnz .LBB156_6
; %bb.7:                                ;   in Loop: Header=BB156_5 Depth=1
	s_barrier
	buffer_load_dword v0, off, s[20:23], 0 offset:4 ; 4-byte Folded Reload
	s_waitcnt vmcnt(0)
	buffer_gl0_inv
	s_clause 0x1
	buffer_load_dword v1, off, s[20:23], 0 offset:8
	buffer_load_dword v5, off, s[20:23], 0 offset:16
	v_add_nc_u32_e32 v12, s0, v137
	v_add_nc_u32_e32 v10, 4, v71
	s_mov_b32 s0, 16
	buffer_load_dword v7, off, s[20:23], 0 offset:20 ; 4-byte Folded Reload
	v_add_nc_u32_e32 v13, v12, v134
	v_mad_u64_u32 v[10:11], null, v10, 36, s[2:3]
	v_add_nc_u32_e32 v14, v12, v135
	v_add_nc_u32_e32 v16, v12, v136
	v_mad_i64_i32 v[14:15], null, v14, 36, v[53:54]
	v_mad_i64_i32 v[16:17], null, v16, 36, v[53:54]
	v_add_nc_u32_e32 v0, v12, v0
	s_waitcnt vmcnt(2)
	v_add_nc_u32_e32 v2, v12, v1
	buffer_load_dword v1, off, s[20:23], 0 offset:12 ; 4-byte Folded Reload
	s_waitcnt vmcnt(2)
	v_add_nc_u32_e32 v6, v12, v5
	v_mad_i64_i32 v[2:3], null, v2, 36, v[53:54]
	s_waitcnt vmcnt(1)
	v_add_nc_u32_e32 v8, v12, v7
	v_mad_i64_i32 v[6:7], null, v6, 36, v[53:54]
	v_mad_i64_i32 v[8:9], null, v8, 36, v[53:54]
	s_waitcnt vmcnt(0)
	v_add_nc_u32_e32 v4, v12, v1
	v_mad_i64_i32 v[0:1], null, v0, 36, v[53:54]
	v_mad_i64_i32 v[12:13], null, v13, 36, v[53:54]
	;; [unrolled: 1-line block ×3, first 2 shown]
	s_clause 0x8
	global_load_dword v10, v[10:11], off
	global_load_dword v0, v[0:1], off offset:4
	global_load_dword v1, v[2:3], off offset:4
	;; [unrolled: 1-line block ×8, first 2 shown]
	s_waitcnt vmcnt(7)
	ds_write_b32 v157, v0
	s_waitcnt vmcnt(6)
	ds_write_b32 v158, v1
	s_waitcnt vmcnt(5)
	ds_write_b32 v159, v2
	s_waitcnt vmcnt(4)
	ds_write_b32 v160, v3
	s_waitcnt vmcnt(3)
	ds_write_b32 v161, v4
	s_waitcnt vmcnt(2)
	ds_write_b32 v162, v5
	s_waitcnt vmcnt(1)
	ds_write_b32 v163, v6
	s_waitcnt vmcnt(0)
	ds_write_b32 v164, v7
	buffer_load_dword v0, off, s[20:23], 0  ; 4-byte Folded Reload
	v_cvt_f32_f16_e32 v8, v10
	s_waitcnt vmcnt(0)
	ds_write_b32 v0, v8
	s_waitcnt lgkmcnt(0)
	s_barrier
	buffer_gl0_inv
	ds_read_b32 v173, v140
	ds_read_b32 v174, v141 offset:128
	ds_read_b32 v175, v142 offset:256
	;; [unrolled: 1-line block ×3, first 2 shown]
	s_waitcnt lgkmcnt(3)
	v_mov_b32_e32 v177, v173
	s_waitcnt lgkmcnt(2)
	v_mov_b32_e32 v178, v174
	;; [unrolled: 2-line block ×4, first 2 shown]
.LBB156_8:                              ;   Parent Loop BB156_5 Depth=1
                                        ; =>  This Inner Loop Header: Depth=2
	s_lshl_b32 s9, s0, 1
	s_lshr_b32 s16, s0, 1
	s_and_b32 s11, s9, 16
	s_lshl_b32 s1, s0, 3
	v_or_b32_e32 v189, s11, v115
	s_add_i32 s9, s16, 0xa200
	v_add_nc_u32_e32 v212, s1, v151
	v_add3_u32 v0, s9, v168, v165
	v_add_nc_u32_e32 v213, s1, v152
	v_add_nc_u32_e32 v214, s1, v153
	v_add_nc_u32_e32 v215, s1, v154
	v_add3_u32 v1, s9, v169, v166
	v_lshlrev_b32_e32 v222, 2, v189
	ds_read2_b32 v[87:88], v212 offset0:12 offset1:13
	ds_read2_b32 v[83:84], v212 offset0:14 offset1:15
	ds_read_b32 v191, v0
	ds_read_b32 v190, v1
	ds_read_b128 v[10:13], v222 offset:33328
	ds_read_b128 v[6:9], v222 offset:33312
	ds_read2_b32 v[91:92], v213 offset0:12 offset1:13
	ds_read2_b32 v[85:86], v213 offset0:14 offset1:15
	;; [unrolled: 1-line block ×8, first 2 shown]
	v_or_b32_e32 v0, s11, v144
	v_mov_b32_e32 v181, 0
	v_mov_b32_e32 v182, 0
	;; [unrolled: 1-line block ×4, first 2 shown]
	v_lshlrev_b32_e32 v226, 2, v0
	ds_read2_b32 v[97:98], v215 offset0:14 offset1:15
	ds_read_b128 v[2:5], v226 offset:33280
	v_lshrrev_b32_e32 v0, 1, v0
	v_mov_b32_e32 v199, 0
	v_mov_b32_e32 v198, 0
	;; [unrolled: 1-line block ×4, first 2 shown]
	s_waitcnt lgkmcnt(11)
	v_dot4c_i32_i8 v181, v87, v10
	s_waitcnt lgkmcnt(9)
	v_dot4c_i32_i8 v182, v91, v10
	;; [unrolled: 2-line block ×4, first 2 shown]
	v_or_b32_e32 v216, s11, v145
	v_dot4c_i32_i8 v181, v88, v11
	v_dot4c_i32_i8 v182, v92, v11
	;; [unrolled: 1-line block ×4, first 2 shown]
	v_lshlrev_b32_e32 v224, 2, v216
	v_dot4c_i32_i8 v181, v83, v12
	v_dot4c_i32_i8 v182, v85, v12
	;; [unrolled: 1-line block ×3, first 2 shown]
	s_waitcnt lgkmcnt(1)
	v_dot4c_i32_i8 v184, v97, v12
	v_mov_b32_e32 v186, 0
	v_dot4c_i32_i8 v181, v84, v13
	v_dot4c_i32_i8 v182, v86, v13
	;; [unrolled: 1-line block ×4, first 2 shown]
	ds_read_b64 v[69:70], v0 offset:43584
	ds_read_b128 v[10:13], v226 offset:33328
	v_mov_b32_e32 v188, 0
	v_mov_b32_e32 v187, 0
	v_mov_b32_e32 v185, 0
	v_or_b32_e32 v0, s11, v146
	v_mov_b32_e32 v206, 0
	v_mov_b32_e32 v207, 0
	v_mov_b32_e32 v205, 0
	v_mov_b32_e32 v204, 0
	v_lshrrev_b32_e32 v1, 1, v0
	v_lshlrev_b32_e32 v219, 2, v0
	v_or_b32_e32 v218, s11, v147
	v_mov_b32_e32 v193, 0
	v_mov_b32_e32 v195, 0
	;; [unrolled: 1-line block ×4, first 2 shown]
	v_lshlrev_b32_e32 v225, 2, v218
	v_or_b32_e32 v0, s11, v148
	v_or_b32_e32 v217, s11, v149
	v_mov_b32_e32 v210, 0
	s_waitcnt lgkmcnt(0)
	v_dot4c_i32_i8 v199, v87, v10
	v_dot4c_i32_i8 v198, v91, v10
	;; [unrolled: 1-line block ×4, first 2 shown]
	v_lshlrev_b32_e32 v223, 2, v0
	v_dot4c_i32_i8 v199, v88, v11
	v_dot4c_i32_i8 v198, v92, v11
	;; [unrolled: 1-line block ×4, first 2 shown]
	v_mov_b32_e32 v211, 0
	v_dot4c_i32_i8 v199, v83, v12
	v_dot4c_i32_i8 v198, v85, v12
	;; [unrolled: 1-line block ×4, first 2 shown]
	v_mov_b32_e32 v209, 0
	v_dot4c_i32_i8 v199, v84, v13
	v_dot4c_i32_i8 v198, v86, v13
	;; [unrolled: 1-line block ×4, first 2 shown]
	ds_read_b128 v[14:17], v224 offset:33328
	ds_read_b128 v[10:13], v224 offset:33312
	v_mov_b32_e32 v208, 0
	v_lshlrev_b32_e32 v228, 2, v217
	v_mov_b32_e32 v220, 0
	v_mov_b32_e32 v221, 0
	;; [unrolled: 1-line block ×16, first 2 shown]
	s_waitcnt lgkmcnt(1)
	v_dot4c_i32_i8 v186, v87, v14
	v_dot4c_i32_i8 v188, v91, v14
	v_dot4c_i32_i8 v187, v93, v14
	v_dot4c_i32_i8 v185, v95, v14
	v_mov_b32_e32 v127, 0
	v_dot4c_i32_i8 v186, v88, v15
	v_dot4c_i32_i8 v188, v92, v15
	v_dot4c_i32_i8 v187, v94, v15
	v_dot4c_i32_i8 v185, v96, v15
	v_mov_b32_e32 v129, 0
	;; [unrolled: 5-line block ×3, first 2 shown]
	v_dot4c_i32_i8 v186, v84, v17
	v_dot4c_i32_i8 v188, v86, v17
	;; [unrolled: 1-line block ×4, first 2 shown]
	ds_read_b64 v[71:72], v1 offset:43584
	ds_read_b128 v[14:17], v219 offset:33328
	v_lshrrev_b32_e32 v1, 1, v0
	v_or_b32_e32 v0, s11, v150
	v_mov_b32_e32 v131, 0
	v_mov_b32_e32 v132, 0
	;; [unrolled: 1-line block ×5, first 2 shown]
	s_add_i32 s1, s0, 8
	s_cmp_lt_u32 s0, 24
	s_mov_b32 s0, s1
	s_waitcnt lgkmcnt(0)
	v_dot4c_i32_i8 v206, v87, v14
	v_dot4c_i32_i8 v207, v91, v14
	;; [unrolled: 1-line block ×16, first 2 shown]
	ds_read_b128 v[73:76], v225 offset:33328
	ds_read_b128 v[14:17], v225 offset:33312
	s_waitcnt lgkmcnt(1)
	v_dot4c_i32_i8 v193, v87, v73
	v_dot4c_i32_i8 v195, v91, v73
	;; [unrolled: 1-line block ×8, first 2 shown]
	ds_read_b64 v[73:74], v1 offset:43584
	ds_read_b128 v[200:203], v223 offset:33328
	ds_read_b128 v[229:232], v228 offset:33328
	;; [unrolled: 1-line block ×3, first 2 shown]
	v_dot4c_i32_i8 v193, v83, v75
	v_dot4c_i32_i8 v195, v85, v75
	v_dot4c_i32_i8 v194, v89, v75
	v_dot4c_i32_i8 v192, v97, v75
	v_lshrrev_b32_e32 v1, 1, v0
	v_dot4c_i32_i8 v193, v84, v76
	v_dot4c_i32_i8 v195, v86, v76
	;; [unrolled: 1-line block ×4, first 2 shown]
	s_waitcnt lgkmcnt(2)
	v_dot4c_i32_i8 v210, v87, v200
	v_dot4c_i32_i8 v211, v91, v200
	v_dot4c_i32_i8 v209, v93, v200
	v_dot4c_i32_i8 v208, v95, v200
	v_mov_b32_e32 v200, 0
	v_dot4c_i32_i8 v210, v88, v201
	v_dot4c_i32_i8 v211, v92, v201
	v_dot4c_i32_i8 v209, v94, v201
	v_dot4c_i32_i8 v208, v96, v201
	v_mov_b32_e32 v201, 0
	;; [unrolled: 5-line block ×4, first 2 shown]
	s_waitcnt lgkmcnt(1)
	v_dot4c_i32_i8 v201, v87, v229
	v_dot4c_i32_i8 v202, v93, v229
	;; [unrolled: 1-line block ×7, first 2 shown]
	v_lshlrev_b32_e32 v229, 2, v0
	v_dot4c_i32_i8 v203, v92, v230
	v_dot4c_i32_i8 v201, v83, v231
	;; [unrolled: 1-line block ×9, first 2 shown]
	ds_read_b64 v[75:76], v1 offset:43584
	ds_read_b128 v[230:233], v229 offset:33328
	ds_read2_b32 v[0:1], v212 offset0:8 offset1:9
	ds_read2_b32 v[20:21], v212 offset0:10 offset1:11
	;; [unrolled: 1-line block ×8, first 2 shown]
	s_waitcnt lgkmcnt(8)
	v_dot4c_i32_i8 v220, v87, v230
	v_dot4c_i32_i8 v221, v91, v230
	v_mov_b32_e32 v91, 0
	v_mov_b32_e32 v87, 0
	v_dot4c_i32_i8 v220, v88, v231
	v_mov_b32_e32 v88, 0
	v_dot4c_i32_i8 v221, v92, v231
	v_mov_b32_e32 v92, 0
	s_waitcnt lgkmcnt(4)
	v_dot4c_i32_i8 v91, v22, v6
	v_dot4c_i32_i8 v87, v95, v230
	;; [unrolled: 1-line block ×4, first 2 shown]
	s_waitcnt lgkmcnt(2)
	v_dot4c_i32_i8 v92, v104, v6
	v_dot4c_i32_i8 v91, v23, v7
	;; [unrolled: 1-line block ×9, first 2 shown]
	v_mov_b32_e32 v89, 0
	v_dot4c_i32_i8 v92, v79, v8
	v_dot4c_i32_i8 v91, v78, v9
	;; [unrolled: 1-line block ×4, first 2 shown]
	v_mov_b32_e32 v90, 0
	v_dot4c_i32_i8 v89, v0, v6
	v_dot4c_i32_i8 v92, v80, v9
	;; [unrolled: 1-line block ×4, first 2 shown]
	s_waitcnt lgkmcnt(1)
	v_dot4c_i32_i8 v90, v106, v6
	v_dot4c_i32_i8 v89, v1, v7
	v_mov_b32_e32 v233, 0
	v_mov_b32_e32 v232, 0
	v_mov_b32_e32 v231, 0
	v_dot4c_i32_i8 v90, v107, v7
	v_dot4c_i32_i8 v89, v20, v8
	v_mov_b32_e32 v230, 0
	v_mov_b32_e32 v98, 0
	v_mov_b32_e32 v97, 0
	;; [unrolled: 5-line block ×3, first 2 shown]
	v_dot4c_i32_i8 v90, v82, v9
	ds_read_b128 v[6:9], v226 offset:33312
	ds_read_b128 v[238:241], v226 offset:33296
	v_mov_b32_e32 v226, 0
	v_mov_b32_e32 v93, 0
	;; [unrolled: 1-line block ×6, first 2 shown]
	v_dot4c_i32_i8 v86, v0, v10
	v_dot4c_i32_i8 v85, v22, v10
	;; [unrolled: 1-line block ×4, first 2 shown]
	v_mov_b32_e32 v10, 0
	v_dot4c_i32_i8 v86, v1, v11
	v_dot4c_i32_i8 v85, v23, v11
	v_dot4c_i32_i8 v84, v105, v11
	v_dot4c_i32_i8 v83, v107, v11
	v_mov_b32_e32 v11, 0
	v_dot4c_i32_i8 v86, v20, v12
	s_waitcnt lgkmcnt(1)
	v_dot4c_i32_i8 v233, v0, v6
	v_dot4c_i32_i8 v232, v22, v6
	;; [unrolled: 1-line block ×19, first 2 shown]
	ds_read_b128 v[6:9], v219 offset:33312
	ds_read_b128 v[242:245], v219 offset:33296
	v_dot4c_i32_i8 v86, v21, v13
	v_dot4c_i32_i8 v85, v78, v13
	;; [unrolled: 1-line block ×4, first 2 shown]
	v_mov_b32_e32 v13, 0
	v_mov_b32_e32 v12, 0
	v_dot4c_i32_i8 v11, v104, v14
	v_dot4c_i32_i8 v10, v106, v14
	;; [unrolled: 1-line block ×6, first 2 shown]
	v_mov_b32_e32 v14, 0
	v_dot4c_i32_i8 v13, v1, v15
	v_dot4c_i32_i8 v12, v23, v15
	;; [unrolled: 1-line block ×4, first 2 shown]
	s_waitcnt lgkmcnt(1)
	v_dot4c_i32_i8 v226, v0, v6
	v_dot4c_i32_i8 v227, v22, v6
	;; [unrolled: 1-line block ×19, first 2 shown]
	ds_read_b128 v[6:9], v223 offset:33312
	ds_read_b128 v[246:249], v223 offset:33296
	v_dot4c_i32_i8 v12, v78, v17
	v_dot4c_i32_i8 v11, v80, v17
	v_dot4c_i32_i8 v10, v82, v17
	v_mov_b32_e32 v17, 0
	v_mov_b32_e32 v16, 0
	;; [unrolled: 1-line block ×3, first 2 shown]
	s_waitcnt lgkmcnt(1)
	v_dot4c_i32_i8 v95, v0, v6
	v_dot4c_i32_i8 v96, v22, v6
	v_dot4c_i32_i8 v94, v104, v6
	v_dot4c_i32_i8 v93, v106, v6
	v_mov_b32_e32 v6, 0
	v_dot4c_i32_i8 v95, v1, v7
	v_dot4c_i32_i8 v96, v23, v7
	v_dot4c_i32_i8 v94, v105, v7
	v_dot4c_i32_i8 v93, v107, v7
	v_mov_b32_e32 v7, 0
	;; [unrolled: 5-line block ×4, first 2 shown]
	v_dot4c_i32_i8 v8, v22, v234
	v_dot4c_i32_i8 v7, v104, v234
	;; [unrolled: 1-line block ×16, first 2 shown]
	ds_read_b128 v[234:237], v229 offset:33312
	ds_read_b128 v[250:253], v229 offset:33296
	s_waitcnt lgkmcnt(1)
	v_dot4c_i32_i8 v17, v22, v234
	v_dot4c_i32_i8 v16, v104, v234
	v_dot4c_i32_i8 v15, v0, v234
	v_dot4c_i32_i8 v14, v106, v234
	v_mov_b32_e32 v234, 0
	v_dot4c_i32_i8 v17, v23, v235
	v_dot4c_i32_i8 v16, v105, v235
	v_dot4c_i32_i8 v15, v1, v235
	v_dot4c_i32_i8 v14, v107, v235
	v_mov_b32_e32 v235, 0
	;; [unrolled: 5-line block ×3, first 2 shown]
	v_dot4c_i32_i8 v17, v78, v237
	v_dot4c_i32_i8 v16, v80, v237
	ds_read2_b32 v[0:1], v212 offset0:4 offset1:5
	ds_read_b128 v[77:80], v222 offset:33296
	ds_read_b128 v[104:107], v222 offset:33280
	ds_read2_b32 v[254:255], v213 offset0:4 offset1:5
	ds_read2_b32 v[110:111], v213 offset0:2 offset1:3
	;; [unrolled: 1-line block ×7, first 2 shown]
	v_dot4c_i32_i8 v15, v21, v237
	v_dot4c_i32_i8 v14, v82, v237
	v_mov_b32_e32 v237, 0
	v_mov_b32_e32 v222, 0
	;; [unrolled: 1-line block ×4, first 2 shown]
	s_waitcnt lgkmcnt(9)
	v_dot4c_i32_i8 v36, v0, v238
	s_waitcnt lgkmcnt(8)
	v_dot4c_i32_i8 v32, v0, v77
	;; [unrolled: 2-line block ×5, first 2 shown]
	v_dot4c_i32_i8 v114, v254, v238
	v_dot4c_i32_i8 v118, v26, v238
	;; [unrolled: 1-line block ×27, first 2 shown]
	ds_read_b128 v[77:80], v224 offset:33296
	ds_read_b128 v[238:241], v224 offset:33280
	v_dot4c_i32_i8 v120, v0, v242
	v_dot4c_i32_i8 v121, v254, v242
	;; [unrolled: 1-line block ×18, first 2 shown]
	s_waitcnt lgkmcnt(1)
	v_dot4c_i32_i8 v236, v0, v77
	v_dot4c_i32_i8 v237, v254, v77
	;; [unrolled: 1-line block ×19, first 2 shown]
	ds_read_b128 v[77:80], v225 offset:33296
	ds_read_b128 v[242:245], v225 offset:33280
	v_dot4c_i32_i8 v127, v255, v247
	v_dot4c_i32_i8 v129, v27, v247
	;; [unrolled: 1-line block ×4, first 2 shown]
	v_mov_b32_e32 v224, 0
	v_dot4c_i32_i8 v127, v99, v248
	v_dot4c_i32_i8 v129, v112, v248
	;; [unrolled: 1-line block ×8, first 2 shown]
	ds_read_b128 v[246:249], v228 offset:33296
	ds_read_b128 v[20:23], v228 offset:33280
	v_dot4c_i32_i8 v132, v254, v250
	v_dot4c_i32_i8 v155, v30, v250
	;; [unrolled: 1-line block ×4, first 2 shown]
	s_waitcnt lgkmcnt(3)
	v_dot4c_i32_i8 v222, v0, v77
	v_dot4c_i32_i8 v224, v254, v77
	v_dot4c_i32_i8 v82, v26, v77
	v_dot4c_i32_i8 v81, v30, v77
	v_mov_b32_e32 v77, 0
	v_dot4c_i32_i8 v222, v1, v78
	v_dot4c_i32_i8 v224, v255, v78
	v_dot4c_i32_i8 v82, v27, v78
	v_dot4c_i32_i8 v81, v31, v78
	v_mov_b32_e32 v78, 0
	;; [unrolled: 5-line block ×4, first 2 shown]
	s_waitcnt lgkmcnt(1)
	v_dot4c_i32_i8 v79, v0, v246
	v_dot4c_i32_i8 v77, v30, v246
	v_dot4c_i32_i8 v132, v255, v251
	v_dot4c_i32_i8 v155, v31, v251
	v_dot4c_i32_i8 v80, v254, v246
	v_dot4c_i32_i8 v79, v1, v247
	v_dot4c_i32_i8 v77, v31, v247
	v_dot4c_i32_i8 v131, v24, v252
	v_dot4c_i32_i8 v78, v26, v246
	v_dot4c_i32_i8 v80, v255, v247
	v_dot4c_i32_i8 v79, v24, v248
	v_add3_u32 v24, s9, v170, v171
	v_dot4c_i32_i8 v77, v108, v248
	v_dot4c_i32_i8 v132, v99, v252
	;; [unrolled: 1-line block ×4, first 2 shown]
	ds_read2_b32 v[0:1], v212 offset0:2 offset1:3
	ds_read_b32 v108, v24
	v_add3_u32 v24, s9, v172, v167
	v_dot4c_i32_i8 v78, v27, v247
	v_dot4c_i32_i8 v79, v25, v249
	;; [unrolled: 1-line block ×8, first 2 shown]
	ds_read_b32 v109, v24
	ds_read2_b32 v[26:27], v213 offset1:1
	ds_read2_b32 v[99:100], v215 offset1:1
	;; [unrolled: 1-line block ×4, first 2 shown]
	v_mov_b32_e32 v213, 0
	v_mov_b32_e32 v214, 0
	v_mov_b32_e32 v215, 0
	v_mov_b32_e32 v225, 0
	v_dot4c_i32_i8 v78, v112, v248
	v_dot4c_i32_i8 v133, v112, v252
	v_mov_b32_e32 v112, 0
	v_mov_b32_e32 v212, 0
	;; [unrolled: 1-line block ×3, first 2 shown]
	v_dot4c_i32_i8 v78, v113, v249
	v_dot4c_i32_i8 v133, v113, v253
	v_mov_b32_e32 v113, 0
	v_mov_b32_e32 v246, 0
	;; [unrolled: 1-line block ×5, first 2 shown]
	s_waitcnt lgkmcnt(3)
	v_dot4c_i32_i8 v214, v26, v2
	s_waitcnt lgkmcnt(2)
	v_dot4c_i32_i8 v225, v99, v2
	;; [unrolled: 2-line block ×4, first 2 shown]
	v_dot4c_i32_i8 v112, v24, v104
	v_dot4c_i32_i8 v214, v27, v3
	;; [unrolled: 1-line block ×12, first 2 shown]
	v_lshrrev_b32_e32 v2, 1, v216
	v_dot4c_i32_i8 v112, v25, v105
	v_dot4c_i32_i8 v113, v27, v105
	;; [unrolled: 1-line block ×8, first 2 shown]
	ds_read_b64 v[104:105], v2 offset:43584
	ds_read_b128 v[2:5], v219 offset:33280
	v_dot4c_i32_i8 v228, v24, v238
	v_dot4c_i32_i8 v246, v26, v238
	;; [unrolled: 1-line block ×4, first 2 shown]
	v_mov_b32_e32 v216, 0
	v_dot4c_i32_i8 v228, v25, v239
	v_dot4c_i32_i8 v246, v27, v239
	v_dot4c_i32_i8 v247, v31, v239
	v_dot4c_i32_i8 v248, v100, v239
	v_mov_b32_e32 v219, 0
	v_mov_b32_e32 v238, 0
	;; [unrolled: 1-line block ×3, first 2 shown]
	v_dot4c_i32_i8 v112, v0, v106
	v_dot4c_i32_i8 v113, v110, v106
	;; [unrolled: 1-line block ×7, first 2 shown]
	s_waitcnt lgkmcnt(0)
	v_dot4c_i32_i8 v216, v24, v2
	v_dot4c_i32_i8 v219, v26, v2
	v_dot4c_i32_i8 v238, v30, v2
	v_dot4c_i32_i8 v239, v99, v2
	v_lshrrev_b32_e32 v2, 1, v218
	v_dot4c_i32_i8 v216, v25, v3
	v_dot4c_i32_i8 v219, v27, v3
	;; [unrolled: 1-line block ×17, first 2 shown]
	ds_read_b64 v[106:107], v2 offset:43584
	ds_read_b128 v[2:5], v223 offset:33280
	v_dot4c_i32_i8 v228, v1, v241
	v_dot4c_i32_i8 v246, v111, v241
	;; [unrolled: 1-line block ×4, first 2 shown]
	v_mov_b32_e32 v240, 0
	v_mov_b32_e32 v241, 0
	;; [unrolled: 1-line block ×3, first 2 shown]
	v_dot4c_i32_i8 v249, v30, v242
	v_mov_b32_e32 v218, 0
	v_dot4c_i32_i8 v240, v24, v242
	v_dot4c_i32_i8 v241, v26, v242
	;; [unrolled: 1-line block ×4, first 2 shown]
	v_mov_b32_e32 v223, 0
	v_dot4c_i32_i8 v240, v25, v243
	v_dot4c_i32_i8 v241, v27, v243
	v_dot4c_i32_i8 v250, v100, v243
	v_mov_b32_e32 v242, 0
	v_mov_b32_e32 v243, 0
	v_dot4c_i32_i8 v240, v0, v244
	v_dot4c_i32_i8 v241, v110, v244
	;; [unrolled: 1-line block ×4, first 2 shown]
	s_waitcnt lgkmcnt(0)
	v_dot4c_i32_i8 v218, v24, v2
	v_dot4c_i32_i8 v223, v26, v2
	;; [unrolled: 1-line block ×12, first 2 shown]
	v_mov_b32_e32 v244, 0
	v_mov_b32_e32 v245, 0
	;; [unrolled: 1-line block ×4, first 2 shown]
	v_dot4c_i32_i8 v218, v0, v4
	v_dot4c_i32_i8 v223, v110, v4
	;; [unrolled: 1-line block ×8, first 2 shown]
	v_lshrrev_b32_e32 v2, 1, v217
	v_dot4c_i32_i8 v218, v1, v5
	v_dot4c_i32_i8 v223, v111, v5
	v_dot4c_i32_i8 v242, v29, v5
	v_dot4c_i32_i8 v243, v117, v5
	v_dot4c_i32_i8 v244, v25, v21
	v_dot4c_i32_i8 v245, v27, v21
	v_dot4c_i32_i8 v251, v31, v21
	v_dot4c_i32_i8 v252, v100, v21
	ds_read_b64 v[20:21], v2 offset:43584
	ds_read_b128 v[2:5], v229 offset:33280
	v_mov_b32_e32 v253, 0
	v_mov_b32_e32 v217, 0
	v_dot4c_i32_i8 v251, v28, v22
	v_mov_b32_e32 v229, 0
	v_dot4c_i32_i8 v245, v110, v22
	v_dot4c_i32_i8 v244, v0, v22
	v_dot4c_i32_i8 v252, v116, v22
	v_dot4c_i32_i8 v251, v29, v23
	v_dot4c_i32_i8 v245, v111, v23
	v_dot4c_i32_i8 v244, v1, v23
	v_dot4c_i32_i8 v252, v117, v23
	s_waitcnt lgkmcnt(0)
	v_dot4c_i32_i8 v253, v30, v2
	v_mov_b32_e32 v30, 0
	v_dot4c_i32_i8 v217, v24, v2
	v_dot4c_i32_i8 v229, v26, v2
	;; [unrolled: 1-line block ×4, first 2 shown]
	v_ashrrev_i32_e32 v31, 24, v108
	v_dot4c_i32_i8 v217, v25, v3
	v_dot4c_i32_i8 v229, v27, v3
	;; [unrolled: 1-line block ×3, first 2 shown]
	v_bfe_i32 v28, v108, 8, 8
	v_dot4c_i32_i8 v30, v100, v3
	v_bfe_i32 v99, v191, 8, 8
	v_dot4c_i32_i8 v217, v0, v4
	v_dot4c_i32_i8 v253, v29, v5
	v_mul_lo_u32 v2, v36, v28
	v_bfe_i32 v29, v108, 0, 8
	v_bfe_i32 v36, v108, 16, 8
	v_dot4c_i32_i8 v229, v110, v4
	v_dot4c_i32_i8 v30, v116, v4
	v_bfe_i32 v100, v191, 0, 8
	v_ashrrev_i32_e32 v108, 24, v191
	v_dot4c_i32_i8 v217, v1, v5
	v_mad_u64_u32 v[2:3], null, v213, v29, v[2:3]
	v_mul_lo_u32 v3, v199, v31
	v_dot4c_i32_i8 v229, v111, v5
	v_dot4c_i32_i8 v30, v117, v5
	v_bfe_i32 v110, v191, 16, 8
	v_bfe_i32 v111, v190, 8, 8
	v_ashrrev_i32_e32 v116, 24, v190
	v_cvt_f32_i32_e32 v2, v2
	v_bfe_i32 v117, v190, 16, 8
	v_mad_u64_u32 v[3:4], null, v233, v36, v[3:4]
	v_mul_lo_u32 v4, v114, v99
	v_bfe_i32 v114, v190, 0, 8
	v_fma_f32 v190, v69, v2, 0
	v_mul_lo_u32 v2, v112, v29
	v_lshrrev_b32_e32 v0, 1, v189
	v_bfe_i32 v189, v109, 0, 8
	v_cvt_f32_i32_e32 v3, v3
	v_mad_u64_u32 v[4:5], null, v214, v100, v[4:5]
	v_mul_lo_u32 v5, v198, v108
	v_fmac_f32_e32 v190, v70, v3
	v_mad_u64_u32 v[2:3], null, v32, v28, v[2:3]
	v_mul_lo_u32 v3, v89, v36
	ds_read_b64 v[0:1], v0 offset:43584
	v_cvt_f32_i32_e32 v4, v4
	v_fmac_f32_e32 v18, v173, v190
	v_mad_u64_u32 v[22:23], null, v232, v110, v[5:6]
	v_mul_lo_u32 v5, v118, v111
	v_bfe_i32 v118, v109, 8, 8
	v_fma_f32 v191, v69, v4, 0
	v_mad_u64_u32 v[3:4], null, v181, v31, v[3:4]
	v_mul_lo_u32 v4, v113, v100
	v_cvt_f32_i32_e32 v2, v2
	v_mad_u64_u32 v[23:24], null, v215, v114, v[5:6]
	v_mul_lo_u32 v5, v197, v116
	v_cvt_f32_i32_e32 v3, v3
	v_mad_u64_u32 v[24:25], null, v231, v117, v[5:6]
	v_mul_lo_u32 v5, v119, v118
	v_ashrrev_i32_e32 v119, 24, v109
	v_bfe_i32 v109, v109, 16, 8
	v_mad_u64_u32 v[25:26], null, v225, v189, v[5:6]
	v_mul_lo_u32 v5, v196, v119
	v_mad_u64_u32 v[26:27], null, v230, v109, v[5:6]
	v_cvt_f32_i32_e32 v5, v22
	v_cvt_f32_i32_e32 v22, v23
	;; [unrolled: 1-line block ×4, first 2 shown]
	v_fmac_f32_e32 v191, v70, v5
	v_mad_u64_u32 v[4:5], null, v33, v99, v[4:5]
	v_mul_lo_u32 v5, v91, v110
	v_fma_f32 v196, v69, v22, 0
	v_fma_f32 v69, v69, v24, 0
	v_cvt_f32_i32_e32 v25, v26
	v_fmac_f32_e32 v65, v174, v191
	v_fmac_f32_e32 v196, v70, v23
	v_cvt_f32_i32_e32 v4, v4
	v_mad_u64_u32 v[22:23], null, v182, v108, v[5:6]
	v_mul_lo_u32 v5, v156, v114
	v_fmac_f32_e32 v69, v70, v25
	v_fmac_f32_e32 v63, v175, v196
	;; [unrolled: 1-line block ×3, first 2 shown]
	v_mad_u64_u32 v[23:24], null, v34, v111, v[5:6]
	v_mul_lo_u32 v5, v92, v117
	v_mad_u64_u32 v[24:25], null, v183, v116, v[5:6]
	v_mul_lo_u32 v5, v212, v189
	;; [unrolled: 2-line block ×3, first 2 shown]
	v_mad_u64_u32 v[26:27], null, v184, v119, v[5:6]
	v_cvt_f32_i32_e32 v5, v22
	v_cvt_f32_i32_e32 v22, v23
	;; [unrolled: 1-line block ×4, first 2 shown]
	s_waitcnt lgkmcnt(0)
	v_fma_f32 v27, v0, v4, 0
	v_cvt_f32_i32_e32 v25, v26
	v_fma_f32 v26, v0, v2, 0
	v_fma_f32 v32, v0, v22, 0
	;; [unrolled: 1-line block ×3, first 2 shown]
	v_mul_lo_u32 v0, v120, v28
	v_fmac_f32_e32 v27, v1, v5
	v_fmac_f32_e32 v26, v1, v3
	;; [unrolled: 1-line block ×4, first 2 shown]
	v_fma_f32 v66, v178, v27, v66
	v_fma_f32 v19, v177, v26, v19
	v_mad_u64_u32 v[0:1], null, v216, v29, v[0:1]
	v_mul_lo_u32 v1, v206, v31
	v_fma_f32 v64, v179, v32, v64
	v_fma_f32 v68, v180, v33, v68
	v_cvt_f32_i32_e32 v0, v0
	v_mad_u64_u32 v[1:2], null, v226, v36, v[1:2]
	v_mul_lo_u32 v2, v121, v99
	v_fma_f32 v34, v71, v0, 0
	v_mul_lo_u32 v0, v228, v29
	v_cvt_f32_i32_e32 v1, v1
	v_mad_u64_u32 v[2:3], null, v219, v100, v[2:3]
	v_mul_lo_u32 v3, v207, v108
	v_fmac_f32_e32 v34, v72, v1
	v_mad_u64_u32 v[0:1], null, v236, v28, v[0:1]
	v_mul_lo_u32 v1, v86, v36
	v_cvt_f32_i32_e32 v2, v2
	v_fmac_f32_e32 v59, v173, v34
	v_mad_u64_u32 v[3:4], null, v227, v110, v[3:4]
	v_mul_lo_u32 v4, v123, v111
	v_fma_f32 v35, v71, v2, 0
	v_mad_u64_u32 v[1:2], null, v186, v31, v[1:2]
	v_mul_lo_u32 v2, v246, v100
	v_cvt_f32_i32_e32 v0, v0
	v_cvt_f32_i32_e32 v3, v3
	v_mad_u64_u32 v[4:5], null, v238, v114, v[4:5]
	v_mul_lo_u32 v5, v205, v116
	v_fmac_f32_e32 v35, v72, v3
	v_mad_u64_u32 v[2:3], null, v237, v99, v[2:3]
	v_mul_lo_u32 v3, v85, v110
	v_cvt_f32_i32_e32 v1, v1
	v_cvt_f32_i32_e32 v4, v4
	v_fmac_f32_e32 v61, v174, v35
	v_mad_u64_u32 v[22:23], null, v98, v117, v[5:6]
	v_mul_lo_u32 v5, v124, v118
	v_fma_f32 v70, v71, v4, 0
	v_mad_u64_u32 v[3:4], null, v188, v108, v[3:4]
	v_mul_lo_u32 v4, v247, v114
	v_cvt_f32_i32_e32 v2, v2
	v_mad_u64_u32 v[23:24], null, v239, v189, v[5:6]
	v_mul_lo_u32 v5, v204, v119
	v_cvt_f32_i32_e32 v3, v3
	v_mad_u64_u32 v[24:25], null, v97, v109, v[5:6]
	v_cvt_f32_i32_e32 v5, v22
	v_cvt_f32_i32_e32 v22, v23
	v_fmac_f32_e32 v70, v72, v5
	v_cvt_f32_i32_e32 v23, v24
	v_fma_f32 v71, v71, v22, 0
	v_mad_u64_u32 v[4:5], null, v235, v111, v[4:5]
	v_mul_lo_u32 v5, v84, v117
	v_fmac_f32_e32 v55, v175, v70
	v_fmac_f32_e32 v71, v72, v23
	v_fma_f32 v72, v104, v0, 0
	v_mul_lo_u32 v0, v125, v28
	v_cvt_f32_i32_e32 v4, v4
	v_fmac_f32_e32 v57, v176, v71
	v_fmac_f32_e32 v72, v105, v1
	v_mad_u64_u32 v[22:23], null, v187, v116, v[5:6]
	v_mul_lo_u32 v5, v248, v189
	v_mad_u64_u32 v[0:1], null, v218, v29, v[0:1]
	v_mul_lo_u32 v1, v210, v31
	v_fma_f32 v84, v104, v4, 0
	v_fma_f32 v60, v177, v72, v60
	v_mad_u64_u32 v[23:24], null, v234, v118, v[5:6]
	v_mul_lo_u32 v5, v83, v109
	v_fma_f32 v83, v104, v2, 0
	v_mad_u64_u32 v[1:2], null, v95, v36, v[1:2]
	v_mul_lo_u32 v2, v127, v99
	v_cvt_f32_i32_e32 v0, v0
	v_fmac_f32_e32 v83, v105, v3
	v_mad_u64_u32 v[24:25], null, v185, v119, v[5:6]
	v_cvt_f32_i32_e32 v5, v22
	v_cvt_f32_i32_e32 v22, v23
	v_mad_u64_u32 v[2:3], null, v223, v100, v[2:3]
	v_mul_lo_u32 v3, v211, v108
	v_fmac_f32_e32 v84, v105, v5
	v_cvt_f32_i32_e32 v23, v24
	v_fma_f32 v85, v104, v22, 0
	v_cvt_f32_i32_e32 v1, v1
	v_fma_f32 v62, v178, v83, v62
	;; [unrolled: 2-line block ×3, first 2 shown]
	v_mad_u64_u32 v[3:4], null, v96, v110, v[3:4]
	v_mul_lo_u32 v4, v129, v111
	v_fmac_f32_e32 v85, v105, v23
	v_cvt_f32_i32_e32 v3, v3
	v_fma_f32 v58, v180, v85, v58
	v_mad_u64_u32 v[4:5], null, v242, v114, v[4:5]
	v_mul_lo_u32 v5, v209, v116
	v_cvt_f32_i32_e32 v4, v4
	v_mad_u64_u32 v[22:23], null, v94, v117, v[5:6]
	v_mul_lo_u32 v5, v130, v118
	v_fma_f32 v86, v73, v4, 0
	v_mad_u64_u32 v[23:24], null, v243, v189, v[5:6]
	v_mul_lo_u32 v5, v208, v119
	v_mad_u64_u32 v[24:25], null, v93, v109, v[5:6]
	v_cvt_f32_i32_e32 v5, v22
	v_cvt_f32_i32_e32 v22, v23
	v_fma_f32 v25, v73, v2, 0
	v_fmac_f32_e32 v86, v74, v5
	v_cvt_f32_i32_e32 v23, v24
	v_fma_f32 v24, v73, v0, 0
	v_mul_lo_u32 v0, v240, v29
	v_fmac_f32_e32 v25, v74, v3
	v_fma_f32 v73, v73, v22, 0
	v_fmac_f32_e32 v51, v175, v86
	v_fmac_f32_e32 v24, v74, v1
	;; [unrolled: 1-line block ×4, first 2 shown]
	v_mad_u64_u32 v[0:1], null, v222, v28, v[0:1]
	v_mul_lo_u32 v1, v13, v36
	v_fmac_f32_e32 v47, v173, v24
	v_fmac_f32_e32 v45, v176, v73
	v_cvt_f32_i32_e32 v0, v0
	v_mad_u64_u32 v[1:2], null, v193, v31, v[1:2]
	v_mul_lo_u32 v2, v241, v100
	v_cvt_f32_i32_e32 v1, v1
	v_mad_u64_u32 v[2:3], null, v224, v99, v[2:3]
	v_mul_lo_u32 v3, v12, v110
	;; [unrolled: 3-line block ×5, first 2 shown]
	v_fma_f32 v74, v106, v4, 0
	v_mad_u64_u32 v[12:13], null, v81, v118, v[5:6]
	v_mul_lo_u32 v5, v10, v109
	v_cvt_f32_i32_e32 v10, v12
	v_mad_u64_u32 v[22:23], null, v192, v119, v[5:6]
	v_cvt_f32_i32_e32 v5, v11
	v_fma_f32 v23, v106, v2, 0
	v_fma_f32 v81, v106, v10, 0
	v_fmac_f32_e32 v74, v107, v5
	v_cvt_f32_i32_e32 v11, v22
	v_fma_f32 v22, v106, v0, 0
	v_mul_lo_u32 v0, v131, v28
	v_fmac_f32_e32 v23, v107, v3
	v_fma_f32 v52, v179, v74, v52
	v_fmac_f32_e32 v81, v107, v11
	v_fmac_f32_e32 v22, v107, v1
	v_fma_f32 v50, v178, v23, v50
	v_mad_u64_u32 v[0:1], null, v217, v29, v[0:1]
	v_mul_lo_u32 v1, v220, v31
	v_fma_f32 v48, v177, v22, v48
	v_fma_f32 v46, v180, v81, v46
	v_cvt_f32_i32_e32 v0, v0
	v_mad_u64_u32 v[1:2], null, v15, v36, v[1:2]
	v_mul_lo_u32 v2, v132, v99
	v_cvt_f32_i32_e32 v1, v1
	v_mad_u64_u32 v[2:3], null, v229, v100, v[2:3]
	v_mul_lo_u32 v3, v221, v108
	;; [unrolled: 3-line block ×5, first 2 shown]
	v_mad_u64_u32 v[11:12], null, v30, v189, v[5:6]
	v_mul_lo_u32 v5, v87, v119
	v_mad_u64_u32 v[12:13], null, v14, v109, v[5:6]
	v_cvt_f32_i32_e32 v5, v10
	v_cvt_f32_i32_e32 v10, v11
	v_fma_f32 v13, v75, v2, 0
	v_fma_f32 v14, v75, v4, 0
	v_cvt_f32_i32_e32 v11, v12
	v_fma_f32 v12, v75, v0, 0
	v_mul_lo_u32 v0, v244, v29
	v_fmac_f32_e32 v13, v76, v3
	v_fmac_f32_e32 v14, v76, v5
	v_fma_f32 v10, v75, v10, 0
	v_fmac_f32_e32 v12, v76, v1
	v_fmac_f32_e32 v39, v174, v13
	;; [unrolled: 1-line block ×3, first 2 shown]
	v_mad_u64_u32 v[0:1], null, v79, v28, v[0:1]
	v_mul_lo_u32 v1, v9, v36
	v_fmac_f32_e32 v10, v76, v11
	v_fmac_f32_e32 v37, v173, v12
	v_cvt_f32_i32_e32 v0, v0
	v_fmac_f32_e32 v43, v176, v10
	v_mad_u64_u32 v[1:2], null, v201, v31, v[1:2]
	v_mul_lo_u32 v2, v245, v100
	v_fma_f32 v0, v20, v0, 0
	v_cvt_f32_i32_e32 v1, v1
	v_mad_u64_u32 v[2:3], null, v80, v99, v[2:3]
	v_mul_lo_u32 v3, v8, v110
	v_fmac_f32_e32 v0, v21, v1
	v_cvt_f32_i32_e32 v2, v2
	v_fma_f32 v38, v177, v0, v38
	v_mad_u64_u32 v[3:4], null, v203, v108, v[3:4]
	v_mul_lo_u32 v4, v251, v114
	v_fma_f32 v1, v20, v2, 0
	v_cvt_f32_i32_e32 v3, v3
	v_mad_u64_u32 v[4:5], null, v78, v111, v[4:5]
	v_mul_lo_u32 v5, v7, v117
	v_fmac_f32_e32 v1, v21, v3
	v_cvt_f32_i32_e32 v4, v4
	v_fma_f32 v40, v178, v1, v40
	v_mad_u64_u32 v[7:8], null, v202, v116, v[5:6]
	v_mul_lo_u32 v5, v252, v189
	v_fma_f32 v2, v20, v4, 0
	v_mad_u64_u32 v[8:9], null, v77, v118, v[5:6]
	v_mul_lo_u32 v5, v6, v109
	v_mad_u64_u32 v[5:6], null, v200, v119, v[5:6]
	v_cvt_f32_i32_e32 v6, v7
	v_cvt_f32_i32_e32 v7, v8
	v_fmac_f32_e32 v2, v21, v6
	v_cvt_f32_i32_e32 v5, v5
	v_fma_f32 v3, v20, v7, 0
	v_fma_f32 v42, v179, v2, v42
	v_fmac_f32_e32 v3, v21, v5
	v_fma_f32 v44, v180, v3, v44
	s_cbranch_scc1 .LBB156_8
; %bb.9:                                ;   in Loop: Header=BB156_5 Depth=1
	s_add_i32 s15, s15, 1
	s_cmp_eq_u32 s15, s4
	s_barrier
	buffer_gl0_inv
	s_cbranch_scc0 .LBB156_5
; %bb.10:
	v_cvt_f16_f32_e32 v0, v19
	v_cvt_f16_f32_e32 v1, v18
	;; [unrolled: 1-line block ×6, first 2 shown]
	v_pack_b32_f16 v20, v1, v0
	v_cvt_f16_f32_e32 v0, v63
	v_cvt_f16_f32_e32 v1, v68
	;; [unrolled: 1-line block ×4, first 2 shown]
	v_pack_b32_f16 v16, v7, v6
	v_pack_b32_f16 v18, v0, v4
	;; [unrolled: 1-line block ×3, first 2 shown]
	v_cvt_f16_f32_e32 v0, v56
	v_cvt_f16_f32_e32 v1, v55
	;; [unrolled: 1-line block ×6, first 2 shown]
	v_pack_b32_f16 v15, v9, v8
	v_cvt_f16_f32_e32 v8, v52
	v_cvt_f16_f32_e32 v9, v51
	v_pack_b32_f16 v14, v1, v0
	v_pack_b32_f16 v12, v5, v4
	;; [unrolled: 1-line block ×3, first 2 shown]
	v_cvt_f16_f32_e32 v0, v46
	v_cvt_f16_f32_e32 v1, v45
	v_cvt_f16_f32_e32 v4, v40
	v_cvt_f16_f32_e32 v6, v39
	v_pack_b32_f16 v10, v9, v8
	v_cvt_f16_f32_e32 v2, v66
	v_pack_b32_f16 v9, v1, v0
	v_cvt_f16_f32_e32 v3, v65
	v_pack_b32_f16 v4, v6, v4
	s_clause 0x2
	buffer_load_dword v6, off, s[20:23], 0 offset:260
	buffer_load_dword v1, off, s[20:23], 0 offset:252
	;; [unrolled: 1-line block ×3, first 2 shown]
	v_cvt_f16_f32_e32 v7, v42
	v_cvt_f16_f32_e32 v8, v41
	v_pack_b32_f16 v19, v3, v2
	v_cvt_f16_f32_e32 v2, v58
	v_cvt_f16_f32_e32 v3, v57
	;; [unrolled: 1-line block ×4, first 2 shown]
	v_pack_b32_f16 v13, v3, v2
	v_cvt_f16_f32_e32 v2, v38
	v_cvt_f16_f32_e32 v3, v37
	v_pack_b32_f16 v5, v3, v2
	v_pack_b32_f16 v3, v8, v7
	;; [unrolled: 1-line block ×3, first 2 shown]
.LBB156_11:
	s_mov_b32 s0, exec_lo
	s_waitcnt vmcnt(2)
	v_cmpx_gt_u32_e64 s10, v6
	s_cbranch_execz .LBB156_62
; %bb.12:
	s_waitcnt vmcnt(0)
	v_add_nc_u32_e32 v0, s6, v0
	v_mul_lo_u32 v21, v6, s14
	v_cmp_gt_u32_e32 vcc_lo, s14, v0
	s_and_saveexec_b32 s1, vcc_lo
	s_cbranch_execz .LBB156_14
; %bb.13:
	v_add_nc_u32_e32 v6, v0, v21
	v_mov_b32_e32 v7, 0
	v_lshlrev_b64 v[6:7], 1, v[6:7]
	s_waitcnt lgkmcnt(0)
	v_add_co_u32 v6, s0, s12, v6
	v_add_co_ci_u32_e64 v7, null, s13, v7, s0
	global_store_short_d16_hi v[6:7], v20, off
.LBB156_14:
	s_or_b32 exec_lo, exec_lo, s1
	v_add_nc_u32_e32 v6, 32, v0
	v_cmp_gt_u32_e64 s0, s14, v6
	s_and_saveexec_b32 s2, s0
	s_cbranch_execz .LBB156_16
; %bb.15:
	v_add_nc_u32_e32 v7, v6, v21
	v_mov_b32_e32 v8, 0
	v_lshlrev_b64 v[7:8], 1, v[7:8]
	s_waitcnt lgkmcnt(0)
	v_add_co_u32 v7, s1, s12, v7
	v_add_co_ci_u32_e64 v8, null, s13, v8, s1
	global_store_short_d16_hi v[7:8], v19, off
.LBB156_16:
	s_or_b32 exec_lo, exec_lo, s2
	v_add_nc_u32_e32 v7, 64, v0
	v_cmp_gt_u32_e64 s1, s14, v7
	s_and_saveexec_b32 s3, s1
	;; [unrolled: 14-line block ×3, first 2 shown]
	s_cbranch_execz .LBB156_20
; %bb.19:
	v_add_nc_u32_e32 v21, v8, v21
	v_mov_b32_e32 v22, 0
	v_lshlrev_b64 v[21:22], 1, v[21:22]
	s_waitcnt lgkmcnt(0)
	v_add_co_u32 v21, s3, s12, v21
	v_add_co_ci_u32_e64 v22, null, s13, v22, s3
	global_store_short_d16_hi v[21:22], v17, off
.LBB156_20:
	s_or_b32 exec_lo, exec_lo, s4
	v_add3_u32 v21, v1, s7, 8
	v_cmp_gt_u32_e64 s3, s10, v21
	s_and_b32 exec_lo, exec_lo, s3
	s_cbranch_execz .LBB156_62
; %bb.21:
	v_mul_lo_u32 v21, v21, s14
	s_and_saveexec_b32 s4, vcc_lo
	s_cbranch_execnz .LBB156_63
; %bb.22:
	s_or_b32 exec_lo, exec_lo, s4
	s_and_saveexec_b32 s4, s0
	s_cbranch_execnz .LBB156_64
.LBB156_23:
	s_or_b32 exec_lo, exec_lo, s4
	s_and_saveexec_b32 s4, s1
	s_cbranch_execnz .LBB156_65
.LBB156_24:
	s_or_b32 exec_lo, exec_lo, s4
	s_and_saveexec_b32 s4, s2
	s_cbranch_execz .LBB156_26
.LBB156_25:
	v_add_nc_u32_e32 v18, v21, v8
	v_mov_b32_e32 v19, 0
	v_lshlrev_b64 v[18:19], 1, v[18:19]
	s_waitcnt lgkmcnt(0)
	v_add_co_u32 v18, s3, s12, v18
	v_add_co_ci_u32_e64 v19, null, s13, v19, s3
	global_store_short v[18:19], v17, off
.LBB156_26:
	s_or_b32 exec_lo, exec_lo, s4
	v_add3_u32 v17, v1, s7, 16
	v_cmp_gt_u32_e64 s3, s10, v17
	s_and_b32 exec_lo, exec_lo, s3
	s_cbranch_execz .LBB156_62
; %bb.27:
	v_mul_lo_u32 v17, v17, s14
	s_and_saveexec_b32 s4, vcc_lo
	s_cbranch_execnz .LBB156_66
; %bb.28:
	s_or_b32 exec_lo, exec_lo, s4
	s_and_saveexec_b32 s4, s0
	s_cbranch_execnz .LBB156_67
.LBB156_29:
	s_or_b32 exec_lo, exec_lo, s4
	s_and_saveexec_b32 s4, s1
	s_cbranch_execnz .LBB156_68
.LBB156_30:
	s_or_b32 exec_lo, exec_lo, s4
	s_and_saveexec_b32 s4, s2
	s_cbranch_execz .LBB156_32
.LBB156_31:
	v_add_nc_u32_e32 v17, v17, v8
	v_mov_b32_e32 v18, 0
	v_lshlrev_b64 v[17:18], 1, v[17:18]
	s_waitcnt lgkmcnt(0)
	v_add_co_u32 v17, s3, s12, v17
	v_add_co_ci_u32_e64 v18, null, s13, v18, s3
	global_store_short_d16_hi v[17:18], v13, off
.LBB156_32:
	s_or_b32 exec_lo, exec_lo, s4
	v_add3_u32 v17, v1, s7, 24
	v_cmp_gt_u32_e64 s3, s10, v17
	s_and_b32 exec_lo, exec_lo, s3
	s_cbranch_execz .LBB156_62
; %bb.33:
	v_mul_lo_u32 v17, v17, s14
	s_and_saveexec_b32 s4, vcc_lo
	s_cbranch_execnz .LBB156_69
; %bb.34:
	s_or_b32 exec_lo, exec_lo, s4
	s_and_saveexec_b32 s4, s0
	s_cbranch_execnz .LBB156_70
.LBB156_35:
	s_or_b32 exec_lo, exec_lo, s4
	s_and_saveexec_b32 s4, s1
	s_cbranch_execnz .LBB156_71
.LBB156_36:
	s_or_b32 exec_lo, exec_lo, s4
	s_and_saveexec_b32 s4, s2
	s_cbranch_execz .LBB156_38
.LBB156_37:
	v_add_nc_u32_e32 v14, v17, v8
	v_mov_b32_e32 v15, 0
	v_lshlrev_b64 v[14:15], 1, v[14:15]
	s_waitcnt lgkmcnt(0)
	v_add_co_u32 v14, s3, s12, v14
	v_add_co_ci_u32_e64 v15, null, s13, v15, s3
	global_store_short v[14:15], v13, off
.LBB156_38:
	s_or_b32 exec_lo, exec_lo, s4
	v_add3_u32 v13, v1, s7, 32
	v_cmp_gt_u32_e64 s3, s10, v13
	s_and_b32 exec_lo, exec_lo, s3
	s_cbranch_execz .LBB156_62
; %bb.39:
	v_mul_lo_u32 v13, v13, s14
	s_and_saveexec_b32 s4, vcc_lo
	s_cbranch_execnz .LBB156_72
; %bb.40:
	s_or_b32 exec_lo, exec_lo, s4
	s_and_saveexec_b32 s4, s0
	s_cbranch_execnz .LBB156_73
.LBB156_41:
	s_or_b32 exec_lo, exec_lo, s4
	s_and_saveexec_b32 s4, s1
	s_cbranch_execnz .LBB156_74
.LBB156_42:
	s_or_b32 exec_lo, exec_lo, s4
	s_and_saveexec_b32 s4, s2
	s_cbranch_execz .LBB156_44
.LBB156_43:
	v_add_nc_u32_e32 v13, v13, v8
	v_mov_b32_e32 v14, 0
	v_lshlrev_b64 v[13:14], 1, v[13:14]
	s_waitcnt lgkmcnt(0)
	v_add_co_u32 v13, s3, s12, v13
	v_add_co_ci_u32_e64 v14, null, s13, v14, s3
	global_store_short_d16_hi v[13:14], v9, off
.LBB156_44:
	s_or_b32 exec_lo, exec_lo, s4
	v_add3_u32 v13, v1, s7, 40
	v_cmp_gt_u32_e64 s3, s10, v13
	s_and_b32 exec_lo, exec_lo, s3
	s_cbranch_execz .LBB156_62
; %bb.45:
	v_mul_lo_u32 v13, v13, s14
	s_and_saveexec_b32 s4, vcc_lo
	s_cbranch_execnz .LBB156_75
; %bb.46:
	s_or_b32 exec_lo, exec_lo, s4
	s_and_saveexec_b32 s4, s0
	s_cbranch_execnz .LBB156_76
.LBB156_47:
	s_or_b32 exec_lo, exec_lo, s4
	s_and_saveexec_b32 s4, s1
	s_cbranch_execnz .LBB156_77
.LBB156_48:
	s_or_b32 exec_lo, exec_lo, s4
	s_and_saveexec_b32 s4, s2
	s_cbranch_execz .LBB156_50
.LBB156_49:
	v_add_nc_u32_e32 v10, v13, v8
	v_mov_b32_e32 v11, 0
	v_lshlrev_b64 v[10:11], 1, v[10:11]
	s_waitcnt lgkmcnt(0)
	v_add_co_u32 v10, s3, s12, v10
	v_add_co_ci_u32_e64 v11, null, s13, v11, s3
	global_store_short v[10:11], v9, off
.LBB156_50:
	s_or_b32 exec_lo, exec_lo, s4
	v_add3_u32 v9, v1, s7, 48
	v_cmp_gt_u32_e64 s3, s10, v9
	s_and_b32 exec_lo, exec_lo, s3
	s_cbranch_execz .LBB156_62
; %bb.51:
	v_mul_lo_u32 v9, v9, s14
	s_and_saveexec_b32 s4, vcc_lo
	s_cbranch_execnz .LBB156_78
; %bb.52:
	s_or_b32 exec_lo, exec_lo, s4
	s_and_saveexec_b32 s4, s0
	s_cbranch_execnz .LBB156_79
.LBB156_53:
	s_or_b32 exec_lo, exec_lo, s4
	s_and_saveexec_b32 s4, s1
	s_cbranch_execnz .LBB156_80
.LBB156_54:
	s_or_b32 exec_lo, exec_lo, s4
	s_and_saveexec_b32 s4, s2
	s_cbranch_execz .LBB156_56
.LBB156_55:
	v_add_nc_u32_e32 v9, v9, v8
	v_mov_b32_e32 v10, 0
	v_lshlrev_b64 v[9:10], 1, v[9:10]
	s_waitcnt lgkmcnt(0)
	v_add_co_u32 v9, s3, s12, v9
	v_add_co_ci_u32_e64 v10, null, s13, v10, s3
	global_store_short_d16_hi v[9:10], v2, off
.LBB156_56:
	s_or_b32 exec_lo, exec_lo, s4
	v_add3_u32 v1, v1, s7, 56
	v_cmp_gt_u32_e64 s3, s10, v1
	s_and_b32 exec_lo, exec_lo, s3
	s_cbranch_execz .LBB156_62
; %bb.57:
	v_mul_lo_u32 v1, v1, s14
	s_and_saveexec_b32 s3, vcc_lo
	s_cbranch_execnz .LBB156_81
; %bb.58:
	s_or_b32 exec_lo, exec_lo, s3
	s_and_saveexec_b32 s3, s0
	s_cbranch_execnz .LBB156_82
.LBB156_59:
	s_or_b32 exec_lo, exec_lo, s3
	s_and_saveexec_b32 s0, s1
	s_cbranch_execnz .LBB156_83
.LBB156_60:
	s_or_b32 exec_lo, exec_lo, s0
	s_and_b32 exec_lo, exec_lo, s2
	s_cbranch_execz .LBB156_62
.LBB156_61:
	v_add_nc_u32_e32 v0, v1, v8
	v_mov_b32_e32 v1, 0
	v_lshlrev_b64 v[0:1], 1, v[0:1]
	s_waitcnt lgkmcnt(0)
	v_add_co_u32 v0, vcc_lo, s12, v0
	v_add_co_ci_u32_e64 v1, null, s13, v1, vcc_lo
	global_store_short v[0:1], v2, off
.LBB156_62:
	s_endpgm
.LBB156_63:
	v_add_nc_u32_e32 v22, v21, v0
	v_mov_b32_e32 v23, 0
	v_lshlrev_b64 v[22:23], 1, v[22:23]
	s_waitcnt lgkmcnt(0)
	v_add_co_u32 v22, s3, s12, v22
	v_add_co_ci_u32_e64 v23, null, s13, v23, s3
	global_store_short v[22:23], v20, off
	s_or_b32 exec_lo, exec_lo, s4
	s_and_saveexec_b32 s4, s0
	s_cbranch_execz .LBB156_23
.LBB156_64:
	v_add_nc_u32_e32 v22, v21, v6
	v_mov_b32_e32 v23, 0
	v_lshlrev_b64 v[22:23], 1, v[22:23]
	s_waitcnt lgkmcnt(0)
	v_add_co_u32 v22, s3, s12, v22
	v_add_co_ci_u32_e64 v23, null, s13, v23, s3
	global_store_short v[22:23], v19, off
	s_or_b32 exec_lo, exec_lo, s4
	s_and_saveexec_b32 s4, s1
	s_cbranch_execz .LBB156_24
.LBB156_65:
	v_add_nc_u32_e32 v19, v21, v7
	v_mov_b32_e32 v20, 0
	v_lshlrev_b64 v[19:20], 1, v[19:20]
	s_waitcnt lgkmcnt(0)
	v_add_co_u32 v19, s3, s12, v19
	v_add_co_ci_u32_e64 v20, null, s13, v20, s3
	global_store_short v[19:20], v18, off
	s_or_b32 exec_lo, exec_lo, s4
	s_and_saveexec_b32 s4, s2
	s_cbranch_execnz .LBB156_25
	s_branch .LBB156_26
.LBB156_66:
	v_add_nc_u32_e32 v18, v17, v0
	v_mov_b32_e32 v19, 0
	v_lshlrev_b64 v[18:19], 1, v[18:19]
	s_waitcnt lgkmcnt(0)
	v_add_co_u32 v18, s3, s12, v18
	v_add_co_ci_u32_e64 v19, null, s13, v19, s3
	global_store_short_d16_hi v[18:19], v16, off
	s_or_b32 exec_lo, exec_lo, s4
	s_and_saveexec_b32 s4, s0
	s_cbranch_execz .LBB156_29
.LBB156_67:
	v_add_nc_u32_e32 v18, v17, v6
	v_mov_b32_e32 v19, 0
	v_lshlrev_b64 v[18:19], 1, v[18:19]
	s_waitcnt lgkmcnt(0)
	v_add_co_u32 v18, s3, s12, v18
	v_add_co_ci_u32_e64 v19, null, s13, v19, s3
	global_store_short_d16_hi v[18:19], v15, off
	s_or_b32 exec_lo, exec_lo, s4
	s_and_saveexec_b32 s4, s1
	s_cbranch_execz .LBB156_30
.LBB156_68:
	v_add_nc_u32_e32 v18, v17, v7
	v_mov_b32_e32 v19, 0
	v_lshlrev_b64 v[18:19], 1, v[18:19]
	s_waitcnt lgkmcnt(0)
	v_add_co_u32 v18, s3, s12, v18
	v_add_co_ci_u32_e64 v19, null, s13, v19, s3
	global_store_short_d16_hi v[18:19], v14, off
	s_or_b32 exec_lo, exec_lo, s4
	s_and_saveexec_b32 s4, s2
	s_cbranch_execnz .LBB156_31
	s_branch .LBB156_32
.LBB156_69:
	v_add_nc_u32_e32 v18, v17, v0
	v_mov_b32_e32 v19, 0
	v_lshlrev_b64 v[18:19], 1, v[18:19]
	s_waitcnt lgkmcnt(0)
	v_add_co_u32 v18, s3, s12, v18
	v_add_co_ci_u32_e64 v19, null, s13, v19, s3
	global_store_short v[18:19], v16, off
	s_or_b32 exec_lo, exec_lo, s4
	s_and_saveexec_b32 s4, s0
	s_cbranch_execz .LBB156_35
.LBB156_70:
	v_add_nc_u32_e32 v18, v17, v6
	v_mov_b32_e32 v19, 0
	v_lshlrev_b64 v[18:19], 1, v[18:19]
	s_waitcnt lgkmcnt(0)
	v_add_co_u32 v18, s3, s12, v18
	v_add_co_ci_u32_e64 v19, null, s13, v19, s3
	global_store_short v[18:19], v15, off
	s_or_b32 exec_lo, exec_lo, s4
	s_and_saveexec_b32 s4, s1
	s_cbranch_execz .LBB156_36
.LBB156_71:
	v_add_nc_u32_e32 v15, v17, v7
	v_mov_b32_e32 v16, 0
	v_lshlrev_b64 v[15:16], 1, v[15:16]
	s_waitcnt lgkmcnt(0)
	v_add_co_u32 v15, s3, s12, v15
	v_add_co_ci_u32_e64 v16, null, s13, v16, s3
	global_store_short v[15:16], v14, off
	s_or_b32 exec_lo, exec_lo, s4
	s_and_saveexec_b32 s4, s2
	s_cbranch_execnz .LBB156_37
	s_branch .LBB156_38
.LBB156_72:
	v_add_nc_u32_e32 v14, v13, v0
	v_mov_b32_e32 v15, 0
	v_lshlrev_b64 v[14:15], 1, v[14:15]
	s_waitcnt lgkmcnt(0)
	v_add_co_u32 v14, s3, s12, v14
	v_add_co_ci_u32_e64 v15, null, s13, v15, s3
	global_store_short_d16_hi v[14:15], v12, off
	s_or_b32 exec_lo, exec_lo, s4
	s_and_saveexec_b32 s4, s0
	s_cbranch_execz .LBB156_41
.LBB156_73:
	v_add_nc_u32_e32 v14, v13, v6
	v_mov_b32_e32 v15, 0
	v_lshlrev_b64 v[14:15], 1, v[14:15]
	s_waitcnt lgkmcnt(0)
	v_add_co_u32 v14, s3, s12, v14
	v_add_co_ci_u32_e64 v15, null, s13, v15, s3
	global_store_short_d16_hi v[14:15], v11, off
	s_or_b32 exec_lo, exec_lo, s4
	s_and_saveexec_b32 s4, s1
	s_cbranch_execz .LBB156_42
.LBB156_74:
	v_add_nc_u32_e32 v14, v13, v7
	v_mov_b32_e32 v15, 0
	v_lshlrev_b64 v[14:15], 1, v[14:15]
	s_waitcnt lgkmcnt(0)
	v_add_co_u32 v14, s3, s12, v14
	v_add_co_ci_u32_e64 v15, null, s13, v15, s3
	global_store_short_d16_hi v[14:15], v10, off
	s_or_b32 exec_lo, exec_lo, s4
	s_and_saveexec_b32 s4, s2
	s_cbranch_execnz .LBB156_43
	s_branch .LBB156_44
.LBB156_75:
	v_add_nc_u32_e32 v14, v13, v0
	v_mov_b32_e32 v15, 0
	v_lshlrev_b64 v[14:15], 1, v[14:15]
	s_waitcnt lgkmcnt(0)
	v_add_co_u32 v14, s3, s12, v14
	v_add_co_ci_u32_e64 v15, null, s13, v15, s3
	global_store_short v[14:15], v12, off
	s_or_b32 exec_lo, exec_lo, s4
	s_and_saveexec_b32 s4, s0
	s_cbranch_execz .LBB156_47
.LBB156_76:
	v_add_nc_u32_e32 v14, v13, v6
	v_mov_b32_e32 v15, 0
	v_lshlrev_b64 v[14:15], 1, v[14:15]
	s_waitcnt lgkmcnt(0)
	v_add_co_u32 v14, s3, s12, v14
	v_add_co_ci_u32_e64 v15, null, s13, v15, s3
	global_store_short v[14:15], v11, off
	s_or_b32 exec_lo, exec_lo, s4
	s_and_saveexec_b32 s4, s1
	s_cbranch_execz .LBB156_48
.LBB156_77:
	v_add_nc_u32_e32 v11, v13, v7
	v_mov_b32_e32 v12, 0
	v_lshlrev_b64 v[11:12], 1, v[11:12]
	s_waitcnt lgkmcnt(0)
	v_add_co_u32 v11, s3, s12, v11
	v_add_co_ci_u32_e64 v12, null, s13, v12, s3
	global_store_short v[11:12], v10, off
	s_or_b32 exec_lo, exec_lo, s4
	s_and_saveexec_b32 s4, s2
	s_cbranch_execnz .LBB156_49
	s_branch .LBB156_50
.LBB156_78:
	v_add_nc_u32_e32 v10, v9, v0
	v_mov_b32_e32 v11, 0
	v_lshlrev_b64 v[10:11], 1, v[10:11]
	s_waitcnt lgkmcnt(0)
	v_add_co_u32 v10, s3, s12, v10
	v_add_co_ci_u32_e64 v11, null, s13, v11, s3
	global_store_short_d16_hi v[10:11], v5, off
	s_or_b32 exec_lo, exec_lo, s4
	s_and_saveexec_b32 s4, s0
	s_cbranch_execz .LBB156_53
.LBB156_79:
	v_add_nc_u32_e32 v10, v9, v6
	v_mov_b32_e32 v11, 0
	v_lshlrev_b64 v[10:11], 1, v[10:11]
	s_waitcnt lgkmcnt(0)
	v_add_co_u32 v10, s3, s12, v10
	v_add_co_ci_u32_e64 v11, null, s13, v11, s3
	global_store_short_d16_hi v[10:11], v4, off
	s_or_b32 exec_lo, exec_lo, s4
	s_and_saveexec_b32 s4, s1
	s_cbranch_execz .LBB156_54
.LBB156_80:
	v_add_nc_u32_e32 v10, v9, v7
	v_mov_b32_e32 v11, 0
	v_lshlrev_b64 v[10:11], 1, v[10:11]
	s_waitcnt lgkmcnt(0)
	v_add_co_u32 v10, s3, s12, v10
	v_add_co_ci_u32_e64 v11, null, s13, v11, s3
	global_store_short_d16_hi v[10:11], v3, off
	s_or_b32 exec_lo, exec_lo, s4
	s_and_saveexec_b32 s4, s2
	s_cbranch_execnz .LBB156_55
	s_branch .LBB156_56
.LBB156_81:
	v_add_nc_u32_e32 v9, v1, v0
	v_mov_b32_e32 v10, 0
	v_lshlrev_b64 v[9:10], 1, v[9:10]
	s_waitcnt lgkmcnt(0)
	v_add_co_u32 v9, vcc_lo, s12, v9
	v_add_co_ci_u32_e64 v10, null, s13, v10, vcc_lo
	global_store_short v[9:10], v5, off
	s_or_b32 exec_lo, exec_lo, s3
	s_and_saveexec_b32 s3, s0
	s_cbranch_execz .LBB156_59
.LBB156_82:
	v_add_nc_u32_e32 v5, v1, v6
	v_mov_b32_e32 v6, 0
	v_lshlrev_b64 v[5:6], 1, v[5:6]
	s_waitcnt lgkmcnt(0)
	v_add_co_u32 v5, vcc_lo, s12, v5
	v_add_co_ci_u32_e64 v6, null, s13, v6, vcc_lo
	global_store_short v[5:6], v4, off
	s_or_b32 exec_lo, exec_lo, s3
	s_and_saveexec_b32 s0, s1
	s_cbranch_execz .LBB156_60
.LBB156_83:
	v_add_nc_u32_e32 v4, v1, v7
	v_mov_b32_e32 v5, 0
	v_lshlrev_b64 v[4:5], 1, v[4:5]
	s_waitcnt lgkmcnt(0)
	v_add_co_u32 v4, vcc_lo, s12, v4
	v_add_co_ci_u32_e64 v5, null, s13, v5, vcc_lo
	global_store_short v[4:5], v3, off
	s_or_b32 exec_lo, exec_lo, s0
	s_and_b32 exec_lo, exec_lo, s2
	s_cbranch_execnz .LBB156_61
	s_branch .LBB156_62
	.section	.rodata,"a",@progbits
	.p2align	6, 0x0
	.amdhsa_kernel _ZL12mul_mat_q6_KIN3c104HalfELb1EEvPKvS3_PT_iiiii
		.amdhsa_group_segment_fixed_size 45136
		.amdhsa_private_segment_fixed_size 268
		.amdhsa_kernarg_size 44
		.amdhsa_user_sgpr_count 6
		.amdhsa_user_sgpr_private_segment_buffer 1
		.amdhsa_user_sgpr_dispatch_ptr 0
		.amdhsa_user_sgpr_queue_ptr 0
		.amdhsa_user_sgpr_kernarg_segment_ptr 1
		.amdhsa_user_sgpr_dispatch_id 0
		.amdhsa_user_sgpr_flat_scratch_init 0
		.amdhsa_user_sgpr_private_segment_size 0
		.amdhsa_wavefront_size32 1
		.amdhsa_uses_dynamic_stack 0
		.amdhsa_system_sgpr_private_segment_wavefront_offset 1
		.amdhsa_system_sgpr_workgroup_id_x 1
		.amdhsa_system_sgpr_workgroup_id_y 1
		.amdhsa_system_sgpr_workgroup_id_z 0
		.amdhsa_system_sgpr_workgroup_info 0
		.amdhsa_system_vgpr_workitem_id 1
		.amdhsa_next_free_vgpr 256
		.amdhsa_next_free_sgpr 24
		.amdhsa_reserve_vcc 1
		.amdhsa_reserve_flat_scratch 0
		.amdhsa_float_round_mode_32 0
		.amdhsa_float_round_mode_16_64 0
		.amdhsa_float_denorm_mode_32 3
		.amdhsa_float_denorm_mode_16_64 3
		.amdhsa_dx10_clamp 1
		.amdhsa_ieee_mode 1
		.amdhsa_fp16_overflow 0
		.amdhsa_workgroup_processor_mode 1
		.amdhsa_memory_ordered 1
		.amdhsa_forward_progress 1
		.amdhsa_shared_vgpr_count 0
		.amdhsa_exception_fp_ieee_invalid_op 0
		.amdhsa_exception_fp_denorm_src 0
		.amdhsa_exception_fp_ieee_div_zero 0
		.amdhsa_exception_fp_ieee_overflow 0
		.amdhsa_exception_fp_ieee_underflow 0
		.amdhsa_exception_fp_ieee_inexact 0
		.amdhsa_exception_int_div_zero 0
	.end_amdhsa_kernel
	.section	.text._ZL12mul_mat_q6_KIN3c104HalfELb1EEvPKvS3_PT_iiiii,"axG",@progbits,_ZL12mul_mat_q6_KIN3c104HalfELb1EEvPKvS3_PT_iiiii,comdat
.Lfunc_end156:
	.size	_ZL12mul_mat_q6_KIN3c104HalfELb1EEvPKvS3_PT_iiiii, .Lfunc_end156-_ZL12mul_mat_q6_KIN3c104HalfELb1EEvPKvS3_PT_iiiii
                                        ; -- End function
	.set _ZL12mul_mat_q6_KIN3c104HalfELb1EEvPKvS3_PT_iiiii.num_vgpr, 256
	.set _ZL12mul_mat_q6_KIN3c104HalfELb1EEvPKvS3_PT_iiiii.num_agpr, 0
	.set _ZL12mul_mat_q6_KIN3c104HalfELb1EEvPKvS3_PT_iiiii.numbered_sgpr, 24
	.set _ZL12mul_mat_q6_KIN3c104HalfELb1EEvPKvS3_PT_iiiii.num_named_barrier, 0
	.set _ZL12mul_mat_q6_KIN3c104HalfELb1EEvPKvS3_PT_iiiii.private_seg_size, 268
	.set _ZL12mul_mat_q6_KIN3c104HalfELb1EEvPKvS3_PT_iiiii.uses_vcc, 1
	.set _ZL12mul_mat_q6_KIN3c104HalfELb1EEvPKvS3_PT_iiiii.uses_flat_scratch, 0
	.set _ZL12mul_mat_q6_KIN3c104HalfELb1EEvPKvS3_PT_iiiii.has_dyn_sized_stack, 0
	.set _ZL12mul_mat_q6_KIN3c104HalfELb1EEvPKvS3_PT_iiiii.has_recursion, 0
	.set _ZL12mul_mat_q6_KIN3c104HalfELb1EEvPKvS3_PT_iiiii.has_indirect_call, 0
	.section	.AMDGPU.csdata,"",@progbits
; Kernel info:
; codeLenInByte = 23172
; TotalNumSgprs: 26
; NumVgprs: 256
; ScratchSize: 268
; MemoryBound: 0
; FloatMode: 240
; IeeeMode: 1
; LDSByteSize: 45136 bytes/workgroup (compile time only)
; SGPRBlocks: 0
; VGPRBlocks: 31
; NumSGPRsForWavesPerEU: 26
; NumVGPRsForWavesPerEU: 256
; Occupancy: 4
; WaveLimiterHint : 0
; COMPUTE_PGM_RSRC2:SCRATCH_EN: 1
; COMPUTE_PGM_RSRC2:USER_SGPR: 6
; COMPUTE_PGM_RSRC2:TRAP_HANDLER: 0
; COMPUTE_PGM_RSRC2:TGID_X_EN: 1
; COMPUTE_PGM_RSRC2:TGID_Y_EN: 1
; COMPUTE_PGM_RSRC2:TGID_Z_EN: 0
; COMPUTE_PGM_RSRC2:TIDIG_COMP_CNT: 1
	.section	.text._ZL12mul_mat_q4_0IN3c108BFloat16ELb0EEvPKvS3_PT_iiiii,"axG",@progbits,_ZL12mul_mat_q4_0IN3c108BFloat16ELb0EEvPKvS3_PT_iiiii,comdat
	.globl	_ZL12mul_mat_q4_0IN3c108BFloat16ELb0EEvPKvS3_PT_iiiii ; -- Begin function _ZL12mul_mat_q4_0IN3c108BFloat16ELb0EEvPKvS3_PT_iiiii
	.p2align	8
	.type	_ZL12mul_mat_q4_0IN3c108BFloat16ELb0EEvPKvS3_PT_iiiii,@function
_ZL12mul_mat_q4_0IN3c108BFloat16ELb0EEvPKvS3_PT_iiiii: ; @_ZL12mul_mat_q4_0IN3c108BFloat16ELb0EEvPKvS3_PT_iiiii
; %bb.0:
	s_clause 0x1
	s_load_dword s14, s[4:5], 0x18
	s_load_dwordx4 s[8:11], s[4:5], 0x20
	s_lshl_b32 s7, s7, 6
	v_add_nc_u32_e32 v35, s7, v1
	s_waitcnt lgkmcnt(0)
	s_cmp_gt_i32 s14, 31
	s_cbranch_scc1 .LBB157_2
; %bb.1:
	v_add_nc_u32_e32 v2, s7, v1
	s_mov_b32 s0, 0
	s_branch .LBB157_3
.LBB157_2:
	s_mov_b32 s0, -1
                                        ; implicit-def: $vgpr2
.LBB157_3:
	s_load_dwordx2 s[12:13], s[4:5], 0x10
	v_mov_b32_e32 v15, 0
	v_mov_b32_e32 v19, 0
	;; [unrolled: 1-line block ×32, first 2 shown]
	s_andn2_b32 vcc_lo, exec_lo, s0
	s_lshl_b32 s6, s6, 7
	s_cbranch_vccnz .LBB157_14
; %bb.4:
	s_load_dwordx4 s[0:3], s[4:5], 0x0
	s_ashr_i32 s4, s14, 31
	s_ashr_i32 s5, s9, 31
	s_lshr_b32 s4, s4, 27
	s_lshr_b32 s5, s5, 27
	s_add_i32 s11, s14, s4
	s_add_i32 s5, s9, s5
	s_ashr_i32 s4, s11, 5
	s_ashr_i32 s14, s5, 5
	s_mul_i32 s9, s4, s6
	v_add_nc_u32_e32 v12, 40, v35
	s_mul_i32 s5, s9, 18
	s_mul_hi_i32 s9, s9, 18
	v_add_nc_u32_e32 v14, 48, v35
	v_cvt_f64_u32_e32 v[2:3], v35
	v_add_nc_u32_e32 v16, 56, v35
	v_cvt_f64_u32_e32 v[12:13], v12
	v_mul_lo_u32 v47, s4, v1
	v_cvt_f64_u32_e32 v[14:15], v14
	v_add_nc_u32_e32 v4, 8, v35
	s_waitcnt lgkmcnt(0)
	s_add_u32 s5, s0, s5
	s_addc_u32 s9, s1, s9
	s_add_i32 s1, s8, -1
	v_add_nc_u32_e32 v6, 16, v35
	v_cvt_f64_i32_e32 v[18:19], s1
	v_add_nc_u32_e32 v8, 24, v35
	v_add_nc_u32_e32 v10, 32, v35
	v_cvt_f64_u32_e32 v[16:17], v16
	s_lshl_b32 s0, s4, 3
	v_cvt_f64_u32_e32 v[4:5], v4
	v_add_nc_u32_e32 v48, s0, v47
	v_cvt_f64_u32_e32 v[6:7], v6
	v_cvt_f64_u32_e32 v[8:9], v8
	;; [unrolled: 1-line block ×3, first 2 shown]
	v_lshrrev_b32_e32 v41, 2, v0
	v_add_nc_u32_e32 v50, s0, v48
	v_lshrrev_b32_e32 v44, 3, v0
	v_lshlrev_b32_e32 v20, 2, v0
	v_and_b32_e32 v43, 7, v0
	v_lshl_add_u32 v23, v1, 3, v41
	v_add_nc_u32_e32 v54, s0, v50
	v_lshl_add_u32 v21, v1, 2, v44
	s_andn2_b32 s11, s11, 31
	v_and_b32_e32 v51, 12, v20
	v_and_b32_e32 v23, 63, v23
	v_add_nc_u32_e32 v55, s0, v54
	v_min_f64 v[2:3], v[2:3], v[18:19]
	v_min_f64 v[12:13], v[12:13], v[18:19]
	;; [unrolled: 1-line block ×4, first 2 shown]
	v_add_nc_u32_e32 v56, s0, v55
	v_min_f64 v[4:5], v[4:5], v[18:19]
	v_mul_lo_u32 v67, s4, v21
	v_min_f64 v[6:7], v[6:7], v[18:19]
	v_min_f64 v[8:9], v[8:9], v[18:19]
	;; [unrolled: 1-line block ×3, first 2 shown]
	v_add_nc_u32_e32 v59, s0, v56
	v_and_b32_e32 v24, 0x7fc, v21
	v_lshlrev_b32_e32 v25, 5, v21
	v_add_nc_u32_e32 v26, 32, v21
	v_add_nc_u32_e32 v27, 64, v21
	;; [unrolled: 1-line block ×4, first 2 shown]
	v_mad_u32_u24 v52, 0x84, v1, v20
	v_lshlrev_b32_e32 v22, 2, v43
	v_and_b32_e32 v28, 0xffc, v26
	v_add_nc_u32_e32 v68, s0, v64
	v_and_b32_e32 v29, 0xffc, v27
	v_cvt_i32_f64_e32 v3, v[2:3]
	v_cvt_i32_f64_e32 v12, v[12:13]
	;; [unrolled: 1-line block ×3, first 2 shown]
	v_add_nc_u32_e32 v69, s0, v68
	v_cvt_i32_f64_e32 v14, v[16:17]
	v_cvt_i32_f64_e32 v4, v[4:5]
	v_and_b32_e32 v2, 3, v0
	v_cvt_i32_f64_e32 v5, v[6:7]
	v_add_nc_u32_e32 v70, s0, v69
	v_cvt_i32_f64_e32 v6, v[8:9]
	v_cvt_i32_f64_e32 v8, v[10:11]
	v_or_b32_e32 v9, s7, v23
	v_lshlrev_b32_e32 v10, 2, v2
	v_add_nc_u32_e32 v71, s0, v70
	v_and_b32_e32 v11, 31, v0
	v_add_nc_u32_e32 v73, s11, v67
	v_min_i32_e32 v9, s1, v9
	v_lshl_or_b32 v16, v23, 4, v10
	v_add_nc_u32_e32 v72, s0, v71
	v_lshl_or_b32 v17, v11, 2, 0x4200
	v_and_b32_e32 v30, 0xffc, v21
	v_lshlrev_b32_e32 v7, 5, v21
	v_mad_u64_u32 v[10:11], null, v9, s14, v[2:3]
	v_mul_lo_u32 v85, s14, v12
	v_mul_lo_u32 v86, s14, v13
	v_add_nc_u32_e32 v11, 0x60, v0
	v_add_nc_u32_e32 v12, 64, v0
	;; [unrolled: 1-line block ×4, first 2 shown]
	v_and_b32_e32 v15, 28, v20
	v_lshlrev_b32_e32 v20, 7, v1
	v_add_nc_u32_e32 v79, 0x7280, v16
	v_mul_lo_u32 v87, s14, v14
	v_lshlrev_b32_e32 v14, 5, v0
	v_and_b32_e32 v11, 0x1fc, v11
	v_and_b32_e32 v12, 0x1fc, v12
	;; [unrolled: 1-line block ×4, first 2 shown]
	v_add_nc_u32_e32 v76, s0, v74
	v_add3_u32 v24, v24, v22, 0x6200
	v_lshlrev_b32_e32 v26, 5, v26
	v_lshlrev_b32_e32 v18, 5, v27
	v_add_nc_u32_e32 v75, s11, v73
	v_add3_u32 v19, v28, v22, 0x6200
	v_add3_u32 v27, v29, v22, 0x6200
	;; [unrolled: 1-line block ×3, first 2 shown]
	v_mul_lo_u32 v80, s14, v3
	v_mul_lo_u32 v81, s14, v4
	v_add_nc_u32_e32 v2, 0x400, v20
	v_mul_lo_u32 v82, s14, v5
	v_add_nc_u32_e32 v3, 0x800, v20
	;; [unrolled: 2-line block ×4, first 2 shown]
	v_add_nc_u32_e32 v6, 0x1400, v20
	v_add_nc_u32_e32 v8, 0x1800, v20
	;; [unrolled: 1-line block ×3, first 2 shown]
	v_lshrrev_b32_e32 v89, 3, v13
	v_add_nc_u32_e32 v13, v14, v11
	v_add_nc_u32_e32 v23, v14, v12
	;; [unrolled: 1-line block ×5, first 2 shown]
	v_add_co_u32 v11, s0, s2, v15
	v_mov_b32_e32 v36, 0
	v_add_nc_u32_e32 v60, 0x2940, v52
	v_add_nc_u32_e32 v61, 0x2d60, v52
	;; [unrolled: 1-line block ×7, first 2 shown]
	v_mul_u32_u24_e32 v88, 0x84, v0
	v_add_co_ci_u32_e64 v12, null, s3, 0, s0
	v_add_nc_u32_e32 v90, 0x6e00, v13
	v_add_nc_u32_e32 v91, 0x6a00, v23
	;; [unrolled: 1-line block ×4, first 2 shown]
	v_lshl_add_u32 v94, v1, 4, 0x7280
	v_add_nc_u32_e32 v95, 0x4200, v20
	v_mad_u32_u24 v96, 0x84, v0, 64
	v_add_nc_u32_e32 v97, 0x6e10, v13
	v_add_nc_u32_e32 v98, 0x6a10, v23
	;; [unrolled: 1-line block ×16, first 2 shown]
	v_mov_b32_e32 v49, 0
	v_mov_b32_e32 v40, 0
	v_mov_b32_e32 v34, 0
	v_mov_b32_e32 v30, 0
	v_mov_b32_e32 v26, 0
	v_mov_b32_e32 v22, 0
	v_mov_b32_e32 v18, 0
	v_mov_b32_e32 v58, 0
	v_mov_b32_e32 v46, 0
	v_mov_b32_e32 v39, 0
	v_mov_b32_e32 v33, 0
	v_mov_b32_e32 v29, 0
	v_mov_b32_e32 v25, 0
	v_mov_b32_e32 v21, 0
	v_mov_b32_e32 v17, 0
	v_mov_b32_e32 v57, 0
	v_mov_b32_e32 v45, 0
	v_mov_b32_e32 v38, 0
	v_mov_b32_e32 v32, 0
	v_mov_b32_e32 v28, 0
	v_mov_b32_e32 v24, 0
	v_mov_b32_e32 v20, 0
	v_mov_b32_e32 v16, 0
	v_mov_b32_e32 v53, 0
	v_mov_b32_e32 v42, 0
	v_mov_b32_e32 v37, 0
	v_mov_b32_e32 v31, 0
	v_mov_b32_e32 v27, 0
	v_mov_b32_e32 v23, 0
	v_mov_b32_e32 v19, 0
	v_mov_b32_e32 v15, 0
	s_add_i32 s11, s4, 3
	s_mov_b32 s14, 0
	s_branch .LBB157_6
.LBB157_5:                              ;   in Loop: Header=BB157_6 Depth=1
	s_add_i32 s14, s14, 8
	s_add_i32 s11, s11, -8
	s_cmp_ge_i32 s14, s4
	s_cbranch_scc1 .LBB157_13
.LBB157_6:                              ; =>This Loop Header: Depth=1
                                        ;     Child Loop BB157_8 Depth 2
                                        ;     Child Loop BB157_11 Depth 2
	s_mul_i32 s0, s14, 18
	s_mul_hi_u32 s1, s14, 18
	s_add_u32 s0, s5, s0
	s_addc_u32 s1, s9, s1
	s_cmp_gt_u32 s11, 3
	v_mad_u64_u32 v[2:3], null, v41, 18, s[0:1]
	v_mad_u64_u32 v[4:5], null, v47, 18, v[2:3]
	v_add_co_u32 v4, vcc_lo, v4, v51
	v_add_co_ci_u32_e64 v5, null, 0, v5, vcc_lo
	global_load_dword v4, v[4:5], off offset:2
	s_waitcnt vmcnt(0)
	ds_write_b32 v52, v4
	v_mad_u64_u32 v[4:5], null, v48, 18, v[2:3]
	v_add_co_u32 v4, vcc_lo, v4, v51
	v_add_co_ci_u32_e64 v5, null, 0, v5, vcc_lo
	global_load_dword v4, v[4:5], off offset:2
	v_add_nc_u32_e32 v5, 0x420, v52
	s_waitcnt vmcnt(0)
	ds_write_b32 v5, v4
	v_mad_u64_u32 v[4:5], null, v50, 18, v[2:3]
	v_add_co_u32 v4, vcc_lo, v4, v51
	v_add_co_ci_u32_e64 v5, null, 0, v5, vcc_lo
	global_load_dword v4, v[4:5], off offset:2
	v_add_nc_u32_e32 v5, 0x840, v52
	;; [unrolled: 7-line block ×9, first 2 shown]
	s_waitcnt vmcnt(0)
	ds_write_b32 v5, v4
	v_mad_u64_u32 v[4:5], null, v70, 18, v[2:3]
	v_add_co_u32 v4, vcc_lo, v4, v51
	v_add_co_ci_u32_e64 v5, null, 0, v5, vcc_lo
	global_load_dword v4, v[4:5], off offset:2
	s_waitcnt vmcnt(0)
	ds_write_b32 v60, v4
	v_mad_u64_u32 v[4:5], null, v71, 18, v[2:3]
	v_add_co_u32 v4, vcc_lo, v4, v51
	v_add_co_ci_u32_e64 v5, null, 0, v5, vcc_lo
	global_load_dword v4, v[4:5], off offset:2
	;; [unrolled: 6-line block ×4, first 2 shown]
	s_waitcnt vmcnt(0)
	ds_write_b32 v63, v4
	v_mad_u64_u32 v[4:5], null, v76, 18, v[2:3]
	v_mad_u64_u32 v[2:3], null, v78, 18, v[2:3]
	v_add_co_u32 v4, vcc_lo, v4, v51
	v_add_co_ci_u32_e64 v5, null, 0, v5, vcc_lo
	v_add_co_u32 v2, vcc_lo, v2, v51
	v_add_co_ci_u32_e64 v3, null, 0, v3, vcc_lo
	s_clause 0x1
	global_load_dword v4, v[4:5], off offset:2
	global_load_dword v2, v[2:3], off offset:2
	s_waitcnt vmcnt(1)
	ds_write_b32 v65, v4
	s_waitcnt vmcnt(0)
	ds_write_b32 v66, v2
	v_mad_u64_u32 v[2:3], null, v43, 18, s[0:1]
	v_mad_u64_u32 v[4:5], null, v67, 18, v[2:3]
	global_load_ushort v4, v[4:5], off
	s_waitcnt vmcnt(0)
	v_cvt_f32_f16_e32 v4, v4
	ds_write_b32 v101, v4
	v_mad_u64_u32 v[4:5], null, v73, 18, v[2:3]
	global_load_ushort v4, v[4:5], off
	s_waitcnt vmcnt(0)
	v_cvt_f32_f16_e32 v4, v4
	ds_write_b32 v102, v4
	v_mad_u64_u32 v[4:5], null, v75, 18, v[2:3]
	v_mad_u64_u32 v[2:3], null, v77, 18, v[2:3]
	s_clause 0x1
	global_load_ushort v4, v[4:5], off
	global_load_ushort v2, v[2:3], off
	s_waitcnt vmcnt(1)
	v_cvt_f32_f16_e32 v4, v4
	s_waitcnt vmcnt(0)
	v_cvt_f32_f16_e32 v2, v2
	ds_write_b32 v103, v4
	ds_write_b32 v104, v2
	s_cbranch_scc0 .LBB157_5
; %bb.7:                                ;   in Loop: Header=BB157_6 Depth=1
	v_add_nc_u32_e32 v116, s14, v44
	v_add_nc_u32_e32 v113, s14, v10
	s_mov_b32 s0, -4
	v_add_nc_u32_e32 v2, v116, v80
	v_add_nc_u32_e32 v4, v116, v81
	v_add_nc_u32_e32 v6, v116, v82
	v_add_nc_u32_e32 v8, v116, v83
	v_add_nc_u32_e32 v13, v116, v84
	v_mad_u64_u32 v[114:115], null, v113, 36, s[2:3]
	v_mad_i64_i32 v[2:3], null, v2, 36, v[11:12]
	v_add_nc_u32_e32 v117, v116, v85
	v_mad_i64_i32 v[4:5], null, v4, 36, v[11:12]
	v_add_nc_u32_e32 v118, v116, v86
	;; [unrolled: 2-line block ×3, first 2 shown]
	v_mad_i64_i32 v[8:9], null, v8, 36, v[11:12]
	v_mad_i64_i32 v[13:14], null, v13, 36, v[11:12]
	;; [unrolled: 1-line block ×5, first 2 shown]
	s_clause 0x8
	global_load_dword v122, v[114:115], off
	global_load_dword v2, v[2:3], off offset:4
	global_load_dword v3, v[4:5], off offset:4
	;; [unrolled: 1-line block ×8, first 2 shown]
	v_mov_b32_e32 v114, v95
	v_mov_b32_e32 v115, v94
	;; [unrolled: 1-line block ×7, first 2 shown]
	s_waitcnt vmcnt(8)
	ds_write_b32 v79, v122
	s_waitcnt vmcnt(7)
	ds_write_b32 v105, v2
	;; [unrolled: 2-line block ×9, first 2 shown]
	s_waitcnt lgkmcnt(0)
	s_barrier
	buffer_gl0_inv
.LBB157_8:                              ;   Parent Loop BB157_6 Depth=1
                                        ; =>  This Inner Loop Header: Depth=2
	ds_read_b128 v[2:5], v114
	ds_read_b128 v[6:9], v114 offset:16
	ds_read2_b32 v[13:14], v115 offset1:32
	v_mov_b32_e32 v123, 0
	v_add_nc_u32_e32 v126, 0x2108, v120
	v_mov_b32_e32 v148, 0
	v_add_nc_u32_e32 v149, 0x3180, v120
	v_mov_b32_e32 v156, 0
	s_add_i32 s0, s0, 4
	s_cmp_lt_u32 s0, 12
	s_waitcnt lgkmcnt(0)
	v_cvt_f32_f16_sdwa v121, v13 dst_sel:DWORD dst_unused:UNUSED_PAD src0_sel:WORD_1
	v_mul_f32_e32 v155, 0x41000000, v121
	ds_read_b32 v139, v116
	ds_read2_b32 v[121:122], v120 offset1:1
	v_add_nc_u32_e32 v116, 4, v116
	s_waitcnt lgkmcnt(0)
	v_and_b32_e32 v140, 0xf0f0f0f, v121
	v_lshrrev_b32_e32 v121, 4, v121
	v_and_b32_e32 v142, 0xf0f0f0f, v122
	v_dot4c_i32_i8 v123, v140, v2
	v_and_b32_e32 v141, 0xf0f0f0f, v121
	v_lshrrev_b32_e32 v121, 4, v122
	v_dot4c_i32_i8 v123, v141, v6
	v_and_b32_e32 v143, 0xf0f0f0f, v121
	ds_read2_b32 v[121:122], v120 offset0:2 offset1:3
	v_dot4c_i32_i8 v123, v142, v3
	v_dot4c_i32_i8 v123, v143, v7
	s_waitcnt lgkmcnt(0)
	v_and_b32_e32 v144, 0xf0f0f0f, v121
	v_lshrrev_b32_e32 v121, 4, v121
	v_and_b32_e32 v146, 0xf0f0f0f, v122
	v_dot4c_i32_i8 v123, v144, v4
	v_and_b32_e32 v145, 0xf0f0f0f, v121
	v_lshrrev_b32_e32 v121, 4, v122
	v_dot4c_i32_i8 v123, v145, v8
	v_and_b32_e32 v147, 0xf0f0f0f, v121
	v_dot4c_i32_i8 v123, v146, v5
	v_dot4c_i32_i8 v123, v147, v9
	v_cvt_f32_i32_e32 v121, v123
	v_mov_b32_e32 v123, 0
	v_fma_mix_f32 v121, v13, v121, -v155 op_sel_hi:[1,0,0]
	v_fmac_f32_e32 v36, v139, v121
	v_add_nc_u32_e32 v121, 0x1080, v120
	ds_read_b32 v130, v117
	ds_read2_b32 v[121:122], v121 offset1:1
	v_add_nc_u32_e32 v117, 4, v117
	s_waitcnt lgkmcnt(0)
	v_and_b32_e32 v131, 0xf0f0f0f, v121
	v_lshrrev_b32_e32 v121, 4, v121
	v_and_b32_e32 v133, 0xf0f0f0f, v122
	v_dot4c_i32_i8 v123, v131, v2
	v_and_b32_e32 v132, 0xf0f0f0f, v121
	v_lshrrev_b32_e32 v121, 4, v122
	v_dot4c_i32_i8 v123, v132, v6
	v_and_b32_e32 v134, 0xf0f0f0f, v121
	v_add_nc_u32_e32 v121, 0x1088, v120
	v_dot4c_i32_i8 v123, v133, v3
	ds_read2_b32 v[121:122], v121 offset1:1
	v_dot4c_i32_i8 v123, v134, v7
	s_waitcnt lgkmcnt(0)
	v_and_b32_e32 v135, 0xf0f0f0f, v121
	v_lshrrev_b32_e32 v121, 4, v121
	v_and_b32_e32 v137, 0xf0f0f0f, v122
	v_dot4c_i32_i8 v123, v135, v4
	v_and_b32_e32 v136, 0xf0f0f0f, v121
	v_lshrrev_b32_e32 v121, 4, v122
	v_add_nc_u32_e32 v122, 0x2100, v120
	v_dot4c_i32_i8 v123, v136, v8
	v_and_b32_e32 v138, 0xf0f0f0f, v121
	v_dot4c_i32_i8 v123, v137, v5
	v_dot4c_i32_i8 v123, v138, v9
	v_cvt_f32_i32_e32 v121, v123
	v_fma_mix_f32 v121, v13, v121, -v155 op_sel_hi:[1,0,0]
	v_fmac_f32_e32 v58, v130, v121
	ds_read_b32 v121, v118
	ds_read2_b32 v[124:125], v122 offset1:1
	ds_read2_b32 v[128:129], v126 offset1:1
	v_add_nc_u32_e32 v118, 4, v118
	s_waitcnt lgkmcnt(1)
	v_and_b32_e32 v122, 0xf0f0f0f, v124
	v_lshrrev_b32_e32 v123, 4, v124
	v_and_b32_e32 v124, 0xf0f0f0f, v125
	v_lshrrev_b32_e32 v125, 4, v125
	s_waitcnt lgkmcnt(0)
	v_and_b32_e32 v126, 0xf0f0f0f, v128
	v_dot4c_i32_i8 v148, v122, v2
	v_and_b32_e32 v123, 0xf0f0f0f, v123
	v_lshrrev_b32_e32 v127, 4, v128
	v_and_b32_e32 v125, 0xf0f0f0f, v125
	v_and_b32_e32 v128, 0xf0f0f0f, v129
	v_lshrrev_b32_e32 v129, 4, v129
	v_dot4c_i32_i8 v148, v123, v6
	v_and_b32_e32 v127, 0xf0f0f0f, v127
	v_and_b32_e32 v129, 0xf0f0f0f, v129
	v_dot4c_i32_i8 v148, v124, v3
	v_dot4c_i32_i8 v148, v125, v7
	;; [unrolled: 1-line block ×6, first 2 shown]
	v_cvt_f32_i32_e32 v148, v148
	v_fma_mix_f32 v148, v13, v148, -v155 op_sel_hi:[1,0,0]
	v_fmac_f32_e32 v57, v121, v148
	ds_read_b32 v148, v119
	ds_read2_b32 v[153:154], v149 offset1:1
	v_add_nc_u32_e32 v119, 4, v119
	s_waitcnt lgkmcnt(0)
	v_and_b32_e32 v152, 0xf0f0f0f, v153
	v_lshrrev_b32_e32 v149, 4, v153
	v_and_b32_e32 v151, 0xf0f0f0f, v154
	v_dot4c_i32_i8 v156, v152, v2
	v_and_b32_e32 v150, 0xf0f0f0f, v149
	v_lshrrev_b32_e32 v2, 4, v154
	v_dot4c_i32_i8 v156, v150, v6
	v_and_b32_e32 v149, 0xf0f0f0f, v2
	v_add_nc_u32_e32 v2, 0x3188, v120
	v_cvt_f32_f16_sdwa v6, v14 dst_sel:DWORD dst_unused:UNUSED_PAD src0_sel:WORD_1
	v_add_nc_u32_e32 v120, 16, v120
	v_dot4c_i32_i8 v156, v151, v3
	ds_read2_b32 v[2:3], v2 offset1:1
	v_mul_f32_e32 v6, 0x41000000, v6
	v_dot4c_i32_i8 v156, v149, v7
	s_waitcnt lgkmcnt(0)
	v_and_b32_e32 v7, 0xf0f0f0f, v2
	v_lshrrev_b32_e32 v2, 4, v2
	v_and_b32_e32 v154, 0xf0f0f0f, v3
	v_dot4c_i32_i8 v156, v7, v4
	v_and_b32_e32 v153, 0xf0f0f0f, v2
	v_lshrrev_b32_e32 v2, 4, v3
	v_dot4c_i32_i8 v156, v153, v8
	v_and_b32_e32 v8, 0xf0f0f0f, v2
	v_dot4c_i32_i8 v156, v154, v5
	v_dot4c_i32_i8 v156, v8, v9
	v_mov_b32_e32 v9, 0
	v_cvt_f32_i32_e32 v2, v156
	v_fma_mix_f32 v2, v13, v2, -v155 op_sel_hi:[1,0,0]
	v_mov_b32_e32 v13, 0
	v_fmac_f32_e32 v53, v148, v2
	ds_read_b128 v[2:5], v114 offset:1024
	ds_read_b128 v[155:158], v114 offset:1040
	s_waitcnt lgkmcnt(1)
	v_dot4c_i32_i8 v9, v140, v2
	s_waitcnt lgkmcnt(0)
	v_dot4c_i32_i8 v9, v141, v155
	v_dot4c_i32_i8 v9, v142, v3
	v_dot4c_i32_i8 v9, v143, v156
	v_dot4c_i32_i8 v9, v144, v4
	v_dot4c_i32_i8 v9, v145, v157
	v_dot4c_i32_i8 v9, v146, v5
	v_dot4c_i32_i8 v9, v147, v158
	v_cvt_f32_i32_e32 v9, v9
	v_fma_mix_f32 v9, v9, v14, -v6 op_sel_hi:[0,1,0]
	v_fmac_f32_e32 v49, v139, v9
	v_mov_b32_e32 v9, 0
	v_dot4c_i32_i8 v9, v131, v2
	v_dot4c_i32_i8 v9, v132, v155
	v_dot4c_i32_i8 v9, v133, v3
	v_dot4c_i32_i8 v9, v134, v156
	v_dot4c_i32_i8 v9, v135, v4
	v_dot4c_i32_i8 v9, v136, v157
	v_dot4c_i32_i8 v9, v137, v5
	v_dot4c_i32_i8 v9, v138, v158
	v_cvt_f32_i32_e32 v9, v9
	v_fma_mix_f32 v9, v9, v14, -v6 op_sel_hi:[0,1,0]
	v_fmac_f32_e32 v46, v130, v9
	v_mov_b32_e32 v9, 0
	v_dot4c_i32_i8 v9, v122, v2
	;; [unrolled: 12-line block ×3, first 2 shown]
	v_dot4c_i32_i8 v9, v150, v155
	v_dot4c_i32_i8 v9, v151, v3
	;; [unrolled: 1-line block ×6, first 2 shown]
	v_mov_b32_e32 v5, 0
	v_dot4c_i32_i8 v9, v8, v158
	v_cvt_f32_i32_e32 v2, v9
	v_fma_mix_f32 v2, v2, v14, -v6 op_sel_hi:[0,1,0]
	v_fmac_f32_e32 v42, v148, v2
	ds_read_b128 v[155:158], v114 offset:2048
	ds_read_b128 v[159:162], v114 offset:2064
	ds_read2_b32 v[2:3], v115 offset0:64 offset1:96
	s_waitcnt lgkmcnt(2)
	v_dot4c_i32_i8 v5, v140, v155
	s_waitcnt lgkmcnt(0)
	v_cvt_f32_f16_sdwa v4, v2 dst_sel:DWORD dst_unused:UNUSED_PAD src0_sel:WORD_1
	v_dot4c_i32_i8 v5, v141, v159
	v_mul_f32_e32 v4, 0x41000000, v4
	v_dot4c_i32_i8 v5, v142, v156
	v_dot4c_i32_i8 v5, v143, v160
	v_dot4c_i32_i8 v5, v144, v157
	v_dot4c_i32_i8 v5, v145, v161
	v_dot4c_i32_i8 v5, v146, v158
	v_dot4c_i32_i8 v5, v147, v162
	v_cvt_f32_i32_e32 v5, v5
	v_fma_mix_f32 v5, v5, v2, -v4 op_sel_hi:[0,1,0]
	v_fmac_f32_e32 v40, v139, v5
	v_mov_b32_e32 v5, 0
	v_dot4c_i32_i8 v5, v131, v155
	v_dot4c_i32_i8 v5, v132, v159
	v_dot4c_i32_i8 v5, v133, v156
	v_dot4c_i32_i8 v5, v134, v160
	v_dot4c_i32_i8 v5, v135, v157
	v_dot4c_i32_i8 v5, v136, v161
	v_dot4c_i32_i8 v5, v137, v158
	v_dot4c_i32_i8 v5, v138, v162
	v_cvt_f32_i32_e32 v5, v5
	v_fma_mix_f32 v5, v5, v2, -v4 op_sel_hi:[0,1,0]
	v_fmac_f32_e32 v39, v130, v5
	v_mov_b32_e32 v5, 0
	v_dot4c_i32_i8 v5, v122, v155
	v_dot4c_i32_i8 v5, v123, v159
	;; [unrolled: 12-line block ×3, first 2 shown]
	v_dot4c_i32_i8 v5, v151, v156
	v_dot4c_i32_i8 v5, v149, v160
	;; [unrolled: 1-line block ×6, first 2 shown]
	ds_read_b128 v[155:158], v114 offset:3072
	ds_read_b128 v[159:162], v114 offset:3088
	v_cvt_f32_i32_e32 v5, v5
	v_fma_mix_f32 v2, v5, v2, -v4 op_sel_hi:[0,1,0]
	v_mov_b32_e32 v4, 0
	v_mov_b32_e32 v5, 0
	v_fmac_f32_e32 v37, v148, v2
	v_cvt_f32_f16_sdwa v2, v3 dst_sel:DWORD dst_unused:UNUSED_PAD src0_sel:WORD_1
	s_waitcnt lgkmcnt(1)
	v_dot4c_i32_i8 v4, v140, v155
	v_mul_f32_e32 v2, 0x41000000, v2
	s_waitcnt lgkmcnt(0)
	v_dot4c_i32_i8 v4, v141, v159
	v_dot4c_i32_i8 v4, v142, v156
	v_dot4c_i32_i8 v4, v143, v160
	v_dot4c_i32_i8 v4, v144, v157
	v_dot4c_i32_i8 v4, v145, v161
	v_dot4c_i32_i8 v4, v146, v158
	v_dot4c_i32_i8 v4, v147, v162
	v_cvt_f32_i32_e32 v4, v4
	v_fma_mix_f32 v4, v4, v3, -v2 op_sel_hi:[0,1,0]
	v_fmac_f32_e32 v34, v139, v4
	v_mov_b32_e32 v4, 0
	v_dot4c_i32_i8 v4, v131, v155
	v_dot4c_i32_i8 v4, v132, v159
	v_dot4c_i32_i8 v4, v133, v156
	v_dot4c_i32_i8 v4, v134, v160
	v_dot4c_i32_i8 v4, v135, v157
	v_dot4c_i32_i8 v4, v136, v161
	v_dot4c_i32_i8 v4, v137, v158
	v_dot4c_i32_i8 v4, v138, v162
	v_cvt_f32_i32_e32 v4, v4
	v_fma_mix_f32 v4, v4, v3, -v2 op_sel_hi:[0,1,0]
	v_fmac_f32_e32 v33, v130, v4
	v_mov_b32_e32 v4, 0
	v_dot4c_i32_i8 v4, v122, v155
	;; [unrolled: 12-line block ×3, first 2 shown]
	v_dot4c_i32_i8 v4, v150, v159
	v_dot4c_i32_i8 v4, v151, v156
	;; [unrolled: 1-line block ×7, first 2 shown]
	v_cvt_f32_i32_e32 v4, v4
	v_fma_mix_f32 v2, v4, v3, -v2 op_sel_hi:[0,1,0]
	v_fmac_f32_e32 v31, v148, v2
	ds_read_b128 v[155:158], v114 offset:4096
	ds_read_b128 v[159:162], v114 offset:4112
	ds_read2_b32 v[2:3], v115 offset0:128 offset1:160
	s_waitcnt lgkmcnt(2)
	v_dot4c_i32_i8 v5, v140, v155
	s_waitcnt lgkmcnt(0)
	v_cvt_f32_f16_sdwa v4, v2 dst_sel:DWORD dst_unused:UNUSED_PAD src0_sel:WORD_1
	v_dot4c_i32_i8 v5, v141, v159
	v_mul_f32_e32 v4, 0x41000000, v4
	v_dot4c_i32_i8 v5, v142, v156
	v_dot4c_i32_i8 v5, v143, v160
	v_dot4c_i32_i8 v5, v144, v157
	v_dot4c_i32_i8 v5, v145, v161
	v_dot4c_i32_i8 v5, v146, v158
	v_dot4c_i32_i8 v5, v147, v162
	v_cvt_f32_i32_e32 v5, v5
	v_fma_mix_f32 v5, v5, v2, -v4 op_sel_hi:[0,1,0]
	v_fmac_f32_e32 v30, v139, v5
	v_mov_b32_e32 v5, 0
	v_dot4c_i32_i8 v5, v131, v155
	v_dot4c_i32_i8 v5, v132, v159
	v_dot4c_i32_i8 v5, v133, v156
	v_dot4c_i32_i8 v5, v134, v160
	v_dot4c_i32_i8 v5, v135, v157
	v_dot4c_i32_i8 v5, v136, v161
	v_dot4c_i32_i8 v5, v137, v158
	v_dot4c_i32_i8 v5, v138, v162
	v_cvt_f32_i32_e32 v5, v5
	v_fma_mix_f32 v5, v5, v2, -v4 op_sel_hi:[0,1,0]
	v_fmac_f32_e32 v29, v130, v5
	v_mov_b32_e32 v5, 0
	v_dot4c_i32_i8 v5, v122, v155
	v_dot4c_i32_i8 v5, v123, v159
	;; [unrolled: 12-line block ×3, first 2 shown]
	v_dot4c_i32_i8 v5, v151, v156
	v_dot4c_i32_i8 v5, v149, v160
	v_dot4c_i32_i8 v5, v7, v157
	v_dot4c_i32_i8 v5, v153, v161
	v_dot4c_i32_i8 v5, v154, v158
	v_dot4c_i32_i8 v5, v8, v162
	ds_read_b128 v[155:158], v114 offset:5120
	ds_read_b128 v[159:162], v114 offset:5136
	v_cvt_f32_i32_e32 v5, v5
	v_fma_mix_f32 v2, v5, v2, -v4 op_sel_hi:[0,1,0]
	v_mov_b32_e32 v4, 0
	v_fmac_f32_e32 v27, v148, v2
	v_cvt_f32_f16_sdwa v2, v3 dst_sel:DWORD dst_unused:UNUSED_PAD src0_sel:WORD_1
	s_waitcnt lgkmcnt(1)
	v_dot4c_i32_i8 v4, v140, v155
	v_mul_f32_e32 v2, 0x41000000, v2
	s_waitcnt lgkmcnt(0)
	v_dot4c_i32_i8 v4, v141, v159
	v_dot4c_i32_i8 v4, v142, v156
	v_dot4c_i32_i8 v4, v143, v160
	v_dot4c_i32_i8 v4, v144, v157
	v_dot4c_i32_i8 v4, v145, v161
	v_dot4c_i32_i8 v4, v146, v158
	v_dot4c_i32_i8 v4, v147, v162
	v_cvt_f32_i32_e32 v4, v4
	v_fma_mix_f32 v4, v4, v3, -v2 op_sel_hi:[0,1,0]
	v_fmac_f32_e32 v26, v139, v4
	v_mov_b32_e32 v4, 0
	v_dot4c_i32_i8 v4, v131, v155
	v_dot4c_i32_i8 v4, v132, v159
	v_dot4c_i32_i8 v4, v133, v156
	v_dot4c_i32_i8 v4, v134, v160
	v_dot4c_i32_i8 v4, v135, v157
	v_dot4c_i32_i8 v4, v136, v161
	v_dot4c_i32_i8 v4, v137, v158
	v_dot4c_i32_i8 v4, v138, v162
	v_cvt_f32_i32_e32 v4, v4
	v_fma_mix_f32 v4, v4, v3, -v2 op_sel_hi:[0,1,0]
	v_fmac_f32_e32 v25, v130, v4
	v_mov_b32_e32 v4, 0
	v_dot4c_i32_i8 v4, v122, v155
	;; [unrolled: 12-line block ×3, first 2 shown]
	v_dot4c_i32_i8 v4, v150, v159
	v_dot4c_i32_i8 v4, v151, v156
	;; [unrolled: 1-line block ×7, first 2 shown]
	ds_read_b128 v[155:158], v114 offset:6144
	ds_read_b128 v[159:162], v114 offset:6160
	ds_read2_b32 v[5:6], v115 offset0:192 offset1:224
	v_add_nc_u32_e32 v115, 4, v115
	v_cvt_f32_i32_e32 v4, v4
	v_fma_mix_f32 v2, v4, v3, -v2 op_sel_hi:[0,1,0]
	v_mov_b32_e32 v3, 0
	v_fmac_f32_e32 v23, v148, v2
	s_waitcnt lgkmcnt(2)
	v_dot4c_i32_i8 v3, v140, v155
	s_waitcnt lgkmcnt(0)
	v_cvt_f32_f16_sdwa v2, v5 dst_sel:DWORD dst_unused:UNUSED_PAD src0_sel:WORD_1
	v_cvt_f32_f16_sdwa v9, v6 dst_sel:DWORD dst_unused:UNUSED_PAD src0_sel:WORD_1
	v_dot4c_i32_i8 v3, v141, v159
	v_mul_f32_e32 v2, 0x41000000, v2
	v_mul_f32_e32 v9, 0x41000000, v9
	v_dot4c_i32_i8 v3, v142, v156
	v_dot4c_i32_i8 v3, v143, v160
	v_dot4c_i32_i8 v3, v144, v157
	v_dot4c_i32_i8 v3, v145, v161
	v_dot4c_i32_i8 v3, v146, v158
	v_dot4c_i32_i8 v3, v147, v162
	v_cvt_f32_i32_e32 v3, v3
	v_fma_mix_f32 v3, v3, v5, -v2 op_sel_hi:[0,1,0]
	v_fmac_f32_e32 v22, v139, v3
	v_mov_b32_e32 v3, 0
	v_dot4c_i32_i8 v3, v131, v155
	v_dot4c_i32_i8 v3, v132, v159
	v_dot4c_i32_i8 v3, v133, v156
	v_dot4c_i32_i8 v3, v134, v160
	v_dot4c_i32_i8 v3, v135, v157
	v_dot4c_i32_i8 v3, v136, v161
	v_dot4c_i32_i8 v3, v137, v158
	v_dot4c_i32_i8 v3, v138, v162
	v_cvt_f32_i32_e32 v3, v3
	v_fma_mix_f32 v3, v3, v5, -v2 op_sel_hi:[0,1,0]
	v_fmac_f32_e32 v21, v130, v3
	v_mov_b32_e32 v3, 0
	v_dot4c_i32_i8 v3, v122, v155
	v_dot4c_i32_i8 v3, v123, v159
	;; [unrolled: 12-line block ×3, first 2 shown]
	v_dot4c_i32_i8 v3, v151, v156
	v_dot4c_i32_i8 v3, v149, v160
	;; [unrolled: 1-line block ×6, first 2 shown]
	v_cvt_f32_i32_e32 v3, v3
	v_fma_mix_f32 v2, v3, v5, -v2 op_sel_hi:[0,1,0]
	v_fmac_f32_e32 v19, v148, v2
	ds_read_b128 v[155:158], v114 offset:7168
	ds_read_b128 v[2:5], v114 offset:7184
	v_add_nc_u32_e32 v114, 32, v114
	s_waitcnt lgkmcnt(1)
	v_dot4c_i32_i8 v13, v140, v155
	s_waitcnt lgkmcnt(0)
	v_dot4c_i32_i8 v13, v141, v2
	v_dot4c_i32_i8 v13, v142, v156
	v_dot4c_i32_i8 v13, v143, v3
	v_dot4c_i32_i8 v13, v144, v157
	v_dot4c_i32_i8 v13, v145, v4
	v_dot4c_i32_i8 v13, v146, v158
	v_dot4c_i32_i8 v13, v147, v5
	v_cvt_f32_i32_e32 v13, v13
	v_fma_mix_f32 v13, v13, v6, -v9 op_sel_hi:[0,1,0]
	v_fmac_f32_e32 v18, v139, v13
	v_mov_b32_e32 v13, 0
	v_dot4c_i32_i8 v13, v131, v155
	v_dot4c_i32_i8 v13, v132, v2
	v_dot4c_i32_i8 v13, v133, v156
	v_dot4c_i32_i8 v13, v134, v3
	v_dot4c_i32_i8 v13, v135, v157
	v_dot4c_i32_i8 v13, v136, v4
	v_dot4c_i32_i8 v13, v137, v158
	v_dot4c_i32_i8 v13, v138, v5
	v_cvt_f32_i32_e32 v13, v13
	v_fma_mix_f32 v13, v13, v6, -v9 op_sel_hi:[0,1,0]
	v_fmac_f32_e32 v17, v130, v13
	v_mov_b32_e32 v13, 0
	v_dot4c_i32_i8 v13, v122, v155
	v_dot4c_i32_i8 v13, v123, v2
	v_dot4c_i32_i8 v13, v124, v156
	v_dot4c_i32_i8 v13, v125, v3
	v_dot4c_i32_i8 v13, v126, v157
	v_dot4c_i32_i8 v13, v127, v4
	v_dot4c_i32_i8 v13, v128, v158
	v_dot4c_i32_i8 v13, v129, v5
	v_cvt_f32_i32_e32 v13, v13
	v_fma_mix_f32 v13, v13, v6, -v9 op_sel_hi:[0,1,0]
	v_fmac_f32_e32 v16, v121, v13
	v_mov_b32_e32 v13, 0
	v_dot4c_i32_i8 v13, v152, v155
	v_dot4c_i32_i8 v13, v150, v2
	v_dot4c_i32_i8 v13, v151, v156
	;; [unrolled: 1-line block ×7, first 2 shown]
	v_cvt_f32_i32_e32 v2, v13
	v_fma_mix_f32 v2, v2, v6, -v9 op_sel_hi:[0,1,0]
	v_fmac_f32_e32 v15, v148, v2
	s_cbranch_scc1 .LBB157_8
; %bb.9:                                ;   in Loop: Header=BB157_6 Depth=1
	s_and_b32 s0, s11, -4
	s_cmp_eq_u32 s0, 4
	s_barrier
	buffer_gl0_inv
	s_cbranch_scc1 .LBB157_5
; %bb.10:                               ;   in Loop: Header=BB157_6 Depth=1
	v_add_nc_u32_e32 v115, s14, v89
	v_add_nc_u32_e32 v113, 4, v113
	s_mov_b32 s0, 12
	v_add_nc_u32_e32 v2, v115, v80
	v_add_nc_u32_e32 v4, v115, v81
	;; [unrolled: 1-line block ×5, first 2 shown]
	v_mad_u64_u32 v[113:114], null, v113, 36, s[2:3]
	v_mad_i64_i32 v[2:3], null, v2, 36, v[11:12]
	v_add_nc_u32_e32 v116, v115, v85
	v_mad_i64_i32 v[4:5], null, v4, 36, v[11:12]
	v_add_nc_u32_e32 v117, v115, v86
	;; [unrolled: 2-line block ×3, first 2 shown]
	v_mad_i64_i32 v[8:9], null, v8, 36, v[11:12]
	v_mad_i64_i32 v[13:14], null, v13, 36, v[11:12]
	;; [unrolled: 1-line block ×5, first 2 shown]
	s_clause 0x8
	global_load_dword v121, v[113:114], off
	global_load_dword v2, v[2:3], off offset:4
	global_load_dword v3, v[4:5], off offset:4
	global_load_dword v4, v[6:7], off offset:4
	global_load_dword v5, v[8:9], off offset:4
	global_load_dword v6, v[13:14], off offset:4
	global_load_dword v7, v[115:116], off offset:4
	global_load_dword v8, v[117:118], off offset:4
	global_load_dword v9, v[119:120], off offset:4
	v_mov_b32_e32 v113, v94
	v_mov_b32_e32 v114, v95
	;; [unrolled: 1-line block ×7, first 2 shown]
	s_waitcnt vmcnt(8)
	ds_write_b32 v79, v121
	s_waitcnt vmcnt(7)
	ds_write_b32 v105, v2
	;; [unrolled: 2-line block ×9, first 2 shown]
	s_waitcnt lgkmcnt(0)
	s_barrier
	buffer_gl0_inv
.LBB157_11:                             ;   Parent Loop BB157_6 Depth=1
                                        ; =>  This Inner Loop Header: Depth=2
	ds_read_b128 v[2:5], v114
	ds_read_b128 v[6:9], v114 offset:16
	ds_read2_b32 v[13:14], v113 offset1:32
	v_mov_b32_e32 v122, 0
	v_add_nc_u32_e32 v126, 0x2108, v119
	v_add_nc_u32_e32 v148, 0x3180, v119
	s_add_i32 s0, s0, 4
	s_cmp_lt_u32 s0, 28
	s_waitcnt lgkmcnt(0)
	v_cvt_f32_f16_sdwa v120, v13 dst_sel:DWORD dst_unused:UNUSED_PAD src0_sel:WORD_1
	v_mul_f32_e32 v152, 0x41000000, v120
	ds_read_b32 v139, v115
	ds_read2_b32 v[120:121], v119 offset1:1
	v_add_nc_u32_e32 v115, 4, v115
	s_waitcnt lgkmcnt(0)
	v_and_b32_e32 v140, 0xf0f0f0f, v120
	v_lshrrev_b32_e32 v120, 4, v120
	v_and_b32_e32 v142, 0xf0f0f0f, v121
	v_dot4c_i32_i8 v122, v140, v2
	v_and_b32_e32 v141, 0xf0f0f0f, v120
	v_lshrrev_b32_e32 v120, 4, v121
	v_dot4c_i32_i8 v122, v141, v6
	v_and_b32_e32 v143, 0xf0f0f0f, v120
	ds_read2_b32 v[120:121], v119 offset0:2 offset1:3
	v_dot4c_i32_i8 v122, v142, v3
	v_dot4c_i32_i8 v122, v143, v7
	s_waitcnt lgkmcnt(0)
	v_and_b32_e32 v144, 0xf0f0f0f, v120
	v_lshrrev_b32_e32 v120, 4, v120
	v_and_b32_e32 v146, 0xf0f0f0f, v121
	v_dot4c_i32_i8 v122, v144, v4
	v_and_b32_e32 v145, 0xf0f0f0f, v120
	v_lshrrev_b32_e32 v120, 4, v121
	v_dot4c_i32_i8 v122, v145, v8
	v_and_b32_e32 v147, 0xf0f0f0f, v120
	v_dot4c_i32_i8 v122, v146, v5
	v_dot4c_i32_i8 v122, v147, v9
	v_cvt_f32_i32_e32 v120, v122
	v_mov_b32_e32 v122, 0
	v_fma_mix_f32 v120, v13, v120, -v152 op_sel_hi:[1,0,0]
	v_fmac_f32_e32 v36, v139, v120
	v_add_nc_u32_e32 v120, 0x1080, v119
	ds_read_b32 v130, v116
	ds_read2_b32 v[120:121], v120 offset1:1
	v_add_nc_u32_e32 v116, 4, v116
	s_waitcnt lgkmcnt(0)
	v_and_b32_e32 v131, 0xf0f0f0f, v120
	v_lshrrev_b32_e32 v120, 4, v120
	v_and_b32_e32 v133, 0xf0f0f0f, v121
	v_dot4c_i32_i8 v122, v131, v2
	v_and_b32_e32 v132, 0xf0f0f0f, v120
	v_lshrrev_b32_e32 v120, 4, v121
	v_dot4c_i32_i8 v122, v132, v6
	v_and_b32_e32 v134, 0xf0f0f0f, v120
	v_add_nc_u32_e32 v120, 0x1088, v119
	v_dot4c_i32_i8 v122, v133, v3
	ds_read2_b32 v[120:121], v120 offset1:1
	v_dot4c_i32_i8 v122, v134, v7
	s_waitcnt lgkmcnt(0)
	v_and_b32_e32 v135, 0xf0f0f0f, v120
	v_lshrrev_b32_e32 v120, 4, v120
	v_and_b32_e32 v137, 0xf0f0f0f, v121
	v_dot4c_i32_i8 v122, v135, v4
	v_and_b32_e32 v136, 0xf0f0f0f, v120
	v_lshrrev_b32_e32 v120, 4, v121
	v_dot4c_i32_i8 v122, v136, v8
	v_and_b32_e32 v138, 0xf0f0f0f, v120
	v_dot4c_i32_i8 v122, v137, v5
	v_dot4c_i32_i8 v122, v138, v9
	v_cvt_f32_i32_e32 v120, v122
	v_fma_mix_f32 v120, v13, v120, -v152 op_sel_hi:[1,0,0]
	v_fmac_f32_e32 v58, v130, v120
	v_add_nc_u32_e32 v120, 0x2100, v119
	ds_read_b32 v121, v117
	ds_read2_b32 v[124:125], v120 offset1:1
	ds_read2_b32 v[128:129], v126 offset1:1
	v_add_nc_u32_e32 v117, 4, v117
	s_waitcnt lgkmcnt(1)
	v_lshrrev_b32_e32 v120, 4, v124
	v_and_b32_e32 v122, 0xf0f0f0f, v124
	v_and_b32_e32 v124, 0xf0f0f0f, v125
	v_lshrrev_b32_e32 v125, 4, v125
	s_waitcnt lgkmcnt(0)
	v_and_b32_e32 v126, 0xf0f0f0f, v128
	v_and_b32_e32 v123, 0xf0f0f0f, v120
	v_mov_b32_e32 v120, 0
	v_lshrrev_b32_e32 v127, 4, v128
	v_and_b32_e32 v125, 0xf0f0f0f, v125
	v_and_b32_e32 v128, 0xf0f0f0f, v129
	v_lshrrev_b32_e32 v129, 4, v129
	v_dot4c_i32_i8 v120, v122, v2
	v_and_b32_e32 v127, 0xf0f0f0f, v127
	v_and_b32_e32 v129, 0xf0f0f0f, v129
	v_dot4c_i32_i8 v120, v123, v6
	v_dot4c_i32_i8 v120, v124, v3
	v_dot4c_i32_i8 v120, v125, v7
	v_dot4c_i32_i8 v120, v126, v4
	v_dot4c_i32_i8 v120, v127, v8
	v_dot4c_i32_i8 v120, v128, v5
	v_dot4c_i32_i8 v120, v129, v9
	v_cvt_f32_i32_e32 v120, v120
	v_fma_mix_f32 v120, v13, v120, -v152 op_sel_hi:[1,0,0]
	v_fmac_f32_e32 v57, v121, v120
	ds_read_b32 v120, v118
	ds_read2_b32 v[153:154], v148 offset1:1
	v_add_nc_u32_e32 v118, 4, v118
	s_waitcnt lgkmcnt(0)
	v_and_b32_e32 v150, 0xf0f0f0f, v153
	v_lshrrev_b32_e32 v148, 4, v153
	v_mov_b32_e32 v153, 0
	v_and_b32_e32 v149, 0xf0f0f0f, v148
	v_dot4c_i32_i8 v153, v150, v2
	v_lshrrev_b32_e32 v2, 4, v154
	v_and_b32_e32 v148, 0xf0f0f0f, v154
	v_dot4c_i32_i8 v153, v149, v6
	v_and_b32_e32 v6, 0xf0f0f0f, v2
	v_add_nc_u32_e32 v2, 0x3188, v119
	v_add_nc_u32_e32 v119, 16, v119
	v_dot4c_i32_i8 v153, v148, v3
	ds_read2_b32 v[2:3], v2 offset1:1
	v_dot4c_i32_i8 v153, v6, v7
	s_waitcnt lgkmcnt(0)
	v_and_b32_e32 v7, 0xf0f0f0f, v2
	v_lshrrev_b32_e32 v2, 4, v2
	v_dot4c_i32_i8 v153, v7, v4
	v_and_b32_e32 v151, 0xf0f0f0f, v2
	v_lshrrev_b32_e32 v2, 4, v3
	v_dot4c_i32_i8 v153, v151, v8
	v_and_b32_e32 v8, 0xf0f0f0f, v3
	v_and_b32_e32 v4, 0xf0f0f0f, v2
	v_mov_b32_e32 v3, 0
	v_dot4c_i32_i8 v153, v8, v5
	v_dot4c_i32_i8 v153, v4, v9
	v_mov_b32_e32 v9, 0
	v_cvt_f32_i32_e32 v2, v153
	v_fma_mix_f32 v2, v13, v2, -v152 op_sel_hi:[1,0,0]
	ds_read_b128 v[152:155], v114 offset:1024
	ds_read_b128 v[156:159], v114 offset:1040
	v_fmac_f32_e32 v53, v120, v2
	v_cvt_f32_f16_sdwa v2, v14 dst_sel:DWORD dst_unused:UNUSED_PAD src0_sel:WORD_1
	v_mul_f32_e32 v2, 0x41000000, v2
	s_waitcnt lgkmcnt(1)
	v_dot4c_i32_i8 v3, v140, v152
	s_waitcnt lgkmcnt(0)
	v_dot4c_i32_i8 v3, v141, v156
	v_dot4c_i32_i8 v3, v142, v153
	v_dot4c_i32_i8 v3, v143, v157
	v_dot4c_i32_i8 v3, v144, v154
	v_dot4c_i32_i8 v3, v145, v158
	v_dot4c_i32_i8 v3, v146, v155
	v_dot4c_i32_i8 v3, v147, v159
	v_cvt_f32_i32_e32 v3, v3
	v_fma_mix_f32 v3, v3, v14, -v2 op_sel_hi:[0,1,0]
	v_fmac_f32_e32 v49, v139, v3
	v_mov_b32_e32 v3, 0
	v_dot4c_i32_i8 v3, v131, v152
	v_dot4c_i32_i8 v3, v132, v156
	v_dot4c_i32_i8 v3, v133, v153
	v_dot4c_i32_i8 v3, v134, v157
	v_dot4c_i32_i8 v3, v135, v154
	v_dot4c_i32_i8 v3, v136, v158
	v_dot4c_i32_i8 v3, v137, v155
	v_dot4c_i32_i8 v3, v138, v159
	v_cvt_f32_i32_e32 v3, v3
	v_fma_mix_f32 v3, v3, v14, -v2 op_sel_hi:[0,1,0]
	v_fmac_f32_e32 v46, v130, v3
	v_mov_b32_e32 v3, 0
	v_dot4c_i32_i8 v3, v122, v152
	;; [unrolled: 12-line block ×3, first 2 shown]
	v_dot4c_i32_i8 v3, v149, v156
	v_dot4c_i32_i8 v3, v148, v153
	;; [unrolled: 1-line block ×7, first 2 shown]
	v_cvt_f32_i32_e32 v3, v3
	v_fma_mix_f32 v2, v3, v14, -v2 op_sel_hi:[0,1,0]
	v_fmac_f32_e32 v42, v120, v2
	ds_read_b128 v[152:155], v114 offset:2048
	ds_read_b128 v[156:159], v114 offset:2064
	ds_read2_b32 v[2:3], v113 offset0:64 offset1:96
	s_waitcnt lgkmcnt(2)
	v_dot4c_i32_i8 v9, v140, v152
	s_waitcnt lgkmcnt(0)
	v_cvt_f32_f16_sdwa v5, v2 dst_sel:DWORD dst_unused:UNUSED_PAD src0_sel:WORD_1
	v_dot4c_i32_i8 v9, v141, v156
	v_mul_f32_e32 v5, 0x41000000, v5
	v_dot4c_i32_i8 v9, v142, v153
	v_dot4c_i32_i8 v9, v143, v157
	v_dot4c_i32_i8 v9, v144, v154
	v_dot4c_i32_i8 v9, v145, v158
	v_dot4c_i32_i8 v9, v146, v155
	v_dot4c_i32_i8 v9, v147, v159
	v_cvt_f32_i32_e32 v9, v9
	v_fma_mix_f32 v9, v9, v2, -v5 op_sel_hi:[0,1,0]
	v_fmac_f32_e32 v40, v139, v9
	v_mov_b32_e32 v9, 0
	v_dot4c_i32_i8 v9, v131, v152
	v_dot4c_i32_i8 v9, v132, v156
	v_dot4c_i32_i8 v9, v133, v153
	v_dot4c_i32_i8 v9, v134, v157
	v_dot4c_i32_i8 v9, v135, v154
	v_dot4c_i32_i8 v9, v136, v158
	v_dot4c_i32_i8 v9, v137, v155
	v_dot4c_i32_i8 v9, v138, v159
	v_cvt_f32_i32_e32 v9, v9
	v_fma_mix_f32 v9, v9, v2, -v5 op_sel_hi:[0,1,0]
	v_fmac_f32_e32 v39, v130, v9
	v_mov_b32_e32 v9, 0
	v_dot4c_i32_i8 v9, v122, v152
	v_dot4c_i32_i8 v9, v123, v156
	;; [unrolled: 12-line block ×3, first 2 shown]
	v_dot4c_i32_i8 v9, v148, v153
	v_dot4c_i32_i8 v9, v6, v157
	;; [unrolled: 1-line block ×6, first 2 shown]
	ds_read_b128 v[152:155], v114 offset:3072
	ds_read_b128 v[156:159], v114 offset:3088
	v_cvt_f32_i32_e32 v9, v9
	v_fma_mix_f32 v2, v9, v2, -v5 op_sel_hi:[0,1,0]
	v_mov_b32_e32 v5, 0
	v_mov_b32_e32 v9, 0
	v_fmac_f32_e32 v37, v120, v2
	v_cvt_f32_f16_sdwa v2, v3 dst_sel:DWORD dst_unused:UNUSED_PAD src0_sel:WORD_1
	s_waitcnt lgkmcnt(1)
	v_dot4c_i32_i8 v5, v140, v152
	v_mul_f32_e32 v2, 0x41000000, v2
	s_waitcnt lgkmcnt(0)
	v_dot4c_i32_i8 v5, v141, v156
	v_dot4c_i32_i8 v5, v142, v153
	v_dot4c_i32_i8 v5, v143, v157
	v_dot4c_i32_i8 v5, v144, v154
	v_dot4c_i32_i8 v5, v145, v158
	v_dot4c_i32_i8 v5, v146, v155
	v_dot4c_i32_i8 v5, v147, v159
	v_cvt_f32_i32_e32 v5, v5
	v_fma_mix_f32 v5, v5, v3, -v2 op_sel_hi:[0,1,0]
	v_fmac_f32_e32 v34, v139, v5
	v_mov_b32_e32 v5, 0
	v_dot4c_i32_i8 v5, v131, v152
	v_dot4c_i32_i8 v5, v132, v156
	v_dot4c_i32_i8 v5, v133, v153
	v_dot4c_i32_i8 v5, v134, v157
	v_dot4c_i32_i8 v5, v135, v154
	v_dot4c_i32_i8 v5, v136, v158
	v_dot4c_i32_i8 v5, v137, v155
	v_dot4c_i32_i8 v5, v138, v159
	v_cvt_f32_i32_e32 v5, v5
	v_fma_mix_f32 v5, v5, v3, -v2 op_sel_hi:[0,1,0]
	v_fmac_f32_e32 v33, v130, v5
	v_mov_b32_e32 v5, 0
	v_dot4c_i32_i8 v5, v122, v152
	;; [unrolled: 12-line block ×3, first 2 shown]
	v_dot4c_i32_i8 v5, v149, v156
	v_dot4c_i32_i8 v5, v148, v153
	;; [unrolled: 1-line block ×7, first 2 shown]
	v_cvt_f32_i32_e32 v5, v5
	v_fma_mix_f32 v2, v5, v3, -v2 op_sel_hi:[0,1,0]
	v_fmac_f32_e32 v31, v120, v2
	ds_read_b128 v[152:155], v114 offset:4096
	ds_read_b128 v[156:159], v114 offset:4112
	ds_read2_b32 v[2:3], v113 offset0:128 offset1:160
	s_waitcnt lgkmcnt(2)
	v_dot4c_i32_i8 v9, v140, v152
	s_waitcnt lgkmcnt(0)
	v_cvt_f32_f16_sdwa v5, v2 dst_sel:DWORD dst_unused:UNUSED_PAD src0_sel:WORD_1
	v_dot4c_i32_i8 v9, v141, v156
	v_mul_f32_e32 v5, 0x41000000, v5
	v_dot4c_i32_i8 v9, v142, v153
	v_dot4c_i32_i8 v9, v143, v157
	v_dot4c_i32_i8 v9, v144, v154
	v_dot4c_i32_i8 v9, v145, v158
	v_dot4c_i32_i8 v9, v146, v155
	v_dot4c_i32_i8 v9, v147, v159
	v_cvt_f32_i32_e32 v9, v9
	v_fma_mix_f32 v9, v9, v2, -v5 op_sel_hi:[0,1,0]
	v_fmac_f32_e32 v30, v139, v9
	v_mov_b32_e32 v9, 0
	v_dot4c_i32_i8 v9, v131, v152
	v_dot4c_i32_i8 v9, v132, v156
	v_dot4c_i32_i8 v9, v133, v153
	v_dot4c_i32_i8 v9, v134, v157
	v_dot4c_i32_i8 v9, v135, v154
	v_dot4c_i32_i8 v9, v136, v158
	v_dot4c_i32_i8 v9, v137, v155
	v_dot4c_i32_i8 v9, v138, v159
	v_cvt_f32_i32_e32 v9, v9
	v_fma_mix_f32 v9, v9, v2, -v5 op_sel_hi:[0,1,0]
	v_fmac_f32_e32 v29, v130, v9
	v_mov_b32_e32 v9, 0
	v_dot4c_i32_i8 v9, v122, v152
	v_dot4c_i32_i8 v9, v123, v156
	v_dot4c_i32_i8 v9, v124, v153
	v_dot4c_i32_i8 v9, v125, v157
	v_dot4c_i32_i8 v9, v126, v154
	v_dot4c_i32_i8 v9, v127, v158
	v_dot4c_i32_i8 v9, v128, v155
	v_dot4c_i32_i8 v9, v129, v159
	v_cvt_f32_i32_e32 v9, v9
	v_fma_mix_f32 v9, v9, v2, -v5 op_sel_hi:[0,1,0]
	v_fmac_f32_e32 v28, v121, v9
	v_mov_b32_e32 v9, 0
	v_dot4c_i32_i8 v9, v150, v152
	v_dot4c_i32_i8 v9, v149, v156
	v_dot4c_i32_i8 v9, v148, v153
	v_dot4c_i32_i8 v9, v6, v157
	;; [unrolled: 1-line block ×6, first 2 shown]
	ds_read_b128 v[152:155], v114 offset:5120
	ds_read_b128 v[156:159], v114 offset:5136
	v_cvt_f32_i32_e32 v9, v9
	v_fma_mix_f32 v2, v9, v2, -v5 op_sel_hi:[0,1,0]
	v_mov_b32_e32 v5, 0
	v_mov_b32_e32 v9, 0
	v_fmac_f32_e32 v27, v120, v2
	v_cvt_f32_f16_sdwa v2, v3 dst_sel:DWORD dst_unused:UNUSED_PAD src0_sel:WORD_1
	s_waitcnt lgkmcnt(1)
	v_dot4c_i32_i8 v5, v140, v152
	v_mul_f32_e32 v2, 0x41000000, v2
	s_waitcnt lgkmcnt(0)
	v_dot4c_i32_i8 v5, v141, v156
	v_dot4c_i32_i8 v5, v142, v153
	v_dot4c_i32_i8 v5, v143, v157
	v_dot4c_i32_i8 v5, v144, v154
	v_dot4c_i32_i8 v5, v145, v158
	v_dot4c_i32_i8 v5, v146, v155
	v_dot4c_i32_i8 v5, v147, v159
	v_cvt_f32_i32_e32 v5, v5
	v_fma_mix_f32 v5, v5, v3, -v2 op_sel_hi:[0,1,0]
	v_fmac_f32_e32 v26, v139, v5
	v_mov_b32_e32 v5, 0
	v_dot4c_i32_i8 v5, v131, v152
	v_dot4c_i32_i8 v5, v132, v156
	v_dot4c_i32_i8 v5, v133, v153
	v_dot4c_i32_i8 v5, v134, v157
	v_dot4c_i32_i8 v5, v135, v154
	v_dot4c_i32_i8 v5, v136, v158
	v_dot4c_i32_i8 v5, v137, v155
	v_dot4c_i32_i8 v5, v138, v159
	v_cvt_f32_i32_e32 v5, v5
	v_fma_mix_f32 v5, v5, v3, -v2 op_sel_hi:[0,1,0]
	v_fmac_f32_e32 v25, v130, v5
	v_mov_b32_e32 v5, 0
	v_dot4c_i32_i8 v5, v122, v152
	;; [unrolled: 12-line block ×3, first 2 shown]
	v_dot4c_i32_i8 v5, v149, v156
	v_dot4c_i32_i8 v5, v148, v153
	;; [unrolled: 1-line block ×7, first 2 shown]
	v_cvt_f32_i32_e32 v5, v5
	v_fma_mix_f32 v2, v5, v3, -v2 op_sel_hi:[0,1,0]
	v_fmac_f32_e32 v23, v120, v2
	ds_read_b128 v[152:155], v114 offset:6144
	ds_read_b128 v[156:159], v114 offset:6160
	ds_read2_b32 v[2:3], v113 offset0:192 offset1:224
	v_add_nc_u32_e32 v113, 4, v113
	s_waitcnt lgkmcnt(2)
	v_dot4c_i32_i8 v9, v140, v152
	s_waitcnt lgkmcnt(0)
	v_cvt_f32_f16_sdwa v5, v2 dst_sel:DWORD dst_unused:UNUSED_PAD src0_sel:WORD_1
	v_dot4c_i32_i8 v9, v141, v156
	v_mul_f32_e32 v5, 0x41000000, v5
	v_dot4c_i32_i8 v9, v142, v153
	v_dot4c_i32_i8 v9, v143, v157
	v_dot4c_i32_i8 v9, v144, v154
	v_dot4c_i32_i8 v9, v145, v158
	v_dot4c_i32_i8 v9, v146, v155
	v_dot4c_i32_i8 v9, v147, v159
	v_cvt_f32_i32_e32 v9, v9
	v_fma_mix_f32 v9, v9, v2, -v5 op_sel_hi:[0,1,0]
	v_fmac_f32_e32 v22, v139, v9
	v_mov_b32_e32 v9, 0
	v_dot4c_i32_i8 v9, v131, v152
	v_dot4c_i32_i8 v9, v132, v156
	v_dot4c_i32_i8 v9, v133, v153
	v_dot4c_i32_i8 v9, v134, v157
	v_dot4c_i32_i8 v9, v135, v154
	v_dot4c_i32_i8 v9, v136, v158
	v_dot4c_i32_i8 v9, v137, v155
	v_dot4c_i32_i8 v9, v138, v159
	v_cvt_f32_i32_e32 v9, v9
	v_fma_mix_f32 v9, v9, v2, -v5 op_sel_hi:[0,1,0]
	v_fmac_f32_e32 v21, v130, v9
	v_mov_b32_e32 v9, 0
	v_dot4c_i32_i8 v9, v122, v152
	v_dot4c_i32_i8 v9, v123, v156
	;; [unrolled: 12-line block ×3, first 2 shown]
	v_dot4c_i32_i8 v9, v148, v153
	v_dot4c_i32_i8 v9, v6, v157
	;; [unrolled: 1-line block ×6, first 2 shown]
	ds_read_b128 v[152:155], v114 offset:7168
	ds_read_b128 v[156:159], v114 offset:7184
	v_add_nc_u32_e32 v114, 32, v114
	v_cvt_f32_i32_e32 v9, v9
	v_fma_mix_f32 v2, v9, v2, -v5 op_sel_hi:[0,1,0]
	v_mov_b32_e32 v5, 0
	v_fmac_f32_e32 v19, v120, v2
	v_cvt_f32_f16_sdwa v2, v3 dst_sel:DWORD dst_unused:UNUSED_PAD src0_sel:WORD_1
	s_waitcnt lgkmcnt(1)
	v_dot4c_i32_i8 v5, v140, v152
	v_mul_f32_e32 v2, 0x41000000, v2
	s_waitcnt lgkmcnt(0)
	v_dot4c_i32_i8 v5, v141, v156
	v_dot4c_i32_i8 v5, v142, v153
	v_dot4c_i32_i8 v5, v143, v157
	v_dot4c_i32_i8 v5, v144, v154
	v_dot4c_i32_i8 v5, v145, v158
	v_dot4c_i32_i8 v5, v146, v155
	v_dot4c_i32_i8 v5, v147, v159
	v_cvt_f32_i32_e32 v5, v5
	v_fma_mix_f32 v5, v5, v3, -v2 op_sel_hi:[0,1,0]
	v_fmac_f32_e32 v18, v139, v5
	v_mov_b32_e32 v5, 0
	v_dot4c_i32_i8 v5, v131, v152
	v_dot4c_i32_i8 v5, v132, v156
	v_dot4c_i32_i8 v5, v133, v153
	v_dot4c_i32_i8 v5, v134, v157
	v_dot4c_i32_i8 v5, v135, v154
	v_dot4c_i32_i8 v5, v136, v158
	v_dot4c_i32_i8 v5, v137, v155
	v_dot4c_i32_i8 v5, v138, v159
	v_cvt_f32_i32_e32 v5, v5
	v_fma_mix_f32 v5, v5, v3, -v2 op_sel_hi:[0,1,0]
	v_fmac_f32_e32 v17, v130, v5
	v_mov_b32_e32 v5, 0
	v_dot4c_i32_i8 v5, v122, v152
	;; [unrolled: 12-line block ×3, first 2 shown]
	v_dot4c_i32_i8 v5, v149, v156
	v_dot4c_i32_i8 v5, v148, v153
	;; [unrolled: 1-line block ×7, first 2 shown]
	v_cvt_f32_i32_e32 v4, v5
	v_fma_mix_f32 v2, v4, v3, -v2 op_sel_hi:[0,1,0]
	v_fmac_f32_e32 v15, v120, v2
	s_cbranch_scc1 .LBB157_11
; %bb.12:                               ;   in Loop: Header=BB157_6 Depth=1
	s_barrier
	buffer_gl0_inv
	s_branch .LBB157_5
.LBB157_13:
	v_mov_b32_e32 v2, v35
.LBB157_14:
	s_mov_b32 s0, exec_lo
	v_cmpx_gt_u32_e64 s8, v2
	s_cbranch_execz .LBB157_65
; %bb.15:
	v_add_nc_u32_e32 v0, s6, v0
	v_mul_lo_u32 v5, v2, s10
	v_cmp_gt_u32_e64 s0, s10, v0
	s_and_saveexec_b32 s1, s0
	s_cbranch_execz .LBB157_17
; %bb.16:
	v_add_nc_u32_e32 v2, v0, v5
	v_mov_b32_e32 v3, 0
	v_bfe_u32 v4, v36, 16, 1
	v_cmp_o_f32_e32 vcc_lo, v36, v36
	v_mov_b32_e32 v6, 0x7fc0
	v_lshlrev_b64 v[2:3], 1, v[2:3]
	v_add3_u32 v4, v36, v4, 0x7fff
	v_cndmask_b32_sdwa v4, v6, v4, vcc_lo dst_sel:DWORD dst_unused:UNUSED_PAD src0_sel:DWORD src1_sel:WORD_1
	s_waitcnt lgkmcnt(0)
	v_add_co_u32 v2, vcc_lo, s12, v2
	v_add_co_ci_u32_e64 v3, null, s13, v3, vcc_lo
	global_store_short v[2:3], v4, off
.LBB157_17:
	s_or_b32 exec_lo, exec_lo, s1
	v_add_nc_u32_e32 v2, 32, v0
	v_cmp_gt_u32_e64 s1, s10, v2
	s_and_saveexec_b32 s2, s1
	s_cbranch_execz .LBB157_19
; %bb.18:
	v_add_nc_u32_e32 v3, v2, v5
	v_mov_b32_e32 v4, 0
	v_bfe_u32 v6, v58, 16, 1
	v_cmp_o_f32_e32 vcc_lo, v58, v58
	v_mov_b32_e32 v7, 0x7fc0
	v_lshlrev_b64 v[3:4], 1, v[3:4]
	v_add3_u32 v6, v58, v6, 0x7fff
	v_cndmask_b32_sdwa v6, v7, v6, vcc_lo dst_sel:DWORD dst_unused:UNUSED_PAD src0_sel:DWORD src1_sel:WORD_1
	s_waitcnt lgkmcnt(0)
	v_add_co_u32 v3, vcc_lo, s12, v3
	v_add_co_ci_u32_e64 v4, null, s13, v4, vcc_lo
	global_store_short v[3:4], v6, off
.LBB157_19:
	s_or_b32 exec_lo, exec_lo, s2
	v_add_nc_u32_e32 v3, 64, v0
	;; [unrolled: 19-line block ×3, first 2 shown]
	v_cmp_gt_u32_e64 s3, s10, v4
	s_and_saveexec_b32 s4, s3
	s_cbranch_execz .LBB157_23
; %bb.22:
	v_add_nc_u32_e32 v5, v4, v5
	v_mov_b32_e32 v6, 0
	v_bfe_u32 v7, v53, 16, 1
	v_cmp_o_f32_e32 vcc_lo, v53, v53
	v_mov_b32_e32 v8, 0x7fc0
	v_lshlrev_b64 v[5:6], 1, v[5:6]
	v_add3_u32 v7, v53, v7, 0x7fff
	v_cndmask_b32_sdwa v7, v8, v7, vcc_lo dst_sel:DWORD dst_unused:UNUSED_PAD src0_sel:DWORD src1_sel:WORD_1
	s_waitcnt lgkmcnt(0)
	v_add_co_u32 v5, vcc_lo, s12, v5
	v_add_co_ci_u32_e64 v6, null, s13, v6, vcc_lo
	global_store_short v[5:6], v7, off
.LBB157_23:
	s_or_b32 exec_lo, exec_lo, s4
	v_add3_u32 v5, v1, s7, 8
	v_cmp_gt_u32_e32 vcc_lo, s8, v5
	s_and_b32 exec_lo, exec_lo, vcc_lo
	s_cbranch_execz .LBB157_65
; %bb.24:
	v_mul_lo_u32 v5, v5, s10
	s_and_saveexec_b32 s4, s0
	s_cbranch_execnz .LBB157_66
; %bb.25:
	s_or_b32 exec_lo, exec_lo, s4
	s_and_saveexec_b32 s4, s1
	s_cbranch_execnz .LBB157_67
.LBB157_26:
	s_or_b32 exec_lo, exec_lo, s4
	s_and_saveexec_b32 s4, s2
	s_cbranch_execnz .LBB157_68
.LBB157_27:
	s_or_b32 exec_lo, exec_lo, s4
	s_and_saveexec_b32 s4, s3
	s_cbranch_execz .LBB157_29
.LBB157_28:
	v_add_nc_u32_e32 v5, v5, v4
	v_mov_b32_e32 v6, 0
	v_bfe_u32 v7, v42, 16, 1
	v_cmp_o_f32_e32 vcc_lo, v42, v42
	v_mov_b32_e32 v8, 0x7fc0
	v_lshlrev_b64 v[5:6], 1, v[5:6]
	v_add3_u32 v7, v42, v7, 0x7fff
	v_cndmask_b32_sdwa v7, v8, v7, vcc_lo dst_sel:DWORD dst_unused:UNUSED_PAD src0_sel:DWORD src1_sel:WORD_1
	s_waitcnt lgkmcnt(0)
	v_add_co_u32 v5, vcc_lo, s12, v5
	v_add_co_ci_u32_e64 v6, null, s13, v6, vcc_lo
	global_store_short v[5:6], v7, off
.LBB157_29:
	s_or_b32 exec_lo, exec_lo, s4
	v_add3_u32 v5, v1, s7, 16
	v_cmp_gt_u32_e32 vcc_lo, s8, v5
	s_and_b32 exec_lo, exec_lo, vcc_lo
	s_cbranch_execz .LBB157_65
; %bb.30:
	v_mul_lo_u32 v5, v5, s10
	s_and_saveexec_b32 s4, s0
	s_cbranch_execnz .LBB157_69
; %bb.31:
	s_or_b32 exec_lo, exec_lo, s4
	s_and_saveexec_b32 s4, s1
	s_cbranch_execnz .LBB157_70
.LBB157_32:
	s_or_b32 exec_lo, exec_lo, s4
	s_and_saveexec_b32 s4, s2
	s_cbranch_execnz .LBB157_71
.LBB157_33:
	s_or_b32 exec_lo, exec_lo, s4
	s_and_saveexec_b32 s4, s3
	s_cbranch_execz .LBB157_35
.LBB157_34:
	v_add_nc_u32_e32 v5, v5, v4
	v_mov_b32_e32 v6, 0
	v_bfe_u32 v7, v37, 16, 1
	v_cmp_o_f32_e32 vcc_lo, v37, v37
	v_mov_b32_e32 v8, 0x7fc0
	v_lshlrev_b64 v[5:6], 1, v[5:6]
	v_add3_u32 v7, v37, v7, 0x7fff
	v_cndmask_b32_sdwa v7, v8, v7, vcc_lo dst_sel:DWORD dst_unused:UNUSED_PAD src0_sel:DWORD src1_sel:WORD_1
	s_waitcnt lgkmcnt(0)
	v_add_co_u32 v5, vcc_lo, s12, v5
	v_add_co_ci_u32_e64 v6, null, s13, v6, vcc_lo
	global_store_short v[5:6], v7, off
.LBB157_35:
	s_or_b32 exec_lo, exec_lo, s4
	v_add3_u32 v5, v1, s7, 24
	v_cmp_gt_u32_e32 vcc_lo, s8, v5
	s_and_b32 exec_lo, exec_lo, vcc_lo
	s_cbranch_execz .LBB157_65
; %bb.36:
	v_mul_lo_u32 v5, v5, s10
	s_and_saveexec_b32 s4, s0
	s_cbranch_execnz .LBB157_72
; %bb.37:
	s_or_b32 exec_lo, exec_lo, s4
	s_and_saveexec_b32 s4, s1
	s_cbranch_execnz .LBB157_73
.LBB157_38:
	s_or_b32 exec_lo, exec_lo, s4
	s_and_saveexec_b32 s4, s2
	s_cbranch_execnz .LBB157_74
.LBB157_39:
	s_or_b32 exec_lo, exec_lo, s4
	s_and_saveexec_b32 s4, s3
	s_cbranch_execz .LBB157_41
.LBB157_40:
	v_add_nc_u32_e32 v5, v5, v4
	v_mov_b32_e32 v6, 0
	v_bfe_u32 v7, v31, 16, 1
	v_cmp_o_f32_e32 vcc_lo, v31, v31
	v_mov_b32_e32 v8, 0x7fc0
	v_lshlrev_b64 v[5:6], 1, v[5:6]
	v_add3_u32 v7, v31, v7, 0x7fff
	v_cndmask_b32_sdwa v7, v8, v7, vcc_lo dst_sel:DWORD dst_unused:UNUSED_PAD src0_sel:DWORD src1_sel:WORD_1
	s_waitcnt lgkmcnt(0)
	v_add_co_u32 v5, vcc_lo, s12, v5
	v_add_co_ci_u32_e64 v6, null, s13, v6, vcc_lo
	global_store_short v[5:6], v7, off
.LBB157_41:
	s_or_b32 exec_lo, exec_lo, s4
	v_add3_u32 v5, v1, s7, 32
	v_cmp_gt_u32_e32 vcc_lo, s8, v5
	s_and_b32 exec_lo, exec_lo, vcc_lo
	s_cbranch_execz .LBB157_65
; %bb.42:
	v_mul_lo_u32 v5, v5, s10
	s_and_saveexec_b32 s4, s0
	s_cbranch_execnz .LBB157_75
; %bb.43:
	s_or_b32 exec_lo, exec_lo, s4
	s_and_saveexec_b32 s4, s1
	s_cbranch_execnz .LBB157_76
.LBB157_44:
	s_or_b32 exec_lo, exec_lo, s4
	s_and_saveexec_b32 s4, s2
	s_cbranch_execnz .LBB157_77
.LBB157_45:
	s_or_b32 exec_lo, exec_lo, s4
	s_and_saveexec_b32 s4, s3
	s_cbranch_execz .LBB157_47
.LBB157_46:
	v_add_nc_u32_e32 v5, v5, v4
	v_mov_b32_e32 v6, 0
	v_bfe_u32 v7, v27, 16, 1
	v_cmp_o_f32_e32 vcc_lo, v27, v27
	v_mov_b32_e32 v8, 0x7fc0
	v_lshlrev_b64 v[5:6], 1, v[5:6]
	v_add3_u32 v7, v27, v7, 0x7fff
	v_cndmask_b32_sdwa v7, v8, v7, vcc_lo dst_sel:DWORD dst_unused:UNUSED_PAD src0_sel:DWORD src1_sel:WORD_1
	s_waitcnt lgkmcnt(0)
	v_add_co_u32 v5, vcc_lo, s12, v5
	v_add_co_ci_u32_e64 v6, null, s13, v6, vcc_lo
	global_store_short v[5:6], v7, off
.LBB157_47:
	s_or_b32 exec_lo, exec_lo, s4
	v_add3_u32 v5, v1, s7, 40
	v_cmp_gt_u32_e32 vcc_lo, s8, v5
	s_and_b32 exec_lo, exec_lo, vcc_lo
	s_cbranch_execz .LBB157_65
; %bb.48:
	v_mul_lo_u32 v5, v5, s10
	s_and_saveexec_b32 s4, s0
	s_cbranch_execnz .LBB157_78
; %bb.49:
	s_or_b32 exec_lo, exec_lo, s4
	s_and_saveexec_b32 s4, s1
	s_cbranch_execnz .LBB157_79
.LBB157_50:
	s_or_b32 exec_lo, exec_lo, s4
	s_and_saveexec_b32 s4, s2
	s_cbranch_execnz .LBB157_80
.LBB157_51:
	s_or_b32 exec_lo, exec_lo, s4
	s_and_saveexec_b32 s4, s3
	s_cbranch_execz .LBB157_53
.LBB157_52:
	v_add_nc_u32_e32 v5, v5, v4
	v_mov_b32_e32 v6, 0
	v_bfe_u32 v7, v23, 16, 1
	v_cmp_o_f32_e32 vcc_lo, v23, v23
	v_mov_b32_e32 v8, 0x7fc0
	v_lshlrev_b64 v[5:6], 1, v[5:6]
	v_add3_u32 v7, v23, v7, 0x7fff
	v_cndmask_b32_sdwa v7, v8, v7, vcc_lo dst_sel:DWORD dst_unused:UNUSED_PAD src0_sel:DWORD src1_sel:WORD_1
	s_waitcnt lgkmcnt(0)
	v_add_co_u32 v5, vcc_lo, s12, v5
	v_add_co_ci_u32_e64 v6, null, s13, v6, vcc_lo
	global_store_short v[5:6], v7, off
.LBB157_53:
	s_or_b32 exec_lo, exec_lo, s4
	v_add3_u32 v5, v1, s7, 48
	v_cmp_gt_u32_e32 vcc_lo, s8, v5
	s_and_b32 exec_lo, exec_lo, vcc_lo
	s_cbranch_execz .LBB157_65
; %bb.54:
	v_mul_lo_u32 v5, v5, s10
	s_and_saveexec_b32 s4, s0
	s_cbranch_execnz .LBB157_81
; %bb.55:
	s_or_b32 exec_lo, exec_lo, s4
	s_and_saveexec_b32 s4, s1
	s_cbranch_execnz .LBB157_82
.LBB157_56:
	s_or_b32 exec_lo, exec_lo, s4
	s_and_saveexec_b32 s4, s2
	s_cbranch_execnz .LBB157_83
.LBB157_57:
	s_or_b32 exec_lo, exec_lo, s4
	s_and_saveexec_b32 s4, s3
	s_cbranch_execz .LBB157_59
.LBB157_58:
	v_add_nc_u32_e32 v5, v5, v4
	v_mov_b32_e32 v6, 0
	v_bfe_u32 v7, v19, 16, 1
	v_cmp_o_f32_e32 vcc_lo, v19, v19
	v_mov_b32_e32 v8, 0x7fc0
	v_lshlrev_b64 v[5:6], 1, v[5:6]
	v_add3_u32 v7, v19, v7, 0x7fff
	v_cndmask_b32_sdwa v7, v8, v7, vcc_lo dst_sel:DWORD dst_unused:UNUSED_PAD src0_sel:DWORD src1_sel:WORD_1
	s_waitcnt lgkmcnt(0)
	v_add_co_u32 v5, vcc_lo, s12, v5
	v_add_co_ci_u32_e64 v6, null, s13, v6, vcc_lo
	global_store_short v[5:6], v7, off
.LBB157_59:
	s_or_b32 exec_lo, exec_lo, s4
	v_add3_u32 v1, v1, s7, 56
	v_cmp_gt_u32_e32 vcc_lo, s8, v1
	s_and_b32 exec_lo, exec_lo, vcc_lo
	s_cbranch_execz .LBB157_65
; %bb.60:
	v_mul_lo_u32 v1, v1, s10
	s_and_saveexec_b32 s4, s0
	s_cbranch_execnz .LBB157_84
; %bb.61:
	s_or_b32 exec_lo, exec_lo, s4
	s_and_saveexec_b32 s0, s1
	s_cbranch_execnz .LBB157_85
.LBB157_62:
	s_or_b32 exec_lo, exec_lo, s0
	s_and_saveexec_b32 s0, s2
	s_cbranch_execnz .LBB157_86
.LBB157_63:
	s_or_b32 exec_lo, exec_lo, s0
	s_and_b32 exec_lo, exec_lo, s3
	s_cbranch_execz .LBB157_65
.LBB157_64:
	v_add_nc_u32_e32 v0, v1, v4
	v_mov_b32_e32 v1, 0
	v_bfe_u32 v2, v15, 16, 1
	v_cmp_o_f32_e32 vcc_lo, v15, v15
	v_mov_b32_e32 v3, 0x7fc0
	v_lshlrev_b64 v[0:1], 1, v[0:1]
	v_add3_u32 v2, v15, v2, 0x7fff
	v_cndmask_b32_sdwa v2, v3, v2, vcc_lo dst_sel:DWORD dst_unused:UNUSED_PAD src0_sel:DWORD src1_sel:WORD_1
	s_waitcnt lgkmcnt(0)
	v_add_co_u32 v0, vcc_lo, s12, v0
	v_add_co_ci_u32_e64 v1, null, s13, v1, vcc_lo
	global_store_short v[0:1], v2, off
.LBB157_65:
	s_endpgm
.LBB157_66:
	v_add_nc_u32_e32 v6, v5, v0
	v_mov_b32_e32 v7, 0
	v_bfe_u32 v8, v49, 16, 1
	v_cmp_o_f32_e32 vcc_lo, v49, v49
	v_mov_b32_e32 v9, 0x7fc0
	v_lshlrev_b64 v[6:7], 1, v[6:7]
	v_add3_u32 v8, v49, v8, 0x7fff
	v_cndmask_b32_sdwa v8, v9, v8, vcc_lo dst_sel:DWORD dst_unused:UNUSED_PAD src0_sel:DWORD src1_sel:WORD_1
	s_waitcnt lgkmcnt(0)
	v_add_co_u32 v6, vcc_lo, s12, v6
	v_add_co_ci_u32_e64 v7, null, s13, v7, vcc_lo
	global_store_short v[6:7], v8, off
	s_or_b32 exec_lo, exec_lo, s4
	s_and_saveexec_b32 s4, s1
	s_cbranch_execz .LBB157_26
.LBB157_67:
	v_add_nc_u32_e32 v6, v5, v2
	v_mov_b32_e32 v7, 0
	v_bfe_u32 v8, v46, 16, 1
	v_cmp_o_f32_e32 vcc_lo, v46, v46
	v_mov_b32_e32 v9, 0x7fc0
	v_lshlrev_b64 v[6:7], 1, v[6:7]
	v_add3_u32 v8, v46, v8, 0x7fff
	v_cndmask_b32_sdwa v8, v9, v8, vcc_lo dst_sel:DWORD dst_unused:UNUSED_PAD src0_sel:DWORD src1_sel:WORD_1
	s_waitcnt lgkmcnt(0)
	v_add_co_u32 v6, vcc_lo, s12, v6
	v_add_co_ci_u32_e64 v7, null, s13, v7, vcc_lo
	global_store_short v[6:7], v8, off
	s_or_b32 exec_lo, exec_lo, s4
	s_and_saveexec_b32 s4, s2
	s_cbranch_execz .LBB157_27
.LBB157_68:
	v_add_nc_u32_e32 v6, v5, v3
	v_mov_b32_e32 v7, 0
	v_bfe_u32 v8, v45, 16, 1
	v_cmp_o_f32_e32 vcc_lo, v45, v45
	v_mov_b32_e32 v9, 0x7fc0
	v_lshlrev_b64 v[6:7], 1, v[6:7]
	v_add3_u32 v8, v45, v8, 0x7fff
	v_cndmask_b32_sdwa v8, v9, v8, vcc_lo dst_sel:DWORD dst_unused:UNUSED_PAD src0_sel:DWORD src1_sel:WORD_1
	s_waitcnt lgkmcnt(0)
	v_add_co_u32 v6, vcc_lo, s12, v6
	v_add_co_ci_u32_e64 v7, null, s13, v7, vcc_lo
	global_store_short v[6:7], v8, off
	s_or_b32 exec_lo, exec_lo, s4
	s_and_saveexec_b32 s4, s3
	s_cbranch_execnz .LBB157_28
	s_branch .LBB157_29
.LBB157_69:
	v_add_nc_u32_e32 v6, v5, v0
	v_mov_b32_e32 v7, 0
	v_bfe_u32 v8, v40, 16, 1
	v_cmp_o_f32_e32 vcc_lo, v40, v40
	v_mov_b32_e32 v9, 0x7fc0
	v_lshlrev_b64 v[6:7], 1, v[6:7]
	v_add3_u32 v8, v40, v8, 0x7fff
	v_cndmask_b32_sdwa v8, v9, v8, vcc_lo dst_sel:DWORD dst_unused:UNUSED_PAD src0_sel:DWORD src1_sel:WORD_1
	s_waitcnt lgkmcnt(0)
	v_add_co_u32 v6, vcc_lo, s12, v6
	v_add_co_ci_u32_e64 v7, null, s13, v7, vcc_lo
	global_store_short v[6:7], v8, off
	s_or_b32 exec_lo, exec_lo, s4
	s_and_saveexec_b32 s4, s1
	s_cbranch_execz .LBB157_32
.LBB157_70:
	v_add_nc_u32_e32 v6, v5, v2
	v_mov_b32_e32 v7, 0
	v_bfe_u32 v8, v39, 16, 1
	v_cmp_o_f32_e32 vcc_lo, v39, v39
	v_mov_b32_e32 v9, 0x7fc0
	v_lshlrev_b64 v[6:7], 1, v[6:7]
	v_add3_u32 v8, v39, v8, 0x7fff
	v_cndmask_b32_sdwa v8, v9, v8, vcc_lo dst_sel:DWORD dst_unused:UNUSED_PAD src0_sel:DWORD src1_sel:WORD_1
	s_waitcnt lgkmcnt(0)
	v_add_co_u32 v6, vcc_lo, s12, v6
	v_add_co_ci_u32_e64 v7, null, s13, v7, vcc_lo
	global_store_short v[6:7], v8, off
	s_or_b32 exec_lo, exec_lo, s4
	s_and_saveexec_b32 s4, s2
	s_cbranch_execz .LBB157_33
.LBB157_71:
	v_add_nc_u32_e32 v6, v5, v3
	v_mov_b32_e32 v7, 0
	v_bfe_u32 v8, v38, 16, 1
	v_cmp_o_f32_e32 vcc_lo, v38, v38
	v_mov_b32_e32 v9, 0x7fc0
	v_lshlrev_b64 v[6:7], 1, v[6:7]
	v_add3_u32 v8, v38, v8, 0x7fff
	v_cndmask_b32_sdwa v8, v9, v8, vcc_lo dst_sel:DWORD dst_unused:UNUSED_PAD src0_sel:DWORD src1_sel:WORD_1
	s_waitcnt lgkmcnt(0)
	v_add_co_u32 v6, vcc_lo, s12, v6
	v_add_co_ci_u32_e64 v7, null, s13, v7, vcc_lo
	global_store_short v[6:7], v8, off
	s_or_b32 exec_lo, exec_lo, s4
	s_and_saveexec_b32 s4, s3
	s_cbranch_execnz .LBB157_34
	s_branch .LBB157_35
.LBB157_72:
	v_add_nc_u32_e32 v6, v5, v0
	v_mov_b32_e32 v7, 0
	v_bfe_u32 v8, v34, 16, 1
	v_cmp_o_f32_e32 vcc_lo, v34, v34
	v_mov_b32_e32 v9, 0x7fc0
	v_lshlrev_b64 v[6:7], 1, v[6:7]
	v_add3_u32 v8, v34, v8, 0x7fff
	v_cndmask_b32_sdwa v8, v9, v8, vcc_lo dst_sel:DWORD dst_unused:UNUSED_PAD src0_sel:DWORD src1_sel:WORD_1
	s_waitcnt lgkmcnt(0)
	v_add_co_u32 v6, vcc_lo, s12, v6
	v_add_co_ci_u32_e64 v7, null, s13, v7, vcc_lo
	global_store_short v[6:7], v8, off
	s_or_b32 exec_lo, exec_lo, s4
	s_and_saveexec_b32 s4, s1
	s_cbranch_execz .LBB157_38
.LBB157_73:
	v_add_nc_u32_e32 v6, v5, v2
	v_mov_b32_e32 v7, 0
	v_bfe_u32 v8, v33, 16, 1
	v_cmp_o_f32_e32 vcc_lo, v33, v33
	v_mov_b32_e32 v9, 0x7fc0
	v_lshlrev_b64 v[6:7], 1, v[6:7]
	v_add3_u32 v8, v33, v8, 0x7fff
	v_cndmask_b32_sdwa v8, v9, v8, vcc_lo dst_sel:DWORD dst_unused:UNUSED_PAD src0_sel:DWORD src1_sel:WORD_1
	s_waitcnt lgkmcnt(0)
	v_add_co_u32 v6, vcc_lo, s12, v6
	v_add_co_ci_u32_e64 v7, null, s13, v7, vcc_lo
	global_store_short v[6:7], v8, off
	s_or_b32 exec_lo, exec_lo, s4
	s_and_saveexec_b32 s4, s2
	s_cbranch_execz .LBB157_39
.LBB157_74:
	v_add_nc_u32_e32 v6, v5, v3
	v_mov_b32_e32 v7, 0
	v_bfe_u32 v8, v32, 16, 1
	v_cmp_o_f32_e32 vcc_lo, v32, v32
	v_mov_b32_e32 v9, 0x7fc0
	v_lshlrev_b64 v[6:7], 1, v[6:7]
	v_add3_u32 v8, v32, v8, 0x7fff
	v_cndmask_b32_sdwa v8, v9, v8, vcc_lo dst_sel:DWORD dst_unused:UNUSED_PAD src0_sel:DWORD src1_sel:WORD_1
	s_waitcnt lgkmcnt(0)
	v_add_co_u32 v6, vcc_lo, s12, v6
	v_add_co_ci_u32_e64 v7, null, s13, v7, vcc_lo
	global_store_short v[6:7], v8, off
	s_or_b32 exec_lo, exec_lo, s4
	s_and_saveexec_b32 s4, s3
	s_cbranch_execnz .LBB157_40
	s_branch .LBB157_41
.LBB157_75:
	v_add_nc_u32_e32 v6, v5, v0
	v_mov_b32_e32 v7, 0
	v_bfe_u32 v8, v30, 16, 1
	v_cmp_o_f32_e32 vcc_lo, v30, v30
	v_mov_b32_e32 v9, 0x7fc0
	v_lshlrev_b64 v[6:7], 1, v[6:7]
	v_add3_u32 v8, v30, v8, 0x7fff
	v_cndmask_b32_sdwa v8, v9, v8, vcc_lo dst_sel:DWORD dst_unused:UNUSED_PAD src0_sel:DWORD src1_sel:WORD_1
	s_waitcnt lgkmcnt(0)
	v_add_co_u32 v6, vcc_lo, s12, v6
	v_add_co_ci_u32_e64 v7, null, s13, v7, vcc_lo
	global_store_short v[6:7], v8, off
	s_or_b32 exec_lo, exec_lo, s4
	s_and_saveexec_b32 s4, s1
	s_cbranch_execz .LBB157_44
.LBB157_76:
	v_add_nc_u32_e32 v6, v5, v2
	v_mov_b32_e32 v7, 0
	v_bfe_u32 v8, v29, 16, 1
	v_cmp_o_f32_e32 vcc_lo, v29, v29
	v_mov_b32_e32 v9, 0x7fc0
	v_lshlrev_b64 v[6:7], 1, v[6:7]
	v_add3_u32 v8, v29, v8, 0x7fff
	v_cndmask_b32_sdwa v8, v9, v8, vcc_lo dst_sel:DWORD dst_unused:UNUSED_PAD src0_sel:DWORD src1_sel:WORD_1
	s_waitcnt lgkmcnt(0)
	v_add_co_u32 v6, vcc_lo, s12, v6
	v_add_co_ci_u32_e64 v7, null, s13, v7, vcc_lo
	global_store_short v[6:7], v8, off
	s_or_b32 exec_lo, exec_lo, s4
	s_and_saveexec_b32 s4, s2
	s_cbranch_execz .LBB157_45
.LBB157_77:
	v_add_nc_u32_e32 v6, v5, v3
	v_mov_b32_e32 v7, 0
	v_bfe_u32 v8, v28, 16, 1
	v_cmp_o_f32_e32 vcc_lo, v28, v28
	v_mov_b32_e32 v9, 0x7fc0
	v_lshlrev_b64 v[6:7], 1, v[6:7]
	v_add3_u32 v8, v28, v8, 0x7fff
	v_cndmask_b32_sdwa v8, v9, v8, vcc_lo dst_sel:DWORD dst_unused:UNUSED_PAD src0_sel:DWORD src1_sel:WORD_1
	s_waitcnt lgkmcnt(0)
	v_add_co_u32 v6, vcc_lo, s12, v6
	v_add_co_ci_u32_e64 v7, null, s13, v7, vcc_lo
	global_store_short v[6:7], v8, off
	s_or_b32 exec_lo, exec_lo, s4
	s_and_saveexec_b32 s4, s3
	s_cbranch_execnz .LBB157_46
	s_branch .LBB157_47
.LBB157_78:
	v_add_nc_u32_e32 v6, v5, v0
	v_mov_b32_e32 v7, 0
	v_bfe_u32 v8, v26, 16, 1
	v_cmp_o_f32_e32 vcc_lo, v26, v26
	v_mov_b32_e32 v9, 0x7fc0
	v_lshlrev_b64 v[6:7], 1, v[6:7]
	v_add3_u32 v8, v26, v8, 0x7fff
	v_cndmask_b32_sdwa v8, v9, v8, vcc_lo dst_sel:DWORD dst_unused:UNUSED_PAD src0_sel:DWORD src1_sel:WORD_1
	s_waitcnt lgkmcnt(0)
	v_add_co_u32 v6, vcc_lo, s12, v6
	v_add_co_ci_u32_e64 v7, null, s13, v7, vcc_lo
	global_store_short v[6:7], v8, off
	s_or_b32 exec_lo, exec_lo, s4
	s_and_saveexec_b32 s4, s1
	s_cbranch_execz .LBB157_50
.LBB157_79:
	v_add_nc_u32_e32 v6, v5, v2
	v_mov_b32_e32 v7, 0
	v_bfe_u32 v8, v25, 16, 1
	v_cmp_o_f32_e32 vcc_lo, v25, v25
	v_mov_b32_e32 v9, 0x7fc0
	v_lshlrev_b64 v[6:7], 1, v[6:7]
	v_add3_u32 v8, v25, v8, 0x7fff
	v_cndmask_b32_sdwa v8, v9, v8, vcc_lo dst_sel:DWORD dst_unused:UNUSED_PAD src0_sel:DWORD src1_sel:WORD_1
	s_waitcnt lgkmcnt(0)
	v_add_co_u32 v6, vcc_lo, s12, v6
	v_add_co_ci_u32_e64 v7, null, s13, v7, vcc_lo
	global_store_short v[6:7], v8, off
	s_or_b32 exec_lo, exec_lo, s4
	s_and_saveexec_b32 s4, s2
	s_cbranch_execz .LBB157_51
.LBB157_80:
	v_add_nc_u32_e32 v6, v5, v3
	v_mov_b32_e32 v7, 0
	v_bfe_u32 v8, v24, 16, 1
	v_cmp_o_f32_e32 vcc_lo, v24, v24
	v_mov_b32_e32 v9, 0x7fc0
	v_lshlrev_b64 v[6:7], 1, v[6:7]
	v_add3_u32 v8, v24, v8, 0x7fff
	v_cndmask_b32_sdwa v8, v9, v8, vcc_lo dst_sel:DWORD dst_unused:UNUSED_PAD src0_sel:DWORD src1_sel:WORD_1
	s_waitcnt lgkmcnt(0)
	v_add_co_u32 v6, vcc_lo, s12, v6
	v_add_co_ci_u32_e64 v7, null, s13, v7, vcc_lo
	global_store_short v[6:7], v8, off
	s_or_b32 exec_lo, exec_lo, s4
	s_and_saveexec_b32 s4, s3
	s_cbranch_execnz .LBB157_52
	s_branch .LBB157_53
.LBB157_81:
	v_add_nc_u32_e32 v6, v5, v0
	v_mov_b32_e32 v7, 0
	v_bfe_u32 v8, v22, 16, 1
	v_cmp_o_f32_e32 vcc_lo, v22, v22
	v_mov_b32_e32 v9, 0x7fc0
	v_lshlrev_b64 v[6:7], 1, v[6:7]
	v_add3_u32 v8, v22, v8, 0x7fff
	v_cndmask_b32_sdwa v8, v9, v8, vcc_lo dst_sel:DWORD dst_unused:UNUSED_PAD src0_sel:DWORD src1_sel:WORD_1
	s_waitcnt lgkmcnt(0)
	v_add_co_u32 v6, vcc_lo, s12, v6
	v_add_co_ci_u32_e64 v7, null, s13, v7, vcc_lo
	global_store_short v[6:7], v8, off
	s_or_b32 exec_lo, exec_lo, s4
	s_and_saveexec_b32 s4, s1
	s_cbranch_execz .LBB157_56
.LBB157_82:
	v_add_nc_u32_e32 v6, v5, v2
	v_mov_b32_e32 v7, 0
	v_bfe_u32 v8, v21, 16, 1
	v_cmp_o_f32_e32 vcc_lo, v21, v21
	v_mov_b32_e32 v9, 0x7fc0
	v_lshlrev_b64 v[6:7], 1, v[6:7]
	v_add3_u32 v8, v21, v8, 0x7fff
	v_cndmask_b32_sdwa v8, v9, v8, vcc_lo dst_sel:DWORD dst_unused:UNUSED_PAD src0_sel:DWORD src1_sel:WORD_1
	s_waitcnt lgkmcnt(0)
	v_add_co_u32 v6, vcc_lo, s12, v6
	v_add_co_ci_u32_e64 v7, null, s13, v7, vcc_lo
	global_store_short v[6:7], v8, off
	s_or_b32 exec_lo, exec_lo, s4
	s_and_saveexec_b32 s4, s2
	s_cbranch_execz .LBB157_57
.LBB157_83:
	v_add_nc_u32_e32 v6, v5, v3
	v_mov_b32_e32 v7, 0
	v_bfe_u32 v8, v20, 16, 1
	v_cmp_o_f32_e32 vcc_lo, v20, v20
	v_mov_b32_e32 v9, 0x7fc0
	v_lshlrev_b64 v[6:7], 1, v[6:7]
	v_add3_u32 v8, v20, v8, 0x7fff
	v_cndmask_b32_sdwa v8, v9, v8, vcc_lo dst_sel:DWORD dst_unused:UNUSED_PAD src0_sel:DWORD src1_sel:WORD_1
	s_waitcnt lgkmcnt(0)
	v_add_co_u32 v6, vcc_lo, s12, v6
	v_add_co_ci_u32_e64 v7, null, s13, v7, vcc_lo
	global_store_short v[6:7], v8, off
	s_or_b32 exec_lo, exec_lo, s4
	s_and_saveexec_b32 s4, s3
	s_cbranch_execnz .LBB157_58
	s_branch .LBB157_59
.LBB157_84:
	v_add_nc_u32_e32 v5, v1, v0
	v_mov_b32_e32 v6, 0
	v_bfe_u32 v7, v18, 16, 1
	v_cmp_o_f32_e32 vcc_lo, v18, v18
	v_mov_b32_e32 v0, 0x7fc0
	v_lshlrev_b64 v[5:6], 1, v[5:6]
	v_add3_u32 v7, v18, v7, 0x7fff
	v_cndmask_b32_sdwa v0, v0, v7, vcc_lo dst_sel:DWORD dst_unused:UNUSED_PAD src0_sel:DWORD src1_sel:WORD_1
	s_waitcnt lgkmcnt(0)
	v_add_co_u32 v5, vcc_lo, s12, v5
	v_add_co_ci_u32_e64 v6, null, s13, v6, vcc_lo
	global_store_short v[5:6], v0, off
	s_or_b32 exec_lo, exec_lo, s4
	s_and_saveexec_b32 s0, s1
	s_cbranch_execz .LBB157_62
.LBB157_85:
	v_add_nc_u32_e32 v5, v1, v2
	v_mov_b32_e32 v6, 0
	v_bfe_u32 v0, v17, 16, 1
	v_cmp_o_f32_e32 vcc_lo, v17, v17
	v_mov_b32_e32 v2, 0x7fc0
	v_lshlrev_b64 v[5:6], 1, v[5:6]
	v_add3_u32 v0, v17, v0, 0x7fff
	v_cndmask_b32_sdwa v0, v2, v0, vcc_lo dst_sel:DWORD dst_unused:UNUSED_PAD src0_sel:DWORD src1_sel:WORD_1
	s_waitcnt lgkmcnt(0)
	v_add_co_u32 v5, vcc_lo, s12, v5
	v_add_co_ci_u32_e64 v6, null, s13, v6, vcc_lo
	global_store_short v[5:6], v0, off
	s_or_b32 exec_lo, exec_lo, s0
	s_and_saveexec_b32 s0, s2
	s_cbranch_execz .LBB157_63
.LBB157_86:
	v_add_nc_u32_e32 v2, v1, v3
	v_mov_b32_e32 v3, 0
	v_bfe_u32 v0, v16, 16, 1
	v_cmp_o_f32_e32 vcc_lo, v16, v16
	v_mov_b32_e32 v5, 0x7fc0
	v_lshlrev_b64 v[2:3], 1, v[2:3]
	v_add3_u32 v0, v16, v0, 0x7fff
	v_cndmask_b32_sdwa v0, v5, v0, vcc_lo dst_sel:DWORD dst_unused:UNUSED_PAD src0_sel:DWORD src1_sel:WORD_1
	s_waitcnt lgkmcnt(0)
	v_add_co_u32 v2, vcc_lo, s12, v2
	v_add_co_ci_u32_e64 v3, null, s13, v3, vcc_lo
	global_store_short v[2:3], v0, off
	s_or_b32 exec_lo, exec_lo, s0
	s_and_b32 exec_lo, exec_lo, s3
	s_cbranch_execnz .LBB157_64
	s_branch .LBB157_65
	.section	.rodata,"a",@progbits
	.p2align	6, 0x0
	.amdhsa_kernel _ZL12mul_mat_q4_0IN3c108BFloat16ELb0EEvPKvS3_PT_iiiii
		.amdhsa_group_segment_fixed_size 30336
		.amdhsa_private_segment_fixed_size 0
		.amdhsa_kernarg_size 44
		.amdhsa_user_sgpr_count 6
		.amdhsa_user_sgpr_private_segment_buffer 1
		.amdhsa_user_sgpr_dispatch_ptr 0
		.amdhsa_user_sgpr_queue_ptr 0
		.amdhsa_user_sgpr_kernarg_segment_ptr 1
		.amdhsa_user_sgpr_dispatch_id 0
		.amdhsa_user_sgpr_flat_scratch_init 0
		.amdhsa_user_sgpr_private_segment_size 0
		.amdhsa_wavefront_size32 1
		.amdhsa_uses_dynamic_stack 0
		.amdhsa_system_sgpr_private_segment_wavefront_offset 0
		.amdhsa_system_sgpr_workgroup_id_x 1
		.amdhsa_system_sgpr_workgroup_id_y 1
		.amdhsa_system_sgpr_workgroup_id_z 0
		.amdhsa_system_sgpr_workgroup_info 0
		.amdhsa_system_vgpr_workitem_id 1
		.amdhsa_next_free_vgpr 163
		.amdhsa_next_free_sgpr 15
		.amdhsa_reserve_vcc 1
		.amdhsa_reserve_flat_scratch 0
		.amdhsa_float_round_mode_32 0
		.amdhsa_float_round_mode_16_64 0
		.amdhsa_float_denorm_mode_32 3
		.amdhsa_float_denorm_mode_16_64 3
		.amdhsa_dx10_clamp 1
		.amdhsa_ieee_mode 1
		.amdhsa_fp16_overflow 0
		.amdhsa_workgroup_processor_mode 1
		.amdhsa_memory_ordered 1
		.amdhsa_forward_progress 1
		.amdhsa_shared_vgpr_count 0
		.amdhsa_exception_fp_ieee_invalid_op 0
		.amdhsa_exception_fp_denorm_src 0
		.amdhsa_exception_fp_ieee_div_zero 0
		.amdhsa_exception_fp_ieee_overflow 0
		.amdhsa_exception_fp_ieee_underflow 0
		.amdhsa_exception_fp_ieee_inexact 0
		.amdhsa_exception_int_div_zero 0
	.end_amdhsa_kernel
	.section	.text._ZL12mul_mat_q4_0IN3c108BFloat16ELb0EEvPKvS3_PT_iiiii,"axG",@progbits,_ZL12mul_mat_q4_0IN3c108BFloat16ELb0EEvPKvS3_PT_iiiii,comdat
.Lfunc_end157:
	.size	_ZL12mul_mat_q4_0IN3c108BFloat16ELb0EEvPKvS3_PT_iiiii, .Lfunc_end157-_ZL12mul_mat_q4_0IN3c108BFloat16ELb0EEvPKvS3_PT_iiiii
                                        ; -- End function
	.set _ZL12mul_mat_q4_0IN3c108BFloat16ELb0EEvPKvS3_PT_iiiii.num_vgpr, 163
	.set _ZL12mul_mat_q4_0IN3c108BFloat16ELb0EEvPKvS3_PT_iiiii.num_agpr, 0
	.set _ZL12mul_mat_q4_0IN3c108BFloat16ELb0EEvPKvS3_PT_iiiii.numbered_sgpr, 15
	.set _ZL12mul_mat_q4_0IN3c108BFloat16ELb0EEvPKvS3_PT_iiiii.num_named_barrier, 0
	.set _ZL12mul_mat_q4_0IN3c108BFloat16ELb0EEvPKvS3_PT_iiiii.private_seg_size, 0
	.set _ZL12mul_mat_q4_0IN3c108BFloat16ELb0EEvPKvS3_PT_iiiii.uses_vcc, 1
	.set _ZL12mul_mat_q4_0IN3c108BFloat16ELb0EEvPKvS3_PT_iiiii.uses_flat_scratch, 0
	.set _ZL12mul_mat_q4_0IN3c108BFloat16ELb0EEvPKvS3_PT_iiiii.has_dyn_sized_stack, 0
	.set _ZL12mul_mat_q4_0IN3c108BFloat16ELb0EEvPKvS3_PT_iiiii.has_recursion, 0
	.set _ZL12mul_mat_q4_0IN3c108BFloat16ELb0EEvPKvS3_PT_iiiii.has_indirect_call, 0
	.section	.AMDGPU.csdata,"",@progbits
; Kernel info:
; codeLenInByte = 11728
; TotalNumSgprs: 17
; NumVgprs: 163
; ScratchSize: 0
; MemoryBound: 0
; FloatMode: 240
; IeeeMode: 1
; LDSByteSize: 30336 bytes/workgroup (compile time only)
; SGPRBlocks: 0
; VGPRBlocks: 20
; NumSGPRsForWavesPerEU: 17
; NumVGPRsForWavesPerEU: 163
; Occupancy: 5
; WaveLimiterHint : 0
; COMPUTE_PGM_RSRC2:SCRATCH_EN: 0
; COMPUTE_PGM_RSRC2:USER_SGPR: 6
; COMPUTE_PGM_RSRC2:TRAP_HANDLER: 0
; COMPUTE_PGM_RSRC2:TGID_X_EN: 1
; COMPUTE_PGM_RSRC2:TGID_Y_EN: 1
; COMPUTE_PGM_RSRC2:TGID_Z_EN: 0
; COMPUTE_PGM_RSRC2:TIDIG_COMP_CNT: 1
	.section	.text._ZL12mul_mat_q4_0IN3c108BFloat16ELb1EEvPKvS3_PT_iiiii,"axG",@progbits,_ZL12mul_mat_q4_0IN3c108BFloat16ELb1EEvPKvS3_PT_iiiii,comdat
	.globl	_ZL12mul_mat_q4_0IN3c108BFloat16ELb1EEvPKvS3_PT_iiiii ; -- Begin function _ZL12mul_mat_q4_0IN3c108BFloat16ELb1EEvPKvS3_PT_iiiii
	.p2align	8
	.type	_ZL12mul_mat_q4_0IN3c108BFloat16ELb1EEvPKvS3_PT_iiiii,@function
_ZL12mul_mat_q4_0IN3c108BFloat16ELb1EEvPKvS3_PT_iiiii: ; @_ZL12mul_mat_q4_0IN3c108BFloat16ELb1EEvPKvS3_PT_iiiii
; %bb.0:
	s_clause 0x1
	s_load_dwordx4 s[8:11], s[4:5], 0x18
	s_load_dword s14, s[4:5], 0x28
	s_lshl_b32 s7, s7, 6
	v_add_nc_u32_e32 v49, s7, v1
	s_waitcnt lgkmcnt(0)
	s_cmp_gt_i32 s8, 31
	s_cbranch_scc1 .LBB158_2
; %bb.1:
	v_add_nc_u32_e32 v2, s7, v1
	s_mov_b32 s0, 0
	s_branch .LBB158_3
.LBB158_2:
	s_mov_b32 s0, -1
                                        ; implicit-def: $vgpr2
.LBB158_3:
	s_load_dwordx2 s[12:13], s[4:5], 0x10
	v_mov_b32_e32 v31, 0
	v_mov_b32_e32 v35, 0
	;; [unrolled: 1-line block ×32, first 2 shown]
	s_andn2_b32 vcc_lo, exec_lo, s0
	s_lshl_b32 s6, s6, 7
	s_cbranch_vccnz .LBB158_14
; %bb.4:
	s_load_dwordx4 s[0:3], s[4:5], 0x0
	s_ashr_i32 s4, s8, 31
	s_ashr_i32 s5, s11, 31
	s_lshr_b32 s4, s4, 27
	s_lshr_b32 s5, s5, 27
	s_add_i32 s4, s8, s4
	s_add_i32 s5, s11, s5
	s_ashr_i32 s4, s4, 5
	s_ashr_i32 s11, s5, 5
	s_mul_i32 s8, s4, s6
	v_add_nc_u32_e32 v9, 8, v1
	s_mul_i32 s5, s8, 18
	s_mul_hi_i32 s8, s8, 18
	v_lshlrev_b32_e32 v2, 2, v0
	v_add_nc_u32_e32 v38, 16, v1
	v_add_nc_u32_e32 v39, 24, v1
	;; [unrolled: 1-line block ×6, first 2 shown]
	s_waitcnt lgkmcnt(0)
	s_add_u32 s5, s0, s5
	s_addc_u32 s8, s1, s8
	s_not_b32 s0, s6
	v_lshrrev_b32_e32 v71, 3, v0
	s_add_i32 s0, s9, s0
	v_add_nc_u32_e32 v28, 24, v49
	v_min_i32_e32 v3, s0, v1
	v_min_i32_e32 v4, s0, v9
	;; [unrolled: 1-line block ×3, first 2 shown]
	v_lshl_add_u32 v34, v1, 2, v71
	v_add_nc_u32_e32 v30, 32, v49
	v_mad_u64_u32 v[10:11], null, 0x84, v3, v[2:3]
	v_mul_lo_u32 v59, v3, s4
	v_mad_u64_u32 v[11:12], null, 0x84, v4, v[2:3]
	v_min_i32_e32 v3, s0, v39
	v_mul_lo_u32 v60, v4, s4
	v_min_i32_e32 v4, s0, v40
	v_mul_lo_u32 v61, v5, s4
	v_min_i32_e32 v44, s0, v34
	v_mad_u64_u32 v[12:13], null, 0x84, v5, v[2:3]
	v_mul_lo_u32 v62, v3, s4
	v_mad_u64_u32 v[13:14], null, 0x84, v3, v[2:3]
	v_min_i32_e32 v3, s0, v41
	v_mul_lo_u32 v63, v4, s4
	v_add_nc_u32_e32 v5, 64, v1
	v_ashrrev_i32_e32 v6, 31, v44
	v_add_nc_u32_e32 v32, 40, v49
	v_mad_u64_u32 v[14:15], null, 0x84, v4, v[2:3]
	v_min_i32_e32 v4, s0, v42
	v_mul_lo_u32 v64, v3, s4
	v_mad_u64_u32 v[15:16], null, 0x84, v3, v[2:3]
	v_min_i32_e32 v3, s0, v43
	v_mul_lo_u32 v66, v4, s4
	v_min_i32_e32 v5, s0, v5
	v_lshrrev_b32_e32 v6, 30, v6
	s_add_i32 s1, s10, -1
	v_mad_u64_u32 v[16:17], null, 0x84, v4, v[2:3]
	v_add_nc_u32_e32 v4, 0x48, v1
	v_mul_lo_u32 v67, v3, s4
	v_mad_u64_u32 v[17:18], null, 0x84, v3, v[2:3]
	v_mul_lo_u32 v68, v5, s4
	v_min_i32_e32 v3, s0, v4
	v_add_nc_u32_e32 v4, 0x50, v1
	v_cvt_f64_u32_e32 v[28:29], v28
	v_add_nc_u32_e32 v35, 48, v49
	v_cvt_f64_u32_e32 v[30:31], v30
	v_mad_u64_u32 v[18:19], null, 0x84, v5, v[2:3]
	v_add_nc_u32_e32 v5, 0x58, v1
	v_mul_lo_u32 v69, v3, s4
	v_min_i32_e32 v4, s0, v4
	v_mad_u64_u32 v[19:20], null, 0x84, v3, v[2:3]
	v_min_i32_e32 v3, s0, v5
	v_add_nc_u32_e32 v5, 0x60, v1
	v_mul_lo_u32 v72, v4, s4
	v_cvt_f64_u32_e32 v[32:33], v32
	v_add_nc_u32_e32 v7, 8, v49
	v_mad_u64_u32 v[20:21], null, 0x84, v4, v[2:3]
	v_min_i32_e32 v4, s0, v5
	v_add_nc_u32_e32 v5, 0x68, v1
	v_mul_lo_u32 v74, v3, s4
	v_mad_u64_u32 v[21:22], null, 0x84, v3, v[2:3]
	v_mul_lo_u32 v75, v4, s4
	v_min_i32_e32 v3, s0, v5
	v_add_nc_u32_e32 v5, 0x70, v1
	v_add_nc_u32_e32 v37, 56, v49
	;; [unrolled: 1-line block ×3, first 2 shown]
	v_cvt_f64_u32_e32 v[7:8], v7
	v_mad_u64_u32 v[22:23], null, 0x84, v4, v[2:3]
	v_min_i32_e32 v4, s0, v5
	v_add_nc_u32_e32 v5, 0x78, v1
	v_mul_lo_u32 v76, v3, s4
	v_mad_u64_u32 v[23:24], null, 0x84, v3, v[2:3]
	v_mul_lo_u32 v77, v4, s4
	v_min_i32_e32 v3, s0, v5
	v_add_nc_u32_e32 v5, v44, v6
	v_add_nc_u32_e32 v6, 32, v34
	v_min_i32_e32 v50, s0, v50
	v_and_b32_e32 v78, 7, v0
	v_mad_u64_u32 v[24:25], null, 0x84, v4, v[2:3]
	v_add_nc_u32_e32 v4, 64, v34
	v_mul_lo_u32 v80, v3, s4
	v_and_b32_e32 v45, -4, v5
	v_min_i32_e32 v47, s0, v6
	v_mad_u64_u32 v[25:26], null, 0x84, v3, v[2:3]
	v_min_i32_e32 v48, s0, v4
	v_cvt_f64_i32_e32 v[3:4], s1
	v_cvt_f64_u32_e32 v[5:6], v49
	v_ashrrev_i32_e32 v36, 31, v47
	v_add_nc_u32_e32 v26, 16, v49
	v_cvt_f64_u32_e32 v[34:35], v35
	v_ashrrev_i32_e32 v53, 31, v48
	v_ashrrev_i32_e32 v54, 31, v50
	v_lshrrev_b32_e32 v52, 30, v36
	v_cvt_f64_u32_e32 v[26:27], v26
	v_cvt_f64_u32_e32 v[36:37], v37
	v_lshrrev_b32_e32 v53, 30, v53
	v_lshrrev_b32_e32 v55, 2, v0
	v_lshlrev_b32_e32 v46, 2, v78
	v_lshrrev_b32_e32 v54, 30, v54
	v_add_nc_u32_e32 v52, v47, v52
	v_add_nc_u32_e32 v53, v48, v53
	v_mul_lo_u32 v85, v47, s4
	v_add3_u32 v45, v45, v46, 0x6200
	v_add_nc_u32_e32 v54, v50, v54
	v_and_b32_e32 v52, -4, v52
	v_and_b32_e32 v53, -4, v53
	v_and_b32_e32 v58, 12, v2
	v_min_f64 v[28:29], v[28:29], v[3:4]
	v_min_f64 v[5:6], v[5:6], v[3:4]
	;; [unrolled: 1-line block ×6, first 2 shown]
	v_add3_u32 v52, v52, v46, 0x6200
	v_and_b32_e32 v2, 28, v2
	v_min_f64 v[26:27], v[26:27], v[3:4]
	v_min_f64 v[3:4], v[36:37], v[3:4]
	v_lshlrev_b32_e32 v36, 5, v47
	v_add3_u32 v47, v53, v46, 0x6200
	v_lshl_add_u32 v53, v1, 3, v55
	v_and_b32_e32 v37, -4, v54
	v_mul_lo_u32 v81, v44, s4
	v_lshlrev_b32_e32 v44, 5, v44
	v_mul_lo_u32 v86, v48, s4
	v_lshlrev_b32_e32 v48, 5, v48
	v_add3_u32 v37, v37, v46, 0x6200
	v_mul_lo_u32 v87, v50, s4
	v_mov_b32_e32 v51, 0
	v_mul_u32_u24_e32 v97, 0x84, v0
	v_cvt_i32_f64_e32 v28, v[28:29]
	v_cvt_i32_f64_e32 v6, v[5:6]
	;; [unrolled: 1-line block ×6, first 2 shown]
	v_and_b32_e32 v8, 63, v53
	v_and_b32_e32 v5, 3, v0
	v_cvt_i32_f64_e32 v46, v[26:27]
	v_cvt_i32_f64_e32 v3, v[3:4]
	v_and_b32_e32 v33, 31, v0
	v_or_b32_e32 v26, s7, v8
	v_lshlrev_b32_e32 v27, 2, v5
	v_and_b32_e32 v35, 0xfc, v0
	v_lshlrev_b32_e32 v29, 5, v50
	v_lshl_or_b32 v33, v33, 2, 0x4200
	v_min_i32_e32 v4, s1, v26
	v_lshl_or_b32 v8, v8, 4, v27
	v_lshl_add_u32 v103, v1, 4, 0x7280
	v_mad_u32_u24 v105, 0x84, v0, 64
	v_add_nc_u32_e32 v110, v45, v44
	v_add_nc_u32_e32 v111, v52, v36
	v_mul_lo_u32 v92, s11, v28
	v_mad_u64_u32 v[26:27], null, v4, s11, v[5:6]
	v_mul_lo_u32 v94, s11, v31
	v_add_nc_u32_e32 v27, 0x60, v0
	v_add_nc_u32_e32 v28, 64, v0
	;; [unrolled: 1-line block ×3, first 2 shown]
	v_mul_lo_u32 v95, s11, v32
	v_lshlrev_b32_e32 v32, 5, v0
	v_and_b32_e32 v27, 0x1fc, v27
	v_and_b32_e32 v28, 0x1fc, v28
	;; [unrolled: 1-line block ×3, first 2 shown]
	v_add_nc_u32_e32 v88, 0x7280, v8
	v_mul_lo_u32 v89, s11, v6
	v_lshlrev_b32_e32 v4, 7, v1
	v_mul_lo_u32 v90, s11, v7
	v_lshlrev_b32_e32 v5, 7, v9
	v_lshlrev_b32_e32 v6, 7, v38
	;; [unrolled: 1-line block ×3, first 2 shown]
	v_mul_lo_u32 v93, s11, v30
	v_lshlrev_b32_e32 v8, 7, v40
	v_lshlrev_b32_e32 v9, 7, v41
	;; [unrolled: 1-line block ×3, first 2 shown]
	v_mul_lo_u32 v96, s11, v3
	v_lshlrev_b32_e32 v3, 7, v43
	v_lshrrev_b32_e32 v98, 3, v31
	v_add_nc_u32_e32 v31, v32, v27
	v_add_nc_u32_e32 v38, v32, v28
	;; [unrolled: 1-line block ×4, first 2 shown]
	v_mul_lo_u32 v91, s11, v46
	v_add_co_u32 v27, s0, s2, v2
	v_add_co_ci_u32_e64 v28, null, s3, 0, s0
	v_add_nc_u32_e32 v99, 0x6e00, v31
	v_add_nc_u32_e32 v100, 0x6a00, v38
	;; [unrolled: 1-line block ×19, first 2 shown]
	v_mov_b32_e32 v79, 0
	v_mov_b32_e32 v57, 0
	v_mov_b32_e32 v52, 0
	v_mov_b32_e32 v46, 0
	v_mov_b32_e32 v42, 0
	v_mov_b32_e32 v38, 0
	v_mov_b32_e32 v34, 0
	v_mov_b32_e32 v84, 0
	v_mov_b32_e32 v73, 0
	v_mov_b32_e32 v56, 0
	v_mov_b32_e32 v50, 0
	v_mov_b32_e32 v45, 0
	v_mov_b32_e32 v41, 0
	v_mov_b32_e32 v37, 0
	v_mov_b32_e32 v33, 0
	v_mov_b32_e32 v83, 0
	v_mov_b32_e32 v70, 0
	v_mov_b32_e32 v54, 0
	v_mov_b32_e32 v48, 0
	v_mov_b32_e32 v44, 0
	v_mov_b32_e32 v40, 0
	v_mov_b32_e32 v36, 0
	v_mov_b32_e32 v32, 0
	v_mov_b32_e32 v82, 0
	v_mov_b32_e32 v65, 0
	v_mov_b32_e32 v53, 0
	v_mov_b32_e32 v47, 0
	v_mov_b32_e32 v43, 0
	v_mov_b32_e32 v39, 0
	v_mov_b32_e32 v35, 0
	v_mov_b32_e32 v31, 0
	s_add_i32 s9, s4, 3
	s_mov_b32 s11, 0
	s_branch .LBB158_6
.LBB158_5:                              ;   in Loop: Header=BB158_6 Depth=1
	s_add_i32 s11, s11, 8
	s_add_i32 s9, s9, -8
	s_cmp_ge_i32 s11, s4
	s_cbranch_scc1 .LBB158_13
.LBB158_6:                              ; =>This Loop Header: Depth=1
                                        ;     Child Loop BB158_8 Depth 2
                                        ;     Child Loop BB158_11 Depth 2
	s_mul_i32 s0, s11, 18
	s_mul_hi_u32 s1, s11, 18
	s_add_u32 s0, s5, s0
	s_addc_u32 s1, s8, s1
	s_cmp_gt_u32 s9, 3
	v_mad_u64_u32 v[2:3], null, v55, 18, s[0:1]
	v_mad_i64_i32 v[4:5], null, v59, 18, v[2:3]
	v_add_co_u32 v4, vcc_lo, v4, v58
	v_add_co_ci_u32_e64 v5, null, 0, v5, vcc_lo
	global_load_dword v4, v[4:5], off offset:2
	s_waitcnt vmcnt(0)
	ds_write_b32 v10, v4
	v_mad_i64_i32 v[4:5], null, v60, 18, v[2:3]
	v_add_co_u32 v4, vcc_lo, v4, v58
	v_add_co_ci_u32_e64 v5, null, 0, v5, vcc_lo
	global_load_dword v4, v[4:5], off offset:2
	s_waitcnt vmcnt(0)
	ds_write_b32 v11, v4
	;; [unrolled: 6-line block ×14, first 2 shown]
	v_mad_i64_i32 v[4:5], null, v77, 18, v[2:3]
	v_mad_i64_i32 v[2:3], null, v80, 18, v[2:3]
	v_add_co_u32 v4, vcc_lo, v4, v58
	v_add_co_ci_u32_e64 v5, null, 0, v5, vcc_lo
	v_add_co_u32 v2, vcc_lo, v2, v58
	v_add_co_ci_u32_e64 v3, null, 0, v3, vcc_lo
	s_clause 0x1
	global_load_dword v4, v[4:5], off offset:2
	global_load_dword v2, v[2:3], off offset:2
	s_waitcnt vmcnt(1)
	ds_write_b32 v24, v4
	s_waitcnt vmcnt(0)
	ds_write_b32 v25, v2
	v_mad_u64_u32 v[2:3], null, v78, 18, s[0:1]
	v_mad_i64_i32 v[4:5], null, v81, 18, v[2:3]
	global_load_ushort v4, v[4:5], off
	s_waitcnt vmcnt(0)
	v_cvt_f32_f16_e32 v4, v4
	ds_write_b32 v110, v4
	v_mad_i64_i32 v[4:5], null, v85, 18, v[2:3]
	global_load_ushort v4, v[4:5], off
	s_waitcnt vmcnt(0)
	v_cvt_f32_f16_e32 v4, v4
	ds_write_b32 v111, v4
	v_mad_i64_i32 v[4:5], null, v86, 18, v[2:3]
	v_mad_i64_i32 v[2:3], null, v87, 18, v[2:3]
	s_clause 0x1
	global_load_ushort v4, v[4:5], off
	global_load_ushort v2, v[2:3], off
	s_waitcnt vmcnt(1)
	v_cvt_f32_f16_e32 v4, v4
	s_waitcnt vmcnt(0)
	v_cvt_f32_f16_e32 v2, v2
	ds_write_b32 v112, v4
	ds_write_b32 v113, v2
	s_cbranch_scc0 .LBB158_5
; %bb.7:                                ;   in Loop: Header=BB158_6 Depth=1
	v_add_nc_u32_e32 v5, s11, v71
	v_add_nc_u32_e32 v4, s11, v26
	v_mov_b32_e32 v6, v103
	v_mov_b32_e32 v7, v102
	;; [unrolled: 1-line block ×3, first 2 shown]
	v_add_nc_u32_e32 v2, v5, v89
	v_mov_b32_e32 v9, v100
	v_mov_b32_e32 v29, v99
	;; [unrolled: 1-line block ×3, first 2 shown]
	s_mov_b32 s0, -4
	v_mad_i64_i32 v[2:3], null, v2, 36, v[27:28]
	global_load_dword v2, v[2:3], off offset:4
	s_waitcnt vmcnt(0)
	ds_write_b32 v114, v2
	v_add_nc_u32_e32 v2, v5, v90
	v_mad_i64_i32 v[2:3], null, v2, 36, v[27:28]
	global_load_dword v2, v[2:3], off offset:4
	s_waitcnt vmcnt(0)
	ds_write_b32 v115, v2
	v_add_nc_u32_e32 v2, v5, v91
	;; [unrolled: 5-line block ×7, first 2 shown]
	v_mov_b32_e32 v5, v104
	v_mad_i64_i32 v[2:3], null, v2, 36, v[27:28]
	global_load_dword v2, v[2:3], off offset:4
	s_waitcnt vmcnt(0)
	ds_write_b32 v121, v2
	v_mad_u64_u32 v[2:3], null, v4, 36, s[2:3]
	global_load_dword v2, v[2:3], off
	s_waitcnt vmcnt(0)
	ds_write_b32 v88, v2
	s_waitcnt lgkmcnt(0)
	s_barrier
	buffer_gl0_inv
.LBB158_8:                              ;   Parent Loop BB158_6 Depth=1
                                        ; =>  This Inner Loop Header: Depth=2
	ds_read_b128 v[155:158], v5
	ds_read_b128 v[159:162], v5 offset:16
	ds_read2_b32 v[2:3], v6 offset1:32
	v_mov_b32_e32 v127, 0
	v_add_nc_u32_e32 v132, 0x1080, v30
	v_add_nc_u32_e32 v137, 0x1088, v30
	v_mov_b32_e32 v136, 0
	v_add_nc_u32_e32 v141, 0x2100, v30
	v_add_nc_u32_e32 v145, 0x2108, v30
	v_mov_b32_e32 v150, 0
	v_mov_b32_e32 v164, 0
	v_add_nc_u32_e32 v154, 0x3188, v30
	v_mov_b32_e32 v166, 0
	v_mov_b32_e32 v167, 0
	s_add_i32 s0, s0, 4
	s_cmp_lt_u32 s0, 12
	s_waitcnt lgkmcnt(0)
	v_cvt_f32_f16_sdwa v122, v2 dst_sel:DWORD dst_unused:UNUSED_PAD src0_sel:WORD_1
	v_mul_f32_e32 v163, 0x41000000, v122
	ds_read_b32 v122, v7
	ds_read2_b32 v[125:126], v30 offset1:1
	ds_read2_b32 v[130:131], v30 offset0:2 offset1:3
	v_add_nc_u32_e32 v7, 4, v7
	s_waitcnt lgkmcnt(1)
	v_and_b32_e32 v123, 0xf0f0f0f, v125
	v_lshrrev_b32_e32 v124, 4, v125
	v_and_b32_e32 v125, 0xf0f0f0f, v126
	v_lshrrev_b32_e32 v126, 4, v126
	s_waitcnt lgkmcnt(0)
	v_and_b32_e32 v128, 0xf0f0f0f, v130
	v_dot4c_i32_i8 v127, v123, v155
	v_and_b32_e32 v124, 0xf0f0f0f, v124
	v_lshrrev_b32_e32 v129, 4, v130
	v_and_b32_e32 v126, 0xf0f0f0f, v126
	v_and_b32_e32 v130, 0xf0f0f0f, v131
	v_lshrrev_b32_e32 v131, 4, v131
	v_dot4c_i32_i8 v127, v124, v159
	v_and_b32_e32 v129, 0xf0f0f0f, v129
	v_and_b32_e32 v131, 0xf0f0f0f, v131
	v_dot4c_i32_i8 v127, v125, v156
	v_dot4c_i32_i8 v127, v126, v160
	;; [unrolled: 1-line block ×6, first 2 shown]
	v_cvt_f32_i32_e32 v127, v127
	v_fma_mix_f32 v127, v2, v127, -v163 op_sel_hi:[1,0,0]
	v_fmac_f32_e32 v51, v122, v127
	ds_read_b32 v127, v8
	ds_read2_b32 v[134:135], v132 offset1:1
	ds_read2_b32 v[139:140], v137 offset1:1
	v_add_nc_u32_e32 v8, 4, v8
	s_waitcnt lgkmcnt(1)
	v_and_b32_e32 v132, 0xf0f0f0f, v134
	v_lshrrev_b32_e32 v133, 4, v134
	v_and_b32_e32 v134, 0xf0f0f0f, v135
	v_lshrrev_b32_e32 v135, 4, v135
	s_waitcnt lgkmcnt(0)
	v_and_b32_e32 v137, 0xf0f0f0f, v139
	v_dot4c_i32_i8 v136, v132, v155
	v_and_b32_e32 v133, 0xf0f0f0f, v133
	v_lshrrev_b32_e32 v138, 4, v139
	v_and_b32_e32 v135, 0xf0f0f0f, v135
	v_and_b32_e32 v139, 0xf0f0f0f, v140
	v_lshrrev_b32_e32 v140, 4, v140
	v_dot4c_i32_i8 v136, v133, v159
	v_and_b32_e32 v138, 0xf0f0f0f, v138
	v_and_b32_e32 v140, 0xf0f0f0f, v140
	v_dot4c_i32_i8 v136, v134, v156
	v_dot4c_i32_i8 v136, v135, v160
	;; [unrolled: 1-line block ×6, first 2 shown]
	v_cvt_f32_i32_e32 v136, v136
	v_fma_mix_f32 v136, v2, v136, -v163 op_sel_hi:[1,0,0]
	v_fmac_f32_e32 v84, v127, v136
	ds_read_b32 v136, v9
	ds_read2_b32 v[143:144], v141 offset1:1
	ds_read2_b32 v[147:148], v145 offset1:1
	v_add_nc_u32_e32 v9, 4, v9
	s_waitcnt lgkmcnt(1)
	v_and_b32_e32 v141, 0xf0f0f0f, v143
	v_lshrrev_b32_e32 v142, 4, v143
	v_and_b32_e32 v143, 0xf0f0f0f, v144
	v_lshrrev_b32_e32 v144, 4, v144
	s_waitcnt lgkmcnt(0)
	v_and_b32_e32 v145, 0xf0f0f0f, v147
	v_dot4c_i32_i8 v150, v141, v155
	v_and_b32_e32 v142, 0xf0f0f0f, v142
	v_lshrrev_b32_e32 v146, 4, v147
	v_and_b32_e32 v144, 0xf0f0f0f, v144
	v_and_b32_e32 v147, 0xf0f0f0f, v148
	v_lshrrev_b32_e32 v148, 4, v148
	v_dot4c_i32_i8 v150, v142, v159
	v_and_b32_e32 v146, 0xf0f0f0f, v146
	v_and_b32_e32 v149, 0xf0f0f0f, v148
	v_dot4c_i32_i8 v150, v143, v156
	v_dot4c_i32_i8 v150, v144, v160
	;; [unrolled: 1-line block ×6, first 2 shown]
	v_cvt_f32_i32_e32 v148, v150
	v_add_nc_u32_e32 v150, 0x3180, v30
	v_add_nc_u32_e32 v30, 16, v30
	v_fma_mix_f32 v148, v2, v148, -v163 op_sel_hi:[1,0,0]
	v_fmac_f32_e32 v83, v136, v148
	ds_read_b32 v148, v29
	ds_read2_b32 v[152:153], v150 offset1:1
	v_add_nc_u32_e32 v29, 4, v29
	s_waitcnt lgkmcnt(0)
	v_and_b32_e32 v150, 0xf0f0f0f, v152
	v_lshrrev_b32_e32 v151, 4, v152
	v_and_b32_e32 v152, 0xf0f0f0f, v153
	v_lshrrev_b32_e32 v153, 4, v153
	v_dot4c_i32_i8 v164, v150, v155
	v_and_b32_e32 v151, 0xf0f0f0f, v151
	v_and_b32_e32 v153, 0xf0f0f0f, v153
	v_dot4c_i32_i8 v164, v151, v159
	v_dot4c_i32_i8 v164, v152, v156
	;; [unrolled: 1-line block ×3, first 2 shown]
	ds_read2_b32 v[159:160], v154 offset1:1
	s_waitcnt lgkmcnt(0)
	v_and_b32_e32 v154, 0xf0f0f0f, v159
	v_lshrrev_b32_e32 v155, 4, v159
	v_and_b32_e32 v156, 0xf0f0f0f, v160
	v_dot4c_i32_i8 v164, v154, v157
	v_and_b32_e32 v155, 0xf0f0f0f, v155
	v_lshrrev_b32_e32 v157, 4, v160
	v_dot4c_i32_i8 v164, v155, v161
	v_and_b32_e32 v157, 0xf0f0f0f, v157
	v_dot4c_i32_i8 v164, v156, v158
	v_dot4c_i32_i8 v164, v157, v162
	v_cvt_f32_i32_e32 v158, v164
	v_fma_mix_f32 v2, v2, v158, -v163 op_sel_hi:[1,0,0]
	ds_read_b128 v[158:161], v5 offset:1024
	ds_read_b128 v[162:165], v5 offset:1040
	v_fmac_f32_e32 v82, v148, v2
	v_cvt_f32_f16_sdwa v2, v3 dst_sel:DWORD dst_unused:UNUSED_PAD src0_sel:WORD_1
	v_mul_f32_e32 v2, 0x41000000, v2
	s_waitcnt lgkmcnt(1)
	v_dot4c_i32_i8 v166, v123, v158
	s_waitcnt lgkmcnt(0)
	v_dot4c_i32_i8 v166, v124, v162
	v_dot4c_i32_i8 v166, v125, v159
	v_dot4c_i32_i8 v166, v126, v163
	v_dot4c_i32_i8 v166, v128, v160
	v_dot4c_i32_i8 v166, v129, v164
	v_dot4c_i32_i8 v166, v130, v161
	v_dot4c_i32_i8 v166, v131, v165
	v_cvt_f32_i32_e32 v166, v166
	v_fma_mix_f32 v166, v166, v3, -v2 op_sel_hi:[0,1,0]
	v_fmac_f32_e32 v79, v122, v166
	v_mov_b32_e32 v166, 0
	v_dot4c_i32_i8 v166, v132, v158
	v_dot4c_i32_i8 v166, v133, v162
	v_dot4c_i32_i8 v166, v134, v159
	v_dot4c_i32_i8 v166, v135, v163
	v_dot4c_i32_i8 v166, v137, v160
	v_dot4c_i32_i8 v166, v138, v164
	v_dot4c_i32_i8 v166, v139, v161
	v_dot4c_i32_i8 v166, v140, v165
	v_cvt_f32_i32_e32 v166, v166
	v_fma_mix_f32 v166, v166, v3, -v2 op_sel_hi:[0,1,0]
	v_fmac_f32_e32 v73, v127, v166
	v_mov_b32_e32 v166, 0
	v_dot4c_i32_i8 v166, v141, v158
	;; [unrolled: 12-line block ×3, first 2 shown]
	v_dot4c_i32_i8 v166, v151, v162
	v_dot4c_i32_i8 v166, v152, v159
	;; [unrolled: 1-line block ×7, first 2 shown]
	v_cvt_f32_i32_e32 v158, v166
	v_fma_mix_f32 v2, v158, v3, -v2 op_sel_hi:[0,1,0]
	v_fmac_f32_e32 v65, v148, v2
	ds_read_b128 v[158:161], v5 offset:2048
	ds_read_b128 v[162:165], v5 offset:2064
	ds_read2_b32 v[2:3], v6 offset0:64 offset1:96
	s_waitcnt lgkmcnt(2)
	v_dot4c_i32_i8 v167, v123, v158
	s_waitcnt lgkmcnt(0)
	v_cvt_f32_f16_sdwa v166, v2 dst_sel:DWORD dst_unused:UNUSED_PAD src0_sel:WORD_1
	v_dot4c_i32_i8 v167, v124, v162
	v_mul_f32_e32 v166, 0x41000000, v166
	v_dot4c_i32_i8 v167, v125, v159
	v_dot4c_i32_i8 v167, v126, v163
	v_dot4c_i32_i8 v167, v128, v160
	v_dot4c_i32_i8 v167, v129, v164
	v_dot4c_i32_i8 v167, v130, v161
	v_dot4c_i32_i8 v167, v131, v165
	v_cvt_f32_i32_e32 v167, v167
	v_fma_mix_f32 v167, v167, v2, -v166 op_sel_hi:[0,1,0]
	v_fmac_f32_e32 v57, v122, v167
	v_mov_b32_e32 v167, 0
	v_dot4c_i32_i8 v167, v132, v158
	v_dot4c_i32_i8 v167, v133, v162
	v_dot4c_i32_i8 v167, v134, v159
	v_dot4c_i32_i8 v167, v135, v163
	v_dot4c_i32_i8 v167, v137, v160
	v_dot4c_i32_i8 v167, v138, v164
	v_dot4c_i32_i8 v167, v139, v161
	v_dot4c_i32_i8 v167, v140, v165
	v_cvt_f32_i32_e32 v167, v167
	v_fma_mix_f32 v167, v167, v2, -v166 op_sel_hi:[0,1,0]
	v_fmac_f32_e32 v56, v127, v167
	v_mov_b32_e32 v167, 0
	v_dot4c_i32_i8 v167, v141, v158
	v_dot4c_i32_i8 v167, v142, v162
	;; [unrolled: 12-line block ×3, first 2 shown]
	v_dot4c_i32_i8 v167, v152, v159
	v_dot4c_i32_i8 v167, v153, v163
	;; [unrolled: 1-line block ×6, first 2 shown]
	v_cvt_f32_i32_e32 v158, v167
	v_mov_b32_e32 v167, 0
	v_fma_mix_f32 v2, v158, v2, -v166 op_sel_hi:[0,1,0]
	ds_read_b128 v[158:161], v5 offset:3072
	ds_read_b128 v[162:165], v5 offset:3088
	v_mov_b32_e32 v166, 0
	v_fmac_f32_e32 v53, v148, v2
	v_cvt_f32_f16_sdwa v2, v3 dst_sel:DWORD dst_unused:UNUSED_PAD src0_sel:WORD_1
	v_mul_f32_e32 v2, 0x41000000, v2
	s_waitcnt lgkmcnt(1)
	v_dot4c_i32_i8 v166, v123, v158
	s_waitcnt lgkmcnt(0)
	v_dot4c_i32_i8 v166, v124, v162
	v_dot4c_i32_i8 v166, v125, v159
	v_dot4c_i32_i8 v166, v126, v163
	v_dot4c_i32_i8 v166, v128, v160
	v_dot4c_i32_i8 v166, v129, v164
	v_dot4c_i32_i8 v166, v130, v161
	v_dot4c_i32_i8 v166, v131, v165
	v_cvt_f32_i32_e32 v166, v166
	v_fma_mix_f32 v166, v166, v3, -v2 op_sel_hi:[0,1,0]
	v_fmac_f32_e32 v52, v122, v166
	v_mov_b32_e32 v166, 0
	v_dot4c_i32_i8 v166, v132, v158
	v_dot4c_i32_i8 v166, v133, v162
	v_dot4c_i32_i8 v166, v134, v159
	v_dot4c_i32_i8 v166, v135, v163
	v_dot4c_i32_i8 v166, v137, v160
	v_dot4c_i32_i8 v166, v138, v164
	v_dot4c_i32_i8 v166, v139, v161
	v_dot4c_i32_i8 v166, v140, v165
	v_cvt_f32_i32_e32 v166, v166
	v_fma_mix_f32 v166, v166, v3, -v2 op_sel_hi:[0,1,0]
	v_fmac_f32_e32 v50, v127, v166
	v_mov_b32_e32 v166, 0
	v_dot4c_i32_i8 v166, v141, v158
	;; [unrolled: 12-line block ×3, first 2 shown]
	v_dot4c_i32_i8 v166, v151, v162
	v_dot4c_i32_i8 v166, v152, v159
	;; [unrolled: 1-line block ×7, first 2 shown]
	v_cvt_f32_i32_e32 v158, v166
	v_fma_mix_f32 v2, v158, v3, -v2 op_sel_hi:[0,1,0]
	v_fmac_f32_e32 v47, v148, v2
	ds_read_b128 v[158:161], v5 offset:4096
	ds_read_b128 v[162:165], v5 offset:4112
	ds_read2_b32 v[2:3], v6 offset0:128 offset1:160
	s_waitcnt lgkmcnt(2)
	v_dot4c_i32_i8 v167, v123, v158
	s_waitcnt lgkmcnt(0)
	v_cvt_f32_f16_sdwa v166, v2 dst_sel:DWORD dst_unused:UNUSED_PAD src0_sel:WORD_1
	v_dot4c_i32_i8 v167, v124, v162
	v_mul_f32_e32 v166, 0x41000000, v166
	v_dot4c_i32_i8 v167, v125, v159
	v_dot4c_i32_i8 v167, v126, v163
	v_dot4c_i32_i8 v167, v128, v160
	v_dot4c_i32_i8 v167, v129, v164
	v_dot4c_i32_i8 v167, v130, v161
	v_dot4c_i32_i8 v167, v131, v165
	v_cvt_f32_i32_e32 v167, v167
	v_fma_mix_f32 v167, v167, v2, -v166 op_sel_hi:[0,1,0]
	v_fmac_f32_e32 v46, v122, v167
	v_mov_b32_e32 v167, 0
	v_dot4c_i32_i8 v167, v132, v158
	v_dot4c_i32_i8 v167, v133, v162
	v_dot4c_i32_i8 v167, v134, v159
	v_dot4c_i32_i8 v167, v135, v163
	v_dot4c_i32_i8 v167, v137, v160
	v_dot4c_i32_i8 v167, v138, v164
	v_dot4c_i32_i8 v167, v139, v161
	v_dot4c_i32_i8 v167, v140, v165
	v_cvt_f32_i32_e32 v167, v167
	v_fma_mix_f32 v167, v167, v2, -v166 op_sel_hi:[0,1,0]
	v_fmac_f32_e32 v45, v127, v167
	v_mov_b32_e32 v167, 0
	v_dot4c_i32_i8 v167, v141, v158
	v_dot4c_i32_i8 v167, v142, v162
	;; [unrolled: 12-line block ×3, first 2 shown]
	v_dot4c_i32_i8 v167, v152, v159
	v_dot4c_i32_i8 v167, v153, v163
	;; [unrolled: 1-line block ×6, first 2 shown]
	v_cvt_f32_i32_e32 v158, v167
	v_mov_b32_e32 v167, 0
	v_fma_mix_f32 v2, v158, v2, -v166 op_sel_hi:[0,1,0]
	ds_read_b128 v[158:161], v5 offset:5120
	ds_read_b128 v[162:165], v5 offset:5136
	v_mov_b32_e32 v166, 0
	v_fmac_f32_e32 v43, v148, v2
	v_cvt_f32_f16_sdwa v2, v3 dst_sel:DWORD dst_unused:UNUSED_PAD src0_sel:WORD_1
	v_mul_f32_e32 v2, 0x41000000, v2
	s_waitcnt lgkmcnt(1)
	v_dot4c_i32_i8 v166, v123, v158
	s_waitcnt lgkmcnt(0)
	v_dot4c_i32_i8 v166, v124, v162
	v_dot4c_i32_i8 v166, v125, v159
	v_dot4c_i32_i8 v166, v126, v163
	v_dot4c_i32_i8 v166, v128, v160
	v_dot4c_i32_i8 v166, v129, v164
	v_dot4c_i32_i8 v166, v130, v161
	v_dot4c_i32_i8 v166, v131, v165
	v_cvt_f32_i32_e32 v166, v166
	v_fma_mix_f32 v166, v166, v3, -v2 op_sel_hi:[0,1,0]
	v_fmac_f32_e32 v42, v122, v166
	v_mov_b32_e32 v166, 0
	v_dot4c_i32_i8 v166, v132, v158
	v_dot4c_i32_i8 v166, v133, v162
	v_dot4c_i32_i8 v166, v134, v159
	v_dot4c_i32_i8 v166, v135, v163
	v_dot4c_i32_i8 v166, v137, v160
	v_dot4c_i32_i8 v166, v138, v164
	v_dot4c_i32_i8 v166, v139, v161
	v_dot4c_i32_i8 v166, v140, v165
	v_cvt_f32_i32_e32 v166, v166
	v_fma_mix_f32 v166, v166, v3, -v2 op_sel_hi:[0,1,0]
	v_fmac_f32_e32 v41, v127, v166
	v_mov_b32_e32 v166, 0
	v_dot4c_i32_i8 v166, v141, v158
	;; [unrolled: 12-line block ×3, first 2 shown]
	v_dot4c_i32_i8 v166, v151, v162
	v_dot4c_i32_i8 v166, v152, v159
	;; [unrolled: 1-line block ×7, first 2 shown]
	v_cvt_f32_i32_e32 v158, v166
	v_fma_mix_f32 v2, v158, v3, -v2 op_sel_hi:[0,1,0]
	v_fmac_f32_e32 v39, v148, v2
	ds_read_b128 v[158:161], v5 offset:6144
	ds_read_b128 v[162:165], v5 offset:6160
	ds_read2_b32 v[2:3], v6 offset0:192 offset1:224
	v_add_nc_u32_e32 v6, 4, v6
	s_waitcnt lgkmcnt(2)
	v_dot4c_i32_i8 v167, v123, v158
	s_waitcnt lgkmcnt(0)
	v_cvt_f32_f16_sdwa v166, v2 dst_sel:DWORD dst_unused:UNUSED_PAD src0_sel:WORD_1
	v_dot4c_i32_i8 v167, v124, v162
	v_mul_f32_e32 v166, 0x41000000, v166
	v_dot4c_i32_i8 v167, v125, v159
	v_dot4c_i32_i8 v167, v126, v163
	v_dot4c_i32_i8 v167, v128, v160
	v_dot4c_i32_i8 v167, v129, v164
	v_dot4c_i32_i8 v167, v130, v161
	v_dot4c_i32_i8 v167, v131, v165
	v_cvt_f32_i32_e32 v167, v167
	v_fma_mix_f32 v167, v167, v2, -v166 op_sel_hi:[0,1,0]
	v_fmac_f32_e32 v38, v122, v167
	v_mov_b32_e32 v167, 0
	v_dot4c_i32_i8 v167, v132, v158
	v_dot4c_i32_i8 v167, v133, v162
	v_dot4c_i32_i8 v167, v134, v159
	v_dot4c_i32_i8 v167, v135, v163
	v_dot4c_i32_i8 v167, v137, v160
	v_dot4c_i32_i8 v167, v138, v164
	v_dot4c_i32_i8 v167, v139, v161
	v_dot4c_i32_i8 v167, v140, v165
	v_cvt_f32_i32_e32 v167, v167
	v_fma_mix_f32 v167, v167, v2, -v166 op_sel_hi:[0,1,0]
	v_fmac_f32_e32 v37, v127, v167
	v_mov_b32_e32 v167, 0
	v_dot4c_i32_i8 v167, v141, v158
	v_dot4c_i32_i8 v167, v142, v162
	;; [unrolled: 12-line block ×3, first 2 shown]
	v_dot4c_i32_i8 v167, v152, v159
	v_dot4c_i32_i8 v167, v153, v163
	;; [unrolled: 1-line block ×6, first 2 shown]
	v_cvt_f32_i32_e32 v158, v167
	v_fma_mix_f32 v2, v158, v2, -v166 op_sel_hi:[0,1,0]
	ds_read_b128 v[158:161], v5 offset:7168
	ds_read_b128 v[162:165], v5 offset:7184
	v_mov_b32_e32 v166, 0
	v_add_nc_u32_e32 v5, 32, v5
	v_fmac_f32_e32 v35, v148, v2
	v_cvt_f32_f16_sdwa v2, v3 dst_sel:DWORD dst_unused:UNUSED_PAD src0_sel:WORD_1
	v_mul_f32_e32 v2, 0x41000000, v2
	s_waitcnt lgkmcnt(1)
	v_dot4c_i32_i8 v166, v123, v158
	s_waitcnt lgkmcnt(0)
	v_dot4c_i32_i8 v166, v124, v162
	v_dot4c_i32_i8 v166, v125, v159
	v_dot4c_i32_i8 v166, v126, v163
	v_dot4c_i32_i8 v166, v128, v160
	v_dot4c_i32_i8 v166, v129, v164
	v_dot4c_i32_i8 v166, v130, v161
	v_dot4c_i32_i8 v166, v131, v165
	v_cvt_f32_i32_e32 v123, v166
	v_fma_mix_f32 v123, v123, v3, -v2 op_sel_hi:[0,1,0]
	v_fmac_f32_e32 v34, v122, v123
	v_mov_b32_e32 v122, 0
	v_dot4c_i32_i8 v122, v132, v158
	v_dot4c_i32_i8 v122, v133, v162
	v_dot4c_i32_i8 v122, v134, v159
	v_dot4c_i32_i8 v122, v135, v163
	v_dot4c_i32_i8 v122, v137, v160
	v_dot4c_i32_i8 v122, v138, v164
	v_dot4c_i32_i8 v122, v139, v161
	v_dot4c_i32_i8 v122, v140, v165
	v_cvt_f32_i32_e32 v122, v122
	v_fma_mix_f32 v122, v122, v3, -v2 op_sel_hi:[0,1,0]
	v_fmac_f32_e32 v33, v127, v122
	v_mov_b32_e32 v122, 0
	v_dot4c_i32_i8 v122, v141, v158
	;; [unrolled: 12-line block ×3, first 2 shown]
	v_dot4c_i32_i8 v122, v151, v162
	v_dot4c_i32_i8 v122, v152, v159
	;; [unrolled: 1-line block ×7, first 2 shown]
	v_cvt_f32_i32_e32 v122, v122
	v_fma_mix_f32 v2, v122, v3, -v2 op_sel_hi:[0,1,0]
	v_fmac_f32_e32 v31, v148, v2
	s_cbranch_scc1 .LBB158_8
; %bb.9:                                ;   in Loop: Header=BB158_6 Depth=1
	s_and_b32 s0, s9, -4
	s_cmp_eq_u32 s0, 4
	s_barrier
	buffer_gl0_inv
	s_cbranch_scc1 .LBB158_5
; %bb.10:                               ;   in Loop: Header=BB158_6 Depth=1
	v_add_nc_u32_e32 v9, s11, v98
	v_add_nc_u32_e32 v4, 4, v4
	s_mov_b32 s0, 12
	v_add_nc_u32_e32 v2, v9, v89
	v_add_nc_u32_e32 v5, v9, v90
	;; [unrolled: 1-line block ×5, first 2 shown]
	v_mad_u64_u32 v[124:125], null, v4, 36, s[2:3]
	v_mad_i64_i32 v[2:3], null, v2, 36, v[27:28]
	v_add_nc_u32_e32 v126, v9, v94
	v_mad_i64_i32 v[5:6], null, v5, 36, v[27:28]
	v_add_nc_u32_e32 v128, v9, v95
	;; [unrolled: 2-line block ×3, first 2 shown]
	v_mad_i64_i32 v[29:30], null, v29, 36, v[27:28]
	v_mad_i64_i32 v[122:123], null, v122, 36, v[27:28]
	;; [unrolled: 1-line block ×5, first 2 shown]
	s_clause 0x8
	global_load_dword v4, v[124:125], off
	global_load_dword v2, v[2:3], off offset:4
	global_load_dword v3, v[5:6], off offset:4
	;; [unrolled: 1-line block ×8, first 2 shown]
	v_mov_b32_e32 v122, v103
	v_mov_b32_e32 v123, v104
	;; [unrolled: 1-line block ×7, first 2 shown]
	s_waitcnt vmcnt(8)
	ds_write_b32 v88, v4
	s_waitcnt vmcnt(7)
	ds_write_b32 v114, v2
	;; [unrolled: 2-line block ×9, first 2 shown]
	s_waitcnt lgkmcnt(0)
	s_barrier
	buffer_gl0_inv
.LBB158_11:                             ;   Parent Loop BB158_6 Depth=1
                                        ; =>  This Inner Loop Header: Depth=2
	ds_read_b128 v[2:5], v123
	ds_read_b128 v[6:9], v123 offset:16
	ds_read2_b32 v[29:30], v122 offset1:32
	ds_read_b32 v130, v124
	ds_read2_b32 v[131:132], v128 offset1:1
	v_add_nc_u32_e32 v136, 0x2108, v128
	v_add_nc_u32_e32 v157, 0x3180, v128
	;; [unrolled: 1-line block ×3, first 2 shown]
	s_add_i32 s0, s0, 4
	s_cmp_lt_u32 s0, 28
	s_waitcnt lgkmcnt(2)
	v_cvt_f32_f16_sdwa v129, v29 dst_sel:DWORD dst_unused:UNUSED_PAD src0_sel:WORD_1
	s_waitcnt lgkmcnt(0)
	v_and_b32_e32 v149, 0xf0f0f0f, v131
	v_and_b32_e32 v151, 0xf0f0f0f, v132
	v_mul_f32_e32 v161, 0x41000000, v129
	v_lshrrev_b32_e32 v129, 4, v131
	v_lshrrev_b32_e32 v131, 4, v132
	v_and_b32_e32 v150, 0xf0f0f0f, v129
	v_mov_b32_e32 v129, 0
	v_and_b32_e32 v152, 0xf0f0f0f, v131
	ds_read2_b32 v[131:132], v128 offset0:2 offset1:3
	v_dot4c_i32_i8 v129, v149, v2
	v_dot4c_i32_i8 v129, v150, v6
	v_dot4c_i32_i8 v129, v151, v3
	v_dot4c_i32_i8 v129, v152, v7
	s_waitcnt lgkmcnt(0)
	v_and_b32_e32 v153, 0xf0f0f0f, v131
	v_lshrrev_b32_e32 v131, 4, v131
	v_and_b32_e32 v155, 0xf0f0f0f, v132
	v_dot4c_i32_i8 v129, v153, v4
	v_and_b32_e32 v154, 0xf0f0f0f, v131
	v_lshrrev_b32_e32 v131, 4, v132
	v_dot4c_i32_i8 v129, v154, v8
	v_and_b32_e32 v156, 0xf0f0f0f, v131
	v_dot4c_i32_i8 v129, v155, v5
	v_dot4c_i32_i8 v129, v156, v9
	v_cvt_f32_i32_e32 v129, v129
	v_fma_mix_f32 v129, v29, v129, -v161 op_sel_hi:[1,0,0]
	v_fmac_f32_e32 v51, v130, v129
	v_add_nc_u32_e32 v129, 0x1080, v128
	ds_read_b32 v137, v125
	ds_read2_b32 v[131:132], v129 offset1:1
	v_add_nc_u32_e32 v125, 4, v125
	s_waitcnt lgkmcnt(0)
	v_and_b32_e32 v141, 0xf0f0f0f, v131
	v_lshrrev_b32_e32 v129, 4, v131
	v_lshrrev_b32_e32 v131, 4, v132
	v_and_b32_e32 v143, 0xf0f0f0f, v132
	v_and_b32_e32 v142, 0xf0f0f0f, v129
	;; [unrolled: 1-line block ×3, first 2 shown]
	v_add_nc_u32_e32 v131, 0x1088, v128
	v_mov_b32_e32 v129, 0
	ds_read2_b32 v[131:132], v131 offset1:1
	v_dot4c_i32_i8 v129, v141, v2
	v_dot4c_i32_i8 v129, v142, v6
	;; [unrolled: 1-line block ×4, first 2 shown]
	s_waitcnt lgkmcnt(0)
	v_and_b32_e32 v145, 0xf0f0f0f, v131
	v_lshrrev_b32_e32 v131, 4, v131
	v_and_b32_e32 v147, 0xf0f0f0f, v132
	v_dot4c_i32_i8 v129, v145, v4
	v_and_b32_e32 v146, 0xf0f0f0f, v131
	v_lshrrev_b32_e32 v131, 4, v132
	v_dot4c_i32_i8 v129, v146, v8
	v_and_b32_e32 v148, 0xf0f0f0f, v131
	v_dot4c_i32_i8 v129, v147, v5
	v_dot4c_i32_i8 v129, v148, v9
	v_cvt_f32_i32_e32 v129, v129
	v_fma_mix_f32 v129, v29, v129, -v161 op_sel_hi:[1,0,0]
	v_fmac_f32_e32 v84, v137, v129
	v_add_nc_u32_e32 v129, 0x2100, v128
	ds_read_b32 v131, v126
	ds_read2_b32 v[134:135], v129 offset1:1
	ds_read2_b32 v[139:140], v136 offset1:1
	v_add_nc_u32_e32 v126, 4, v126
	s_waitcnt lgkmcnt(1)
	v_lshrrev_b32_e32 v129, 4, v134
	v_and_b32_e32 v132, 0xf0f0f0f, v134
	v_and_b32_e32 v134, 0xf0f0f0f, v135
	v_lshrrev_b32_e32 v135, 4, v135
	s_waitcnt lgkmcnt(0)
	v_and_b32_e32 v136, 0xf0f0f0f, v139
	v_and_b32_e32 v133, 0xf0f0f0f, v129
	v_mov_b32_e32 v129, 0
	v_lshrrev_b32_e32 v138, 4, v139
	v_and_b32_e32 v135, 0xf0f0f0f, v135
	v_and_b32_e32 v139, 0xf0f0f0f, v140
	v_lshrrev_b32_e32 v140, 4, v140
	v_dot4c_i32_i8 v129, v132, v2
	v_and_b32_e32 v138, 0xf0f0f0f, v138
	v_and_b32_e32 v140, 0xf0f0f0f, v140
	v_dot4c_i32_i8 v129, v133, v6
	v_dot4c_i32_i8 v129, v134, v3
	;; [unrolled: 1-line block ×7, first 2 shown]
	v_cvt_f32_i32_e32 v129, v129
	v_fma_mix_f32 v129, v29, v129, -v161 op_sel_hi:[1,0,0]
	v_fmac_f32_e32 v83, v131, v129
	ds_read_b32 v129, v127
	ds_read2_b32 v[162:163], v157 offset1:1
	v_add_nc_u32_e32 v127, 4, v127
	s_waitcnt lgkmcnt(0)
	v_and_b32_e32 v159, 0xf0f0f0f, v162
	v_lshrrev_b32_e32 v157, 4, v162
	v_mov_b32_e32 v162, 0
	v_and_b32_e32 v158, 0xf0f0f0f, v157
	v_dot4c_i32_i8 v162, v159, v2
	v_lshrrev_b32_e32 v2, 4, v163
	v_and_b32_e32 v157, 0xf0f0f0f, v163
	v_dot4c_i32_i8 v162, v158, v6
	v_and_b32_e32 v6, 0xf0f0f0f, v2
	v_add_nc_u32_e32 v2, 0x3188, v128
	v_add_nc_u32_e32 v128, 16, v128
	v_dot4c_i32_i8 v162, v157, v3
	ds_read2_b32 v[2:3], v2 offset1:1
	v_dot4c_i32_i8 v162, v6, v7
	s_waitcnt lgkmcnt(0)
	v_and_b32_e32 v7, 0xf0f0f0f, v2
	v_lshrrev_b32_e32 v2, 4, v2
	v_dot4c_i32_i8 v162, v7, v4
	v_and_b32_e32 v160, 0xf0f0f0f, v2
	v_lshrrev_b32_e32 v2, 4, v3
	v_dot4c_i32_i8 v162, v160, v8
	v_and_b32_e32 v8, 0xf0f0f0f, v3
	v_and_b32_e32 v4, 0xf0f0f0f, v2
	v_mov_b32_e32 v3, 0
	v_dot4c_i32_i8 v162, v8, v5
	v_dot4c_i32_i8 v162, v4, v9
	v_mov_b32_e32 v9, 0
	v_cvt_f32_i32_e32 v2, v162
	v_fma_mix_f32 v2, v29, v2, -v161 op_sel_hi:[1,0,0]
	ds_read_b128 v[161:164], v123 offset:1024
	ds_read_b128 v[165:168], v123 offset:1040
	v_fmac_f32_e32 v82, v129, v2
	v_cvt_f32_f16_sdwa v2, v30 dst_sel:DWORD dst_unused:UNUSED_PAD src0_sel:WORD_1
	v_mul_f32_e32 v2, 0x41000000, v2
	s_waitcnt lgkmcnt(1)
	v_dot4c_i32_i8 v3, v149, v161
	s_waitcnt lgkmcnt(0)
	v_dot4c_i32_i8 v3, v150, v165
	v_dot4c_i32_i8 v3, v151, v162
	v_dot4c_i32_i8 v3, v152, v166
	v_dot4c_i32_i8 v3, v153, v163
	v_dot4c_i32_i8 v3, v154, v167
	v_dot4c_i32_i8 v3, v155, v164
	v_dot4c_i32_i8 v3, v156, v168
	v_cvt_f32_i32_e32 v3, v3
	v_fma_mix_f32 v3, v3, v30, -v2 op_sel_hi:[0,1,0]
	v_fmac_f32_e32 v79, v130, v3
	v_mov_b32_e32 v3, 0
	v_dot4c_i32_i8 v3, v141, v161
	v_dot4c_i32_i8 v3, v142, v165
	v_dot4c_i32_i8 v3, v143, v162
	v_dot4c_i32_i8 v3, v144, v166
	v_dot4c_i32_i8 v3, v145, v163
	v_dot4c_i32_i8 v3, v146, v167
	v_dot4c_i32_i8 v3, v147, v164
	v_dot4c_i32_i8 v3, v148, v168
	v_cvt_f32_i32_e32 v3, v3
	v_fma_mix_f32 v3, v3, v30, -v2 op_sel_hi:[0,1,0]
	v_fmac_f32_e32 v73, v137, v3
	v_mov_b32_e32 v3, 0
	v_dot4c_i32_i8 v3, v132, v161
	;; [unrolled: 12-line block ×3, first 2 shown]
	v_dot4c_i32_i8 v3, v158, v165
	v_dot4c_i32_i8 v3, v157, v162
	;; [unrolled: 1-line block ×7, first 2 shown]
	v_cvt_f32_i32_e32 v3, v3
	v_fma_mix_f32 v2, v3, v30, -v2 op_sel_hi:[0,1,0]
	v_fmac_f32_e32 v65, v129, v2
	ds_read_b128 v[161:164], v123 offset:2048
	ds_read_b128 v[165:168], v123 offset:2064
	ds_read2_b32 v[2:3], v122 offset0:64 offset1:96
	s_waitcnt lgkmcnt(2)
	v_dot4c_i32_i8 v9, v149, v161
	s_waitcnt lgkmcnt(0)
	v_cvt_f32_f16_sdwa v5, v2 dst_sel:DWORD dst_unused:UNUSED_PAD src0_sel:WORD_1
	v_dot4c_i32_i8 v9, v150, v165
	v_mul_f32_e32 v5, 0x41000000, v5
	v_dot4c_i32_i8 v9, v151, v162
	v_dot4c_i32_i8 v9, v152, v166
	v_dot4c_i32_i8 v9, v153, v163
	v_dot4c_i32_i8 v9, v154, v167
	v_dot4c_i32_i8 v9, v155, v164
	v_dot4c_i32_i8 v9, v156, v168
	v_cvt_f32_i32_e32 v9, v9
	v_fma_mix_f32 v9, v9, v2, -v5 op_sel_hi:[0,1,0]
	v_fmac_f32_e32 v57, v130, v9
	v_mov_b32_e32 v9, 0
	v_dot4c_i32_i8 v9, v141, v161
	v_dot4c_i32_i8 v9, v142, v165
	v_dot4c_i32_i8 v9, v143, v162
	v_dot4c_i32_i8 v9, v144, v166
	v_dot4c_i32_i8 v9, v145, v163
	v_dot4c_i32_i8 v9, v146, v167
	v_dot4c_i32_i8 v9, v147, v164
	v_dot4c_i32_i8 v9, v148, v168
	v_cvt_f32_i32_e32 v9, v9
	v_fma_mix_f32 v9, v9, v2, -v5 op_sel_hi:[0,1,0]
	v_fmac_f32_e32 v56, v137, v9
	v_mov_b32_e32 v9, 0
	v_dot4c_i32_i8 v9, v132, v161
	v_dot4c_i32_i8 v9, v133, v165
	;; [unrolled: 12-line block ×3, first 2 shown]
	v_dot4c_i32_i8 v9, v157, v162
	v_dot4c_i32_i8 v9, v6, v166
	;; [unrolled: 1-line block ×6, first 2 shown]
	ds_read_b128 v[161:164], v123 offset:3072
	ds_read_b128 v[165:168], v123 offset:3088
	v_cvt_f32_i32_e32 v9, v9
	v_fma_mix_f32 v2, v9, v2, -v5 op_sel_hi:[0,1,0]
	v_mov_b32_e32 v5, 0
	v_mov_b32_e32 v9, 0
	v_fmac_f32_e32 v53, v129, v2
	v_cvt_f32_f16_sdwa v2, v3 dst_sel:DWORD dst_unused:UNUSED_PAD src0_sel:WORD_1
	s_waitcnt lgkmcnt(1)
	v_dot4c_i32_i8 v5, v149, v161
	v_mul_f32_e32 v2, 0x41000000, v2
	s_waitcnt lgkmcnt(0)
	v_dot4c_i32_i8 v5, v150, v165
	v_dot4c_i32_i8 v5, v151, v162
	v_dot4c_i32_i8 v5, v152, v166
	v_dot4c_i32_i8 v5, v153, v163
	v_dot4c_i32_i8 v5, v154, v167
	v_dot4c_i32_i8 v5, v155, v164
	v_dot4c_i32_i8 v5, v156, v168
	v_cvt_f32_i32_e32 v5, v5
	v_fma_mix_f32 v5, v5, v3, -v2 op_sel_hi:[0,1,0]
	v_fmac_f32_e32 v52, v130, v5
	v_mov_b32_e32 v5, 0
	v_dot4c_i32_i8 v5, v141, v161
	v_dot4c_i32_i8 v5, v142, v165
	v_dot4c_i32_i8 v5, v143, v162
	v_dot4c_i32_i8 v5, v144, v166
	v_dot4c_i32_i8 v5, v145, v163
	v_dot4c_i32_i8 v5, v146, v167
	v_dot4c_i32_i8 v5, v147, v164
	v_dot4c_i32_i8 v5, v148, v168
	v_cvt_f32_i32_e32 v5, v5
	v_fma_mix_f32 v5, v5, v3, -v2 op_sel_hi:[0,1,0]
	v_fmac_f32_e32 v50, v137, v5
	v_mov_b32_e32 v5, 0
	v_dot4c_i32_i8 v5, v132, v161
	;; [unrolled: 12-line block ×3, first 2 shown]
	v_dot4c_i32_i8 v5, v158, v165
	v_dot4c_i32_i8 v5, v157, v162
	;; [unrolled: 1-line block ×7, first 2 shown]
	v_cvt_f32_i32_e32 v5, v5
	v_fma_mix_f32 v2, v5, v3, -v2 op_sel_hi:[0,1,0]
	v_fmac_f32_e32 v47, v129, v2
	ds_read_b128 v[161:164], v123 offset:4096
	ds_read_b128 v[165:168], v123 offset:4112
	ds_read2_b32 v[2:3], v122 offset0:128 offset1:160
	s_waitcnt lgkmcnt(2)
	v_dot4c_i32_i8 v9, v149, v161
	s_waitcnt lgkmcnt(0)
	v_cvt_f32_f16_sdwa v5, v2 dst_sel:DWORD dst_unused:UNUSED_PAD src0_sel:WORD_1
	v_dot4c_i32_i8 v9, v150, v165
	v_mul_f32_e32 v5, 0x41000000, v5
	v_dot4c_i32_i8 v9, v151, v162
	v_dot4c_i32_i8 v9, v152, v166
	v_dot4c_i32_i8 v9, v153, v163
	v_dot4c_i32_i8 v9, v154, v167
	v_dot4c_i32_i8 v9, v155, v164
	v_dot4c_i32_i8 v9, v156, v168
	v_cvt_f32_i32_e32 v9, v9
	v_fma_mix_f32 v9, v9, v2, -v5 op_sel_hi:[0,1,0]
	v_fmac_f32_e32 v46, v130, v9
	v_mov_b32_e32 v9, 0
	v_dot4c_i32_i8 v9, v141, v161
	v_dot4c_i32_i8 v9, v142, v165
	v_dot4c_i32_i8 v9, v143, v162
	v_dot4c_i32_i8 v9, v144, v166
	v_dot4c_i32_i8 v9, v145, v163
	v_dot4c_i32_i8 v9, v146, v167
	v_dot4c_i32_i8 v9, v147, v164
	v_dot4c_i32_i8 v9, v148, v168
	v_cvt_f32_i32_e32 v9, v9
	v_fma_mix_f32 v9, v9, v2, -v5 op_sel_hi:[0,1,0]
	v_fmac_f32_e32 v45, v137, v9
	v_mov_b32_e32 v9, 0
	v_dot4c_i32_i8 v9, v132, v161
	v_dot4c_i32_i8 v9, v133, v165
	;; [unrolled: 12-line block ×3, first 2 shown]
	v_dot4c_i32_i8 v9, v157, v162
	v_dot4c_i32_i8 v9, v6, v166
	;; [unrolled: 1-line block ×6, first 2 shown]
	ds_read_b128 v[161:164], v123 offset:5120
	ds_read_b128 v[165:168], v123 offset:5136
	v_cvt_f32_i32_e32 v9, v9
	v_fma_mix_f32 v2, v9, v2, -v5 op_sel_hi:[0,1,0]
	v_mov_b32_e32 v5, 0
	v_mov_b32_e32 v9, 0
	v_fmac_f32_e32 v43, v129, v2
	v_cvt_f32_f16_sdwa v2, v3 dst_sel:DWORD dst_unused:UNUSED_PAD src0_sel:WORD_1
	s_waitcnt lgkmcnt(1)
	v_dot4c_i32_i8 v5, v149, v161
	v_mul_f32_e32 v2, 0x41000000, v2
	s_waitcnt lgkmcnt(0)
	v_dot4c_i32_i8 v5, v150, v165
	v_dot4c_i32_i8 v5, v151, v162
	v_dot4c_i32_i8 v5, v152, v166
	v_dot4c_i32_i8 v5, v153, v163
	v_dot4c_i32_i8 v5, v154, v167
	v_dot4c_i32_i8 v5, v155, v164
	v_dot4c_i32_i8 v5, v156, v168
	v_cvt_f32_i32_e32 v5, v5
	v_fma_mix_f32 v5, v5, v3, -v2 op_sel_hi:[0,1,0]
	v_fmac_f32_e32 v42, v130, v5
	v_mov_b32_e32 v5, 0
	v_dot4c_i32_i8 v5, v141, v161
	v_dot4c_i32_i8 v5, v142, v165
	v_dot4c_i32_i8 v5, v143, v162
	v_dot4c_i32_i8 v5, v144, v166
	v_dot4c_i32_i8 v5, v145, v163
	v_dot4c_i32_i8 v5, v146, v167
	v_dot4c_i32_i8 v5, v147, v164
	v_dot4c_i32_i8 v5, v148, v168
	v_cvt_f32_i32_e32 v5, v5
	v_fma_mix_f32 v5, v5, v3, -v2 op_sel_hi:[0,1,0]
	v_fmac_f32_e32 v41, v137, v5
	v_mov_b32_e32 v5, 0
	v_dot4c_i32_i8 v5, v132, v161
	;; [unrolled: 12-line block ×3, first 2 shown]
	v_dot4c_i32_i8 v5, v158, v165
	v_dot4c_i32_i8 v5, v157, v162
	;; [unrolled: 1-line block ×7, first 2 shown]
	v_cvt_f32_i32_e32 v5, v5
	v_fma_mix_f32 v2, v5, v3, -v2 op_sel_hi:[0,1,0]
	v_fmac_f32_e32 v39, v129, v2
	ds_read_b128 v[161:164], v123 offset:6144
	ds_read_b128 v[165:168], v123 offset:6160
	ds_read2_b32 v[2:3], v122 offset0:192 offset1:224
	v_add_nc_u32_e32 v122, 4, v122
	s_waitcnt lgkmcnt(2)
	v_dot4c_i32_i8 v9, v149, v161
	s_waitcnt lgkmcnt(0)
	v_cvt_f32_f16_sdwa v5, v2 dst_sel:DWORD dst_unused:UNUSED_PAD src0_sel:WORD_1
	v_dot4c_i32_i8 v9, v150, v165
	v_mul_f32_e32 v5, 0x41000000, v5
	v_dot4c_i32_i8 v9, v151, v162
	v_dot4c_i32_i8 v9, v152, v166
	v_dot4c_i32_i8 v9, v153, v163
	v_dot4c_i32_i8 v9, v154, v167
	v_dot4c_i32_i8 v9, v155, v164
	v_dot4c_i32_i8 v9, v156, v168
	v_cvt_f32_i32_e32 v9, v9
	v_fma_mix_f32 v9, v9, v2, -v5 op_sel_hi:[0,1,0]
	v_fmac_f32_e32 v38, v130, v9
	v_mov_b32_e32 v9, 0
	v_dot4c_i32_i8 v9, v141, v161
	v_dot4c_i32_i8 v9, v142, v165
	v_dot4c_i32_i8 v9, v143, v162
	v_dot4c_i32_i8 v9, v144, v166
	v_dot4c_i32_i8 v9, v145, v163
	v_dot4c_i32_i8 v9, v146, v167
	v_dot4c_i32_i8 v9, v147, v164
	v_dot4c_i32_i8 v9, v148, v168
	v_cvt_f32_i32_e32 v9, v9
	v_fma_mix_f32 v9, v9, v2, -v5 op_sel_hi:[0,1,0]
	v_fmac_f32_e32 v37, v137, v9
	v_mov_b32_e32 v9, 0
	v_dot4c_i32_i8 v9, v132, v161
	v_dot4c_i32_i8 v9, v133, v165
	;; [unrolled: 12-line block ×3, first 2 shown]
	v_dot4c_i32_i8 v9, v157, v162
	v_dot4c_i32_i8 v9, v6, v166
	;; [unrolled: 1-line block ×6, first 2 shown]
	ds_read_b128 v[161:164], v123 offset:7168
	ds_read_b128 v[165:168], v123 offset:7184
	v_add_nc_u32_e32 v123, 32, v123
	v_cvt_f32_i32_e32 v9, v9
	v_fma_mix_f32 v2, v9, v2, -v5 op_sel_hi:[0,1,0]
	v_mov_b32_e32 v5, 0
	v_fmac_f32_e32 v35, v129, v2
	v_cvt_f32_f16_sdwa v2, v3 dst_sel:DWORD dst_unused:UNUSED_PAD src0_sel:WORD_1
	s_waitcnt lgkmcnt(1)
	v_dot4c_i32_i8 v5, v149, v161
	v_mul_f32_e32 v2, 0x41000000, v2
	s_waitcnt lgkmcnt(0)
	v_dot4c_i32_i8 v5, v150, v165
	v_dot4c_i32_i8 v5, v151, v162
	v_dot4c_i32_i8 v5, v152, v166
	v_dot4c_i32_i8 v5, v153, v163
	v_dot4c_i32_i8 v5, v154, v167
	v_dot4c_i32_i8 v5, v155, v164
	v_dot4c_i32_i8 v5, v156, v168
	v_cvt_f32_i32_e32 v5, v5
	v_fma_mix_f32 v5, v5, v3, -v2 op_sel_hi:[0,1,0]
	v_fmac_f32_e32 v34, v130, v5
	v_mov_b32_e32 v5, 0
	v_dot4c_i32_i8 v5, v141, v161
	v_dot4c_i32_i8 v5, v142, v165
	v_dot4c_i32_i8 v5, v143, v162
	v_dot4c_i32_i8 v5, v144, v166
	v_dot4c_i32_i8 v5, v145, v163
	v_dot4c_i32_i8 v5, v146, v167
	v_dot4c_i32_i8 v5, v147, v164
	v_dot4c_i32_i8 v5, v148, v168
	v_cvt_f32_i32_e32 v5, v5
	v_fma_mix_f32 v5, v5, v3, -v2 op_sel_hi:[0,1,0]
	v_fmac_f32_e32 v33, v137, v5
	v_mov_b32_e32 v5, 0
	v_dot4c_i32_i8 v5, v132, v161
	;; [unrolled: 12-line block ×3, first 2 shown]
	v_dot4c_i32_i8 v5, v158, v165
	v_dot4c_i32_i8 v5, v157, v162
	;; [unrolled: 1-line block ×7, first 2 shown]
	v_cvt_f32_i32_e32 v4, v5
	v_fma_mix_f32 v2, v4, v3, -v2 op_sel_hi:[0,1,0]
	v_fmac_f32_e32 v31, v129, v2
	s_cbranch_scc1 .LBB158_11
; %bb.12:                               ;   in Loop: Header=BB158_6 Depth=1
	s_barrier
	buffer_gl0_inv
	s_branch .LBB158_5
.LBB158_13:
	v_mov_b32_e32 v2, v49
.LBB158_14:
	s_mov_b32 s0, exec_lo
	v_cmpx_gt_u32_e64 s10, v2
	s_cbranch_execz .LBB158_65
; %bb.15:
	v_add_nc_u32_e32 v0, s6, v0
	v_mul_lo_u32 v5, v2, s14
	v_cmp_gt_u32_e64 s0, s14, v0
	s_and_saveexec_b32 s1, s0
	s_cbranch_execz .LBB158_17
; %bb.16:
	v_add_nc_u32_e32 v2, v0, v5
	v_mov_b32_e32 v3, 0
	v_bfe_u32 v4, v51, 16, 1
	v_cmp_o_f32_e32 vcc_lo, v51, v51
	v_mov_b32_e32 v6, 0x7fc0
	v_lshlrev_b64 v[2:3], 1, v[2:3]
	v_add3_u32 v4, v51, v4, 0x7fff
	v_cndmask_b32_sdwa v4, v6, v4, vcc_lo dst_sel:DWORD dst_unused:UNUSED_PAD src0_sel:DWORD src1_sel:WORD_1
	s_waitcnt lgkmcnt(0)
	v_add_co_u32 v2, vcc_lo, s12, v2
	v_add_co_ci_u32_e64 v3, null, s13, v3, vcc_lo
	global_store_short v[2:3], v4, off
.LBB158_17:
	s_or_b32 exec_lo, exec_lo, s1
	v_add_nc_u32_e32 v2, 32, v0
	v_cmp_gt_u32_e64 s1, s14, v2
	s_and_saveexec_b32 s2, s1
	s_cbranch_execz .LBB158_19
; %bb.18:
	v_add_nc_u32_e32 v3, v2, v5
	v_mov_b32_e32 v4, 0
	v_bfe_u32 v6, v84, 16, 1
	v_cmp_o_f32_e32 vcc_lo, v84, v84
	v_mov_b32_e32 v7, 0x7fc0
	v_lshlrev_b64 v[3:4], 1, v[3:4]
	v_add3_u32 v6, v84, v6, 0x7fff
	v_cndmask_b32_sdwa v6, v7, v6, vcc_lo dst_sel:DWORD dst_unused:UNUSED_PAD src0_sel:DWORD src1_sel:WORD_1
	s_waitcnt lgkmcnt(0)
	v_add_co_u32 v3, vcc_lo, s12, v3
	v_add_co_ci_u32_e64 v4, null, s13, v4, vcc_lo
	global_store_short v[3:4], v6, off
.LBB158_19:
	s_or_b32 exec_lo, exec_lo, s2
	v_add_nc_u32_e32 v3, 64, v0
	v_cmp_gt_u32_e64 s2, s14, v3
	s_and_saveexec_b32 s3, s2
	s_cbranch_execz .LBB158_21
; %bb.20:
	v_add_nc_u32_e32 v6, v3, v5
	v_mov_b32_e32 v7, 0
	v_bfe_u32 v4, v83, 16, 1
	v_cmp_o_f32_e32 vcc_lo, v83, v83
	v_mov_b32_e32 v8, 0x7fc0
	v_lshlrev_b64 v[6:7], 1, v[6:7]
	v_add3_u32 v4, v83, v4, 0x7fff
	v_cndmask_b32_sdwa v4, v8, v4, vcc_lo dst_sel:DWORD dst_unused:UNUSED_PAD src0_sel:DWORD src1_sel:WORD_1
	s_waitcnt lgkmcnt(0)
	v_add_co_u32 v6, vcc_lo, s12, v6
	v_add_co_ci_u32_e64 v7, null, s13, v7, vcc_lo
	global_store_short v[6:7], v4, off
.LBB158_21:
	s_or_b32 exec_lo, exec_lo, s3
	v_add_nc_u32_e32 v4, 0x60, v0
	v_cmp_gt_u32_e64 s3, s14, v4
	s_and_saveexec_b32 s4, s3
	s_cbranch_execz .LBB158_23
; %bb.22:
	v_add_nc_u32_e32 v5, v4, v5
	v_mov_b32_e32 v6, 0
	v_bfe_u32 v7, v82, 16, 1
	v_cmp_o_f32_e32 vcc_lo, v82, v82
	v_mov_b32_e32 v8, 0x7fc0
	v_lshlrev_b64 v[5:6], 1, v[5:6]
	v_add3_u32 v7, v82, v7, 0x7fff
	v_cndmask_b32_sdwa v7, v8, v7, vcc_lo dst_sel:DWORD dst_unused:UNUSED_PAD src0_sel:DWORD src1_sel:WORD_1
	s_waitcnt lgkmcnt(0)
	v_add_co_u32 v5, vcc_lo, s12, v5
	v_add_co_ci_u32_e64 v6, null, s13, v6, vcc_lo
	global_store_short v[5:6], v7, off
.LBB158_23:
	s_or_b32 exec_lo, exec_lo, s4
	v_add3_u32 v5, v1, s7, 8
	v_cmp_gt_u32_e32 vcc_lo, s10, v5
	s_and_b32 exec_lo, exec_lo, vcc_lo
	s_cbranch_execz .LBB158_65
; %bb.24:
	v_mul_lo_u32 v5, v5, s14
	s_and_saveexec_b32 s4, s0
	s_cbranch_execnz .LBB158_66
; %bb.25:
	s_or_b32 exec_lo, exec_lo, s4
	s_and_saveexec_b32 s4, s1
	s_cbranch_execnz .LBB158_67
.LBB158_26:
	s_or_b32 exec_lo, exec_lo, s4
	s_and_saveexec_b32 s4, s2
	s_cbranch_execnz .LBB158_68
.LBB158_27:
	s_or_b32 exec_lo, exec_lo, s4
	s_and_saveexec_b32 s4, s3
	s_cbranch_execz .LBB158_29
.LBB158_28:
	v_add_nc_u32_e32 v5, v5, v4
	v_mov_b32_e32 v6, 0
	v_bfe_u32 v7, v65, 16, 1
	v_cmp_o_f32_e32 vcc_lo, v65, v65
	v_mov_b32_e32 v8, 0x7fc0
	v_lshlrev_b64 v[5:6], 1, v[5:6]
	v_add3_u32 v7, v65, v7, 0x7fff
	v_cndmask_b32_sdwa v7, v8, v7, vcc_lo dst_sel:DWORD dst_unused:UNUSED_PAD src0_sel:DWORD src1_sel:WORD_1
	s_waitcnt lgkmcnt(0)
	v_add_co_u32 v5, vcc_lo, s12, v5
	v_add_co_ci_u32_e64 v6, null, s13, v6, vcc_lo
	global_store_short v[5:6], v7, off
.LBB158_29:
	s_or_b32 exec_lo, exec_lo, s4
	v_add3_u32 v5, v1, s7, 16
	v_cmp_gt_u32_e32 vcc_lo, s10, v5
	s_and_b32 exec_lo, exec_lo, vcc_lo
	s_cbranch_execz .LBB158_65
; %bb.30:
	v_mul_lo_u32 v5, v5, s14
	s_and_saveexec_b32 s4, s0
	s_cbranch_execnz .LBB158_69
; %bb.31:
	s_or_b32 exec_lo, exec_lo, s4
	s_and_saveexec_b32 s4, s1
	s_cbranch_execnz .LBB158_70
.LBB158_32:
	s_or_b32 exec_lo, exec_lo, s4
	s_and_saveexec_b32 s4, s2
	s_cbranch_execnz .LBB158_71
.LBB158_33:
	s_or_b32 exec_lo, exec_lo, s4
	s_and_saveexec_b32 s4, s3
	s_cbranch_execz .LBB158_35
.LBB158_34:
	v_add_nc_u32_e32 v5, v5, v4
	v_mov_b32_e32 v6, 0
	v_bfe_u32 v7, v53, 16, 1
	v_cmp_o_f32_e32 vcc_lo, v53, v53
	v_mov_b32_e32 v8, 0x7fc0
	v_lshlrev_b64 v[5:6], 1, v[5:6]
	v_add3_u32 v7, v53, v7, 0x7fff
	v_cndmask_b32_sdwa v7, v8, v7, vcc_lo dst_sel:DWORD dst_unused:UNUSED_PAD src0_sel:DWORD src1_sel:WORD_1
	s_waitcnt lgkmcnt(0)
	v_add_co_u32 v5, vcc_lo, s12, v5
	v_add_co_ci_u32_e64 v6, null, s13, v6, vcc_lo
	global_store_short v[5:6], v7, off
.LBB158_35:
	s_or_b32 exec_lo, exec_lo, s4
	v_add3_u32 v5, v1, s7, 24
	v_cmp_gt_u32_e32 vcc_lo, s10, v5
	s_and_b32 exec_lo, exec_lo, vcc_lo
	s_cbranch_execz .LBB158_65
; %bb.36:
	v_mul_lo_u32 v5, v5, s14
	s_and_saveexec_b32 s4, s0
	s_cbranch_execnz .LBB158_72
; %bb.37:
	s_or_b32 exec_lo, exec_lo, s4
	s_and_saveexec_b32 s4, s1
	s_cbranch_execnz .LBB158_73
.LBB158_38:
	s_or_b32 exec_lo, exec_lo, s4
	s_and_saveexec_b32 s4, s2
	s_cbranch_execnz .LBB158_74
.LBB158_39:
	s_or_b32 exec_lo, exec_lo, s4
	s_and_saveexec_b32 s4, s3
	s_cbranch_execz .LBB158_41
.LBB158_40:
	v_add_nc_u32_e32 v5, v5, v4
	v_mov_b32_e32 v6, 0
	v_bfe_u32 v7, v47, 16, 1
	v_cmp_o_f32_e32 vcc_lo, v47, v47
	v_mov_b32_e32 v8, 0x7fc0
	v_lshlrev_b64 v[5:6], 1, v[5:6]
	v_add3_u32 v7, v47, v7, 0x7fff
	v_cndmask_b32_sdwa v7, v8, v7, vcc_lo dst_sel:DWORD dst_unused:UNUSED_PAD src0_sel:DWORD src1_sel:WORD_1
	s_waitcnt lgkmcnt(0)
	v_add_co_u32 v5, vcc_lo, s12, v5
	v_add_co_ci_u32_e64 v6, null, s13, v6, vcc_lo
	global_store_short v[5:6], v7, off
.LBB158_41:
	s_or_b32 exec_lo, exec_lo, s4
	v_add3_u32 v5, v1, s7, 32
	v_cmp_gt_u32_e32 vcc_lo, s10, v5
	s_and_b32 exec_lo, exec_lo, vcc_lo
	s_cbranch_execz .LBB158_65
; %bb.42:
	v_mul_lo_u32 v5, v5, s14
	s_and_saveexec_b32 s4, s0
	s_cbranch_execnz .LBB158_75
; %bb.43:
	s_or_b32 exec_lo, exec_lo, s4
	s_and_saveexec_b32 s4, s1
	s_cbranch_execnz .LBB158_76
.LBB158_44:
	s_or_b32 exec_lo, exec_lo, s4
	s_and_saveexec_b32 s4, s2
	s_cbranch_execnz .LBB158_77
.LBB158_45:
	s_or_b32 exec_lo, exec_lo, s4
	s_and_saveexec_b32 s4, s3
	s_cbranch_execz .LBB158_47
.LBB158_46:
	v_add_nc_u32_e32 v5, v5, v4
	v_mov_b32_e32 v6, 0
	v_bfe_u32 v7, v43, 16, 1
	v_cmp_o_f32_e32 vcc_lo, v43, v43
	v_mov_b32_e32 v8, 0x7fc0
	v_lshlrev_b64 v[5:6], 1, v[5:6]
	v_add3_u32 v7, v43, v7, 0x7fff
	v_cndmask_b32_sdwa v7, v8, v7, vcc_lo dst_sel:DWORD dst_unused:UNUSED_PAD src0_sel:DWORD src1_sel:WORD_1
	s_waitcnt lgkmcnt(0)
	v_add_co_u32 v5, vcc_lo, s12, v5
	v_add_co_ci_u32_e64 v6, null, s13, v6, vcc_lo
	global_store_short v[5:6], v7, off
.LBB158_47:
	s_or_b32 exec_lo, exec_lo, s4
	v_add3_u32 v5, v1, s7, 40
	v_cmp_gt_u32_e32 vcc_lo, s10, v5
	s_and_b32 exec_lo, exec_lo, vcc_lo
	s_cbranch_execz .LBB158_65
; %bb.48:
	v_mul_lo_u32 v5, v5, s14
	s_and_saveexec_b32 s4, s0
	s_cbranch_execnz .LBB158_78
; %bb.49:
	s_or_b32 exec_lo, exec_lo, s4
	s_and_saveexec_b32 s4, s1
	s_cbranch_execnz .LBB158_79
.LBB158_50:
	s_or_b32 exec_lo, exec_lo, s4
	s_and_saveexec_b32 s4, s2
	s_cbranch_execnz .LBB158_80
.LBB158_51:
	s_or_b32 exec_lo, exec_lo, s4
	s_and_saveexec_b32 s4, s3
	s_cbranch_execz .LBB158_53
.LBB158_52:
	v_add_nc_u32_e32 v5, v5, v4
	v_mov_b32_e32 v6, 0
	v_bfe_u32 v7, v39, 16, 1
	v_cmp_o_f32_e32 vcc_lo, v39, v39
	v_mov_b32_e32 v8, 0x7fc0
	v_lshlrev_b64 v[5:6], 1, v[5:6]
	v_add3_u32 v7, v39, v7, 0x7fff
	v_cndmask_b32_sdwa v7, v8, v7, vcc_lo dst_sel:DWORD dst_unused:UNUSED_PAD src0_sel:DWORD src1_sel:WORD_1
	s_waitcnt lgkmcnt(0)
	v_add_co_u32 v5, vcc_lo, s12, v5
	v_add_co_ci_u32_e64 v6, null, s13, v6, vcc_lo
	global_store_short v[5:6], v7, off
.LBB158_53:
	s_or_b32 exec_lo, exec_lo, s4
	v_add3_u32 v5, v1, s7, 48
	v_cmp_gt_u32_e32 vcc_lo, s10, v5
	s_and_b32 exec_lo, exec_lo, vcc_lo
	s_cbranch_execz .LBB158_65
; %bb.54:
	v_mul_lo_u32 v5, v5, s14
	s_and_saveexec_b32 s4, s0
	s_cbranch_execnz .LBB158_81
; %bb.55:
	s_or_b32 exec_lo, exec_lo, s4
	s_and_saveexec_b32 s4, s1
	s_cbranch_execnz .LBB158_82
.LBB158_56:
	s_or_b32 exec_lo, exec_lo, s4
	s_and_saveexec_b32 s4, s2
	s_cbranch_execnz .LBB158_83
.LBB158_57:
	s_or_b32 exec_lo, exec_lo, s4
	s_and_saveexec_b32 s4, s3
	s_cbranch_execz .LBB158_59
.LBB158_58:
	v_add_nc_u32_e32 v5, v5, v4
	v_mov_b32_e32 v6, 0
	v_bfe_u32 v7, v35, 16, 1
	v_cmp_o_f32_e32 vcc_lo, v35, v35
	v_mov_b32_e32 v8, 0x7fc0
	v_lshlrev_b64 v[5:6], 1, v[5:6]
	v_add3_u32 v7, v35, v7, 0x7fff
	v_cndmask_b32_sdwa v7, v8, v7, vcc_lo dst_sel:DWORD dst_unused:UNUSED_PAD src0_sel:DWORD src1_sel:WORD_1
	s_waitcnt lgkmcnt(0)
	v_add_co_u32 v5, vcc_lo, s12, v5
	v_add_co_ci_u32_e64 v6, null, s13, v6, vcc_lo
	global_store_short v[5:6], v7, off
.LBB158_59:
	s_or_b32 exec_lo, exec_lo, s4
	v_add3_u32 v1, v1, s7, 56
	v_cmp_gt_u32_e32 vcc_lo, s10, v1
	s_and_b32 exec_lo, exec_lo, vcc_lo
	s_cbranch_execz .LBB158_65
; %bb.60:
	v_mul_lo_u32 v1, v1, s14
	s_and_saveexec_b32 s4, s0
	s_cbranch_execnz .LBB158_84
; %bb.61:
	s_or_b32 exec_lo, exec_lo, s4
	s_and_saveexec_b32 s0, s1
	s_cbranch_execnz .LBB158_85
.LBB158_62:
	s_or_b32 exec_lo, exec_lo, s0
	s_and_saveexec_b32 s0, s2
	s_cbranch_execnz .LBB158_86
.LBB158_63:
	s_or_b32 exec_lo, exec_lo, s0
	s_and_b32 exec_lo, exec_lo, s3
	s_cbranch_execz .LBB158_65
.LBB158_64:
	v_add_nc_u32_e32 v0, v1, v4
	v_mov_b32_e32 v1, 0
	v_bfe_u32 v2, v31, 16, 1
	v_cmp_o_f32_e32 vcc_lo, v31, v31
	v_mov_b32_e32 v3, 0x7fc0
	v_lshlrev_b64 v[0:1], 1, v[0:1]
	v_add3_u32 v2, v31, v2, 0x7fff
	v_cndmask_b32_sdwa v2, v3, v2, vcc_lo dst_sel:DWORD dst_unused:UNUSED_PAD src0_sel:DWORD src1_sel:WORD_1
	s_waitcnt lgkmcnt(0)
	v_add_co_u32 v0, vcc_lo, s12, v0
	v_add_co_ci_u32_e64 v1, null, s13, v1, vcc_lo
	global_store_short v[0:1], v2, off
.LBB158_65:
	s_endpgm
.LBB158_66:
	v_add_nc_u32_e32 v6, v5, v0
	v_mov_b32_e32 v7, 0
	v_bfe_u32 v8, v79, 16, 1
	v_cmp_o_f32_e32 vcc_lo, v79, v79
	v_mov_b32_e32 v9, 0x7fc0
	v_lshlrev_b64 v[6:7], 1, v[6:7]
	v_add3_u32 v8, v79, v8, 0x7fff
	v_cndmask_b32_sdwa v8, v9, v8, vcc_lo dst_sel:DWORD dst_unused:UNUSED_PAD src0_sel:DWORD src1_sel:WORD_1
	s_waitcnt lgkmcnt(0)
	v_add_co_u32 v6, vcc_lo, s12, v6
	v_add_co_ci_u32_e64 v7, null, s13, v7, vcc_lo
	global_store_short v[6:7], v8, off
	s_or_b32 exec_lo, exec_lo, s4
	s_and_saveexec_b32 s4, s1
	s_cbranch_execz .LBB158_26
.LBB158_67:
	v_add_nc_u32_e32 v6, v5, v2
	v_mov_b32_e32 v7, 0
	v_bfe_u32 v8, v73, 16, 1
	v_cmp_o_f32_e32 vcc_lo, v73, v73
	v_mov_b32_e32 v9, 0x7fc0
	v_lshlrev_b64 v[6:7], 1, v[6:7]
	v_add3_u32 v8, v73, v8, 0x7fff
	v_cndmask_b32_sdwa v8, v9, v8, vcc_lo dst_sel:DWORD dst_unused:UNUSED_PAD src0_sel:DWORD src1_sel:WORD_1
	s_waitcnt lgkmcnt(0)
	v_add_co_u32 v6, vcc_lo, s12, v6
	v_add_co_ci_u32_e64 v7, null, s13, v7, vcc_lo
	global_store_short v[6:7], v8, off
	s_or_b32 exec_lo, exec_lo, s4
	s_and_saveexec_b32 s4, s2
	s_cbranch_execz .LBB158_27
.LBB158_68:
	v_add_nc_u32_e32 v6, v5, v3
	v_mov_b32_e32 v7, 0
	v_bfe_u32 v8, v70, 16, 1
	v_cmp_o_f32_e32 vcc_lo, v70, v70
	v_mov_b32_e32 v9, 0x7fc0
	v_lshlrev_b64 v[6:7], 1, v[6:7]
	v_add3_u32 v8, v70, v8, 0x7fff
	v_cndmask_b32_sdwa v8, v9, v8, vcc_lo dst_sel:DWORD dst_unused:UNUSED_PAD src0_sel:DWORD src1_sel:WORD_1
	s_waitcnt lgkmcnt(0)
	v_add_co_u32 v6, vcc_lo, s12, v6
	v_add_co_ci_u32_e64 v7, null, s13, v7, vcc_lo
	global_store_short v[6:7], v8, off
	s_or_b32 exec_lo, exec_lo, s4
	s_and_saveexec_b32 s4, s3
	s_cbranch_execnz .LBB158_28
	s_branch .LBB158_29
.LBB158_69:
	v_add_nc_u32_e32 v6, v5, v0
	v_mov_b32_e32 v7, 0
	v_bfe_u32 v8, v57, 16, 1
	v_cmp_o_f32_e32 vcc_lo, v57, v57
	v_mov_b32_e32 v9, 0x7fc0
	v_lshlrev_b64 v[6:7], 1, v[6:7]
	v_add3_u32 v8, v57, v8, 0x7fff
	v_cndmask_b32_sdwa v8, v9, v8, vcc_lo dst_sel:DWORD dst_unused:UNUSED_PAD src0_sel:DWORD src1_sel:WORD_1
	s_waitcnt lgkmcnt(0)
	v_add_co_u32 v6, vcc_lo, s12, v6
	v_add_co_ci_u32_e64 v7, null, s13, v7, vcc_lo
	global_store_short v[6:7], v8, off
	s_or_b32 exec_lo, exec_lo, s4
	s_and_saveexec_b32 s4, s1
	s_cbranch_execz .LBB158_32
.LBB158_70:
	v_add_nc_u32_e32 v6, v5, v2
	v_mov_b32_e32 v7, 0
	v_bfe_u32 v8, v56, 16, 1
	v_cmp_o_f32_e32 vcc_lo, v56, v56
	v_mov_b32_e32 v9, 0x7fc0
	v_lshlrev_b64 v[6:7], 1, v[6:7]
	v_add3_u32 v8, v56, v8, 0x7fff
	v_cndmask_b32_sdwa v8, v9, v8, vcc_lo dst_sel:DWORD dst_unused:UNUSED_PAD src0_sel:DWORD src1_sel:WORD_1
	s_waitcnt lgkmcnt(0)
	v_add_co_u32 v6, vcc_lo, s12, v6
	v_add_co_ci_u32_e64 v7, null, s13, v7, vcc_lo
	global_store_short v[6:7], v8, off
	s_or_b32 exec_lo, exec_lo, s4
	s_and_saveexec_b32 s4, s2
	s_cbranch_execz .LBB158_33
.LBB158_71:
	v_add_nc_u32_e32 v6, v5, v3
	v_mov_b32_e32 v7, 0
	v_bfe_u32 v8, v54, 16, 1
	v_cmp_o_f32_e32 vcc_lo, v54, v54
	v_mov_b32_e32 v9, 0x7fc0
	v_lshlrev_b64 v[6:7], 1, v[6:7]
	v_add3_u32 v8, v54, v8, 0x7fff
	v_cndmask_b32_sdwa v8, v9, v8, vcc_lo dst_sel:DWORD dst_unused:UNUSED_PAD src0_sel:DWORD src1_sel:WORD_1
	s_waitcnt lgkmcnt(0)
	v_add_co_u32 v6, vcc_lo, s12, v6
	v_add_co_ci_u32_e64 v7, null, s13, v7, vcc_lo
	global_store_short v[6:7], v8, off
	s_or_b32 exec_lo, exec_lo, s4
	s_and_saveexec_b32 s4, s3
	s_cbranch_execnz .LBB158_34
	s_branch .LBB158_35
.LBB158_72:
	v_add_nc_u32_e32 v6, v5, v0
	v_mov_b32_e32 v7, 0
	v_bfe_u32 v8, v52, 16, 1
	v_cmp_o_f32_e32 vcc_lo, v52, v52
	v_mov_b32_e32 v9, 0x7fc0
	v_lshlrev_b64 v[6:7], 1, v[6:7]
	v_add3_u32 v8, v52, v8, 0x7fff
	v_cndmask_b32_sdwa v8, v9, v8, vcc_lo dst_sel:DWORD dst_unused:UNUSED_PAD src0_sel:DWORD src1_sel:WORD_1
	s_waitcnt lgkmcnt(0)
	v_add_co_u32 v6, vcc_lo, s12, v6
	v_add_co_ci_u32_e64 v7, null, s13, v7, vcc_lo
	global_store_short v[6:7], v8, off
	s_or_b32 exec_lo, exec_lo, s4
	s_and_saveexec_b32 s4, s1
	s_cbranch_execz .LBB158_38
.LBB158_73:
	v_add_nc_u32_e32 v6, v5, v2
	v_mov_b32_e32 v7, 0
	v_bfe_u32 v8, v50, 16, 1
	v_cmp_o_f32_e32 vcc_lo, v50, v50
	v_mov_b32_e32 v9, 0x7fc0
	v_lshlrev_b64 v[6:7], 1, v[6:7]
	v_add3_u32 v8, v50, v8, 0x7fff
	v_cndmask_b32_sdwa v8, v9, v8, vcc_lo dst_sel:DWORD dst_unused:UNUSED_PAD src0_sel:DWORD src1_sel:WORD_1
	s_waitcnt lgkmcnt(0)
	v_add_co_u32 v6, vcc_lo, s12, v6
	v_add_co_ci_u32_e64 v7, null, s13, v7, vcc_lo
	global_store_short v[6:7], v8, off
	s_or_b32 exec_lo, exec_lo, s4
	s_and_saveexec_b32 s4, s2
	s_cbranch_execz .LBB158_39
.LBB158_74:
	v_add_nc_u32_e32 v6, v5, v3
	v_mov_b32_e32 v7, 0
	v_bfe_u32 v8, v48, 16, 1
	v_cmp_o_f32_e32 vcc_lo, v48, v48
	v_mov_b32_e32 v9, 0x7fc0
	v_lshlrev_b64 v[6:7], 1, v[6:7]
	v_add3_u32 v8, v48, v8, 0x7fff
	v_cndmask_b32_sdwa v8, v9, v8, vcc_lo dst_sel:DWORD dst_unused:UNUSED_PAD src0_sel:DWORD src1_sel:WORD_1
	s_waitcnt lgkmcnt(0)
	v_add_co_u32 v6, vcc_lo, s12, v6
	v_add_co_ci_u32_e64 v7, null, s13, v7, vcc_lo
	global_store_short v[6:7], v8, off
	s_or_b32 exec_lo, exec_lo, s4
	s_and_saveexec_b32 s4, s3
	s_cbranch_execnz .LBB158_40
	s_branch .LBB158_41
.LBB158_75:
	v_add_nc_u32_e32 v6, v5, v0
	v_mov_b32_e32 v7, 0
	v_bfe_u32 v8, v46, 16, 1
	v_cmp_o_f32_e32 vcc_lo, v46, v46
	v_mov_b32_e32 v9, 0x7fc0
	v_lshlrev_b64 v[6:7], 1, v[6:7]
	v_add3_u32 v8, v46, v8, 0x7fff
	v_cndmask_b32_sdwa v8, v9, v8, vcc_lo dst_sel:DWORD dst_unused:UNUSED_PAD src0_sel:DWORD src1_sel:WORD_1
	s_waitcnt lgkmcnt(0)
	v_add_co_u32 v6, vcc_lo, s12, v6
	v_add_co_ci_u32_e64 v7, null, s13, v7, vcc_lo
	global_store_short v[6:7], v8, off
	s_or_b32 exec_lo, exec_lo, s4
	s_and_saveexec_b32 s4, s1
	s_cbranch_execz .LBB158_44
.LBB158_76:
	v_add_nc_u32_e32 v6, v5, v2
	v_mov_b32_e32 v7, 0
	v_bfe_u32 v8, v45, 16, 1
	v_cmp_o_f32_e32 vcc_lo, v45, v45
	v_mov_b32_e32 v9, 0x7fc0
	v_lshlrev_b64 v[6:7], 1, v[6:7]
	v_add3_u32 v8, v45, v8, 0x7fff
	v_cndmask_b32_sdwa v8, v9, v8, vcc_lo dst_sel:DWORD dst_unused:UNUSED_PAD src0_sel:DWORD src1_sel:WORD_1
	s_waitcnt lgkmcnt(0)
	v_add_co_u32 v6, vcc_lo, s12, v6
	v_add_co_ci_u32_e64 v7, null, s13, v7, vcc_lo
	global_store_short v[6:7], v8, off
	s_or_b32 exec_lo, exec_lo, s4
	s_and_saveexec_b32 s4, s2
	s_cbranch_execz .LBB158_45
.LBB158_77:
	v_add_nc_u32_e32 v6, v5, v3
	v_mov_b32_e32 v7, 0
	v_bfe_u32 v8, v44, 16, 1
	v_cmp_o_f32_e32 vcc_lo, v44, v44
	v_mov_b32_e32 v9, 0x7fc0
	v_lshlrev_b64 v[6:7], 1, v[6:7]
	v_add3_u32 v8, v44, v8, 0x7fff
	v_cndmask_b32_sdwa v8, v9, v8, vcc_lo dst_sel:DWORD dst_unused:UNUSED_PAD src0_sel:DWORD src1_sel:WORD_1
	s_waitcnt lgkmcnt(0)
	v_add_co_u32 v6, vcc_lo, s12, v6
	v_add_co_ci_u32_e64 v7, null, s13, v7, vcc_lo
	global_store_short v[6:7], v8, off
	s_or_b32 exec_lo, exec_lo, s4
	s_and_saveexec_b32 s4, s3
	s_cbranch_execnz .LBB158_46
	s_branch .LBB158_47
.LBB158_78:
	v_add_nc_u32_e32 v6, v5, v0
	v_mov_b32_e32 v7, 0
	v_bfe_u32 v8, v42, 16, 1
	v_cmp_o_f32_e32 vcc_lo, v42, v42
	v_mov_b32_e32 v9, 0x7fc0
	v_lshlrev_b64 v[6:7], 1, v[6:7]
	v_add3_u32 v8, v42, v8, 0x7fff
	v_cndmask_b32_sdwa v8, v9, v8, vcc_lo dst_sel:DWORD dst_unused:UNUSED_PAD src0_sel:DWORD src1_sel:WORD_1
	s_waitcnt lgkmcnt(0)
	v_add_co_u32 v6, vcc_lo, s12, v6
	v_add_co_ci_u32_e64 v7, null, s13, v7, vcc_lo
	global_store_short v[6:7], v8, off
	s_or_b32 exec_lo, exec_lo, s4
	s_and_saveexec_b32 s4, s1
	s_cbranch_execz .LBB158_50
.LBB158_79:
	v_add_nc_u32_e32 v6, v5, v2
	v_mov_b32_e32 v7, 0
	v_bfe_u32 v8, v41, 16, 1
	v_cmp_o_f32_e32 vcc_lo, v41, v41
	v_mov_b32_e32 v9, 0x7fc0
	v_lshlrev_b64 v[6:7], 1, v[6:7]
	v_add3_u32 v8, v41, v8, 0x7fff
	v_cndmask_b32_sdwa v8, v9, v8, vcc_lo dst_sel:DWORD dst_unused:UNUSED_PAD src0_sel:DWORD src1_sel:WORD_1
	s_waitcnt lgkmcnt(0)
	v_add_co_u32 v6, vcc_lo, s12, v6
	v_add_co_ci_u32_e64 v7, null, s13, v7, vcc_lo
	global_store_short v[6:7], v8, off
	s_or_b32 exec_lo, exec_lo, s4
	s_and_saveexec_b32 s4, s2
	s_cbranch_execz .LBB158_51
.LBB158_80:
	v_add_nc_u32_e32 v6, v5, v3
	v_mov_b32_e32 v7, 0
	v_bfe_u32 v8, v40, 16, 1
	v_cmp_o_f32_e32 vcc_lo, v40, v40
	v_mov_b32_e32 v9, 0x7fc0
	v_lshlrev_b64 v[6:7], 1, v[6:7]
	v_add3_u32 v8, v40, v8, 0x7fff
	v_cndmask_b32_sdwa v8, v9, v8, vcc_lo dst_sel:DWORD dst_unused:UNUSED_PAD src0_sel:DWORD src1_sel:WORD_1
	s_waitcnt lgkmcnt(0)
	v_add_co_u32 v6, vcc_lo, s12, v6
	v_add_co_ci_u32_e64 v7, null, s13, v7, vcc_lo
	global_store_short v[6:7], v8, off
	s_or_b32 exec_lo, exec_lo, s4
	s_and_saveexec_b32 s4, s3
	s_cbranch_execnz .LBB158_52
	s_branch .LBB158_53
.LBB158_81:
	v_add_nc_u32_e32 v6, v5, v0
	v_mov_b32_e32 v7, 0
	v_bfe_u32 v8, v38, 16, 1
	v_cmp_o_f32_e32 vcc_lo, v38, v38
	v_mov_b32_e32 v9, 0x7fc0
	v_lshlrev_b64 v[6:7], 1, v[6:7]
	v_add3_u32 v8, v38, v8, 0x7fff
	v_cndmask_b32_sdwa v8, v9, v8, vcc_lo dst_sel:DWORD dst_unused:UNUSED_PAD src0_sel:DWORD src1_sel:WORD_1
	s_waitcnt lgkmcnt(0)
	v_add_co_u32 v6, vcc_lo, s12, v6
	v_add_co_ci_u32_e64 v7, null, s13, v7, vcc_lo
	global_store_short v[6:7], v8, off
	s_or_b32 exec_lo, exec_lo, s4
	s_and_saveexec_b32 s4, s1
	s_cbranch_execz .LBB158_56
.LBB158_82:
	v_add_nc_u32_e32 v6, v5, v2
	v_mov_b32_e32 v7, 0
	v_bfe_u32 v8, v37, 16, 1
	v_cmp_o_f32_e32 vcc_lo, v37, v37
	v_mov_b32_e32 v9, 0x7fc0
	v_lshlrev_b64 v[6:7], 1, v[6:7]
	v_add3_u32 v8, v37, v8, 0x7fff
	v_cndmask_b32_sdwa v8, v9, v8, vcc_lo dst_sel:DWORD dst_unused:UNUSED_PAD src0_sel:DWORD src1_sel:WORD_1
	s_waitcnt lgkmcnt(0)
	v_add_co_u32 v6, vcc_lo, s12, v6
	v_add_co_ci_u32_e64 v7, null, s13, v7, vcc_lo
	global_store_short v[6:7], v8, off
	s_or_b32 exec_lo, exec_lo, s4
	s_and_saveexec_b32 s4, s2
	s_cbranch_execz .LBB158_57
.LBB158_83:
	v_add_nc_u32_e32 v6, v5, v3
	v_mov_b32_e32 v7, 0
	v_bfe_u32 v8, v36, 16, 1
	v_cmp_o_f32_e32 vcc_lo, v36, v36
	v_mov_b32_e32 v9, 0x7fc0
	v_lshlrev_b64 v[6:7], 1, v[6:7]
	v_add3_u32 v8, v36, v8, 0x7fff
	v_cndmask_b32_sdwa v8, v9, v8, vcc_lo dst_sel:DWORD dst_unused:UNUSED_PAD src0_sel:DWORD src1_sel:WORD_1
	s_waitcnt lgkmcnt(0)
	v_add_co_u32 v6, vcc_lo, s12, v6
	v_add_co_ci_u32_e64 v7, null, s13, v7, vcc_lo
	global_store_short v[6:7], v8, off
	s_or_b32 exec_lo, exec_lo, s4
	s_and_saveexec_b32 s4, s3
	s_cbranch_execnz .LBB158_58
	s_branch .LBB158_59
.LBB158_84:
	v_add_nc_u32_e32 v5, v1, v0
	v_mov_b32_e32 v6, 0
	v_bfe_u32 v7, v34, 16, 1
	v_cmp_o_f32_e32 vcc_lo, v34, v34
	v_mov_b32_e32 v0, 0x7fc0
	v_lshlrev_b64 v[5:6], 1, v[5:6]
	v_add3_u32 v7, v34, v7, 0x7fff
	v_cndmask_b32_sdwa v0, v0, v7, vcc_lo dst_sel:DWORD dst_unused:UNUSED_PAD src0_sel:DWORD src1_sel:WORD_1
	s_waitcnt lgkmcnt(0)
	v_add_co_u32 v5, vcc_lo, s12, v5
	v_add_co_ci_u32_e64 v6, null, s13, v6, vcc_lo
	global_store_short v[5:6], v0, off
	s_or_b32 exec_lo, exec_lo, s4
	s_and_saveexec_b32 s0, s1
	s_cbranch_execz .LBB158_62
.LBB158_85:
	v_add_nc_u32_e32 v5, v1, v2
	v_mov_b32_e32 v6, 0
	v_bfe_u32 v0, v33, 16, 1
	v_cmp_o_f32_e32 vcc_lo, v33, v33
	v_mov_b32_e32 v2, 0x7fc0
	v_lshlrev_b64 v[5:6], 1, v[5:6]
	v_add3_u32 v0, v33, v0, 0x7fff
	v_cndmask_b32_sdwa v0, v2, v0, vcc_lo dst_sel:DWORD dst_unused:UNUSED_PAD src0_sel:DWORD src1_sel:WORD_1
	s_waitcnt lgkmcnt(0)
	v_add_co_u32 v5, vcc_lo, s12, v5
	v_add_co_ci_u32_e64 v6, null, s13, v6, vcc_lo
	global_store_short v[5:6], v0, off
	s_or_b32 exec_lo, exec_lo, s0
	s_and_saveexec_b32 s0, s2
	s_cbranch_execz .LBB158_63
.LBB158_86:
	v_add_nc_u32_e32 v2, v1, v3
	v_mov_b32_e32 v3, 0
	v_bfe_u32 v0, v32, 16, 1
	v_cmp_o_f32_e32 vcc_lo, v32, v32
	v_mov_b32_e32 v5, 0x7fc0
	v_lshlrev_b64 v[2:3], 1, v[2:3]
	v_add3_u32 v0, v32, v0, 0x7fff
	v_cndmask_b32_sdwa v0, v5, v0, vcc_lo dst_sel:DWORD dst_unused:UNUSED_PAD src0_sel:DWORD src1_sel:WORD_1
	s_waitcnt lgkmcnt(0)
	v_add_co_u32 v2, vcc_lo, s12, v2
	v_add_co_ci_u32_e64 v3, null, s13, v3, vcc_lo
	global_store_short v[2:3], v0, off
	s_or_b32 exec_lo, exec_lo, s0
	s_and_b32 exec_lo, exec_lo, s3
	s_cbranch_execnz .LBB158_64
	s_branch .LBB158_65
	.section	.rodata,"a",@progbits
	.p2align	6, 0x0
	.amdhsa_kernel _ZL12mul_mat_q4_0IN3c108BFloat16ELb1EEvPKvS3_PT_iiiii
		.amdhsa_group_segment_fixed_size 30336
		.amdhsa_private_segment_fixed_size 0
		.amdhsa_kernarg_size 44
		.amdhsa_user_sgpr_count 6
		.amdhsa_user_sgpr_private_segment_buffer 1
		.amdhsa_user_sgpr_dispatch_ptr 0
		.amdhsa_user_sgpr_queue_ptr 0
		.amdhsa_user_sgpr_kernarg_segment_ptr 1
		.amdhsa_user_sgpr_dispatch_id 0
		.amdhsa_user_sgpr_flat_scratch_init 0
		.amdhsa_user_sgpr_private_segment_size 0
		.amdhsa_wavefront_size32 1
		.amdhsa_uses_dynamic_stack 0
		.amdhsa_system_sgpr_private_segment_wavefront_offset 0
		.amdhsa_system_sgpr_workgroup_id_x 1
		.amdhsa_system_sgpr_workgroup_id_y 1
		.amdhsa_system_sgpr_workgroup_id_z 0
		.amdhsa_system_sgpr_workgroup_info 0
		.amdhsa_system_vgpr_workitem_id 1
		.amdhsa_next_free_vgpr 169
		.amdhsa_next_free_sgpr 15
		.amdhsa_reserve_vcc 1
		.amdhsa_reserve_flat_scratch 0
		.amdhsa_float_round_mode_32 0
		.amdhsa_float_round_mode_16_64 0
		.amdhsa_float_denorm_mode_32 3
		.amdhsa_float_denorm_mode_16_64 3
		.amdhsa_dx10_clamp 1
		.amdhsa_ieee_mode 1
		.amdhsa_fp16_overflow 0
		.amdhsa_workgroup_processor_mode 1
		.amdhsa_memory_ordered 1
		.amdhsa_forward_progress 1
		.amdhsa_shared_vgpr_count 0
		.amdhsa_exception_fp_ieee_invalid_op 0
		.amdhsa_exception_fp_denorm_src 0
		.amdhsa_exception_fp_ieee_div_zero 0
		.amdhsa_exception_fp_ieee_overflow 0
		.amdhsa_exception_fp_ieee_underflow 0
		.amdhsa_exception_fp_ieee_inexact 0
		.amdhsa_exception_int_div_zero 0
	.end_amdhsa_kernel
	.section	.text._ZL12mul_mat_q4_0IN3c108BFloat16ELb1EEvPKvS3_PT_iiiii,"axG",@progbits,_ZL12mul_mat_q4_0IN3c108BFloat16ELb1EEvPKvS3_PT_iiiii,comdat
.Lfunc_end158:
	.size	_ZL12mul_mat_q4_0IN3c108BFloat16ELb1EEvPKvS3_PT_iiiii, .Lfunc_end158-_ZL12mul_mat_q4_0IN3c108BFloat16ELb1EEvPKvS3_PT_iiiii
                                        ; -- End function
	.set _ZL12mul_mat_q4_0IN3c108BFloat16ELb1EEvPKvS3_PT_iiiii.num_vgpr, 169
	.set _ZL12mul_mat_q4_0IN3c108BFloat16ELb1EEvPKvS3_PT_iiiii.num_agpr, 0
	.set _ZL12mul_mat_q4_0IN3c108BFloat16ELb1EEvPKvS3_PT_iiiii.numbered_sgpr, 15
	.set _ZL12mul_mat_q4_0IN3c108BFloat16ELb1EEvPKvS3_PT_iiiii.num_named_barrier, 0
	.set _ZL12mul_mat_q4_0IN3c108BFloat16ELb1EEvPKvS3_PT_iiiii.private_seg_size, 0
	.set _ZL12mul_mat_q4_0IN3c108BFloat16ELb1EEvPKvS3_PT_iiiii.uses_vcc, 1
	.set _ZL12mul_mat_q4_0IN3c108BFloat16ELb1EEvPKvS3_PT_iiiii.uses_flat_scratch, 0
	.set _ZL12mul_mat_q4_0IN3c108BFloat16ELb1EEvPKvS3_PT_iiiii.has_dyn_sized_stack, 0
	.set _ZL12mul_mat_q4_0IN3c108BFloat16ELb1EEvPKvS3_PT_iiiii.has_recursion, 0
	.set _ZL12mul_mat_q4_0IN3c108BFloat16ELb1EEvPKvS3_PT_iiiii.has_indirect_call, 0
	.section	.AMDGPU.csdata,"",@progbits
; Kernel info:
; codeLenInByte = 12028
; TotalNumSgprs: 17
; NumVgprs: 169
; ScratchSize: 0
; MemoryBound: 0
; FloatMode: 240
; IeeeMode: 1
; LDSByteSize: 30336 bytes/workgroup (compile time only)
; SGPRBlocks: 0
; VGPRBlocks: 21
; NumSGPRsForWavesPerEU: 17
; NumVGPRsForWavesPerEU: 169
; Occupancy: 5
; WaveLimiterHint : 0
; COMPUTE_PGM_RSRC2:SCRATCH_EN: 0
; COMPUTE_PGM_RSRC2:USER_SGPR: 6
; COMPUTE_PGM_RSRC2:TRAP_HANDLER: 0
; COMPUTE_PGM_RSRC2:TGID_X_EN: 1
; COMPUTE_PGM_RSRC2:TGID_Y_EN: 1
; COMPUTE_PGM_RSRC2:TGID_Z_EN: 0
; COMPUTE_PGM_RSRC2:TIDIG_COMP_CNT: 1
	.section	.text._ZL12mul_mat_q4_1IN3c108BFloat16ELb0EEvPKvS3_PT_iiiii,"axG",@progbits,_ZL12mul_mat_q4_1IN3c108BFloat16ELb0EEvPKvS3_PT_iiiii,comdat
	.globl	_ZL12mul_mat_q4_1IN3c108BFloat16ELb0EEvPKvS3_PT_iiiii ; -- Begin function _ZL12mul_mat_q4_1IN3c108BFloat16ELb0EEvPKvS3_PT_iiiii
	.p2align	8
	.type	_ZL12mul_mat_q4_1IN3c108BFloat16ELb0EEvPKvS3_PT_iiiii,@function
_ZL12mul_mat_q4_1IN3c108BFloat16ELb0EEvPKvS3_PT_iiiii: ; @_ZL12mul_mat_q4_1IN3c108BFloat16ELb0EEvPKvS3_PT_iiiii
; %bb.0:
	s_clause 0x1
	s_load_dword s14, s[4:5], 0x18
	s_load_dwordx4 s[8:11], s[4:5], 0x20
	s_lshl_b32 s7, s7, 6
	v_add_nc_u32_e32 v35, s7, v1
	s_waitcnt lgkmcnt(0)
	s_cmp_gt_i32 s14, 31
	s_cbranch_scc1 .LBB159_2
; %bb.1:
	v_add_nc_u32_e32 v2, s7, v1
	s_mov_b32 s0, 0
	s_branch .LBB159_3
.LBB159_2:
	s_mov_b32 s0, -1
                                        ; implicit-def: $vgpr2
.LBB159_3:
	s_load_dwordx2 s[12:13], s[4:5], 0x10
	v_mov_b32_e32 v15, 0
	v_mov_b32_e32 v19, 0
	;; [unrolled: 1-line block ×32, first 2 shown]
	s_andn2_b32 vcc_lo, exec_lo, s0
	s_lshl_b32 s6, s6, 7
	s_cbranch_vccnz .LBB159_14
; %bb.4:
	s_load_dwordx4 s[0:3], s[4:5], 0x0
	s_ashr_i32 s4, s14, 31
	s_ashr_i32 s5, s9, 31
	s_lshr_b32 s4, s4, 27
	s_lshr_b32 s5, s5, 27
	s_add_i32 s11, s14, s4
	s_add_i32 s5, s9, s5
	s_ashr_i32 s4, s11, 5
	s_ashr_i32 s14, s5, 5
	s_mul_i32 s9, s4, s6
	v_add_nc_u32_e32 v12, 40, v35
	s_mul_i32 s5, s9, 20
	s_mul_hi_i32 s9, s9, 20
	v_add_nc_u32_e32 v14, 48, v35
	v_cvt_f64_u32_e32 v[2:3], v35
	v_add_nc_u32_e32 v16, 56, v35
	v_cvt_f64_u32_e32 v[12:13], v12
	v_mul_lo_u32 v47, s4, v1
	v_cvt_f64_u32_e32 v[14:15], v14
	v_add_nc_u32_e32 v4, 8, v35
	s_waitcnt lgkmcnt(0)
	s_add_u32 s5, s0, s5
	s_addc_u32 s9, s1, s9
	s_add_i32 s1, s8, -1
	v_add_nc_u32_e32 v6, 16, v35
	v_cvt_f64_i32_e32 v[18:19], s1
	v_add_nc_u32_e32 v8, 24, v35
	v_add_nc_u32_e32 v10, 32, v35
	v_cvt_f64_u32_e32 v[16:17], v16
	s_lshl_b32 s0, s4, 3
	v_cvt_f64_u32_e32 v[4:5], v4
	v_add_nc_u32_e32 v48, s0, v47
	v_cvt_f64_u32_e32 v[6:7], v6
	v_cvt_f64_u32_e32 v[8:9], v8
	;; [unrolled: 1-line block ×3, first 2 shown]
	v_lshrrev_b32_e32 v41, 2, v0
	v_add_nc_u32_e32 v50, s0, v48
	v_lshrrev_b32_e32 v44, 3, v0
	v_lshlrev_b32_e32 v20, 2, v0
	v_and_b32_e32 v43, 7, v0
	v_lshl_add_u32 v23, v1, 3, v41
	v_add_nc_u32_e32 v54, s0, v50
	v_lshl_add_u32 v21, v1, 2, v44
	s_andn2_b32 s11, s11, 31
	v_and_b32_e32 v51, 12, v20
	v_and_b32_e32 v23, 63, v23
	v_add_nc_u32_e32 v55, s0, v54
	v_min_f64 v[2:3], v[2:3], v[18:19]
	v_min_f64 v[12:13], v[12:13], v[18:19]
	;; [unrolled: 1-line block ×4, first 2 shown]
	v_add_nc_u32_e32 v56, s0, v55
	v_min_f64 v[4:5], v[4:5], v[18:19]
	v_mul_lo_u32 v67, s4, v21
	v_min_f64 v[6:7], v[6:7], v[18:19]
	v_min_f64 v[8:9], v[8:9], v[18:19]
	;; [unrolled: 1-line block ×3, first 2 shown]
	v_add_nc_u32_e32 v59, s0, v56
	v_and_b32_e32 v24, 0x7fc, v21
	v_lshlrev_b32_e32 v25, 5, v21
	v_add_nc_u32_e32 v26, 32, v21
	v_add_nc_u32_e32 v27, 64, v21
	;; [unrolled: 1-line block ×4, first 2 shown]
	v_mad_u32_u24 v52, 0x84, v1, v20
	v_lshlrev_b32_e32 v22, 2, v43
	v_and_b32_e32 v28, 0xffc, v26
	v_add_nc_u32_e32 v68, s0, v64
	v_and_b32_e32 v29, 0xffc, v27
	v_cvt_i32_f64_e32 v3, v[2:3]
	v_cvt_i32_f64_e32 v12, v[12:13]
	;; [unrolled: 1-line block ×3, first 2 shown]
	v_add_nc_u32_e32 v69, s0, v68
	v_cvt_i32_f64_e32 v14, v[16:17]
	v_cvt_i32_f64_e32 v4, v[4:5]
	v_and_b32_e32 v2, 3, v0
	v_cvt_i32_f64_e32 v5, v[6:7]
	v_add_nc_u32_e32 v70, s0, v69
	v_cvt_i32_f64_e32 v6, v[8:9]
	v_cvt_i32_f64_e32 v8, v[10:11]
	v_or_b32_e32 v9, s7, v23
	v_lshlrev_b32_e32 v10, 2, v2
	v_add_nc_u32_e32 v71, s0, v70
	v_and_b32_e32 v11, 31, v0
	v_add_nc_u32_e32 v73, s11, v67
	v_min_i32_e32 v9, s1, v9
	v_lshl_or_b32 v16, v23, 4, v10
	v_add_nc_u32_e32 v72, s0, v71
	v_lshl_or_b32 v17, v11, 2, 0x4200
	v_and_b32_e32 v30, 0xffc, v21
	v_lshlrev_b32_e32 v7, 5, v21
	v_mad_u64_u32 v[10:11], null, v9, s14, v[2:3]
	v_mul_lo_u32 v85, s14, v12
	v_mul_lo_u32 v86, s14, v13
	v_add_nc_u32_e32 v11, 0x60, v0
	v_add_nc_u32_e32 v12, 64, v0
	;; [unrolled: 1-line block ×4, first 2 shown]
	v_and_b32_e32 v15, 28, v20
	v_lshlrev_b32_e32 v20, 7, v1
	v_add_nc_u32_e32 v79, 0x7280, v16
	v_mul_lo_u32 v87, s14, v14
	v_lshlrev_b32_e32 v14, 5, v0
	v_and_b32_e32 v11, 0x1fc, v11
	v_and_b32_e32 v12, 0x1fc, v12
	;; [unrolled: 1-line block ×4, first 2 shown]
	v_add_nc_u32_e32 v76, s0, v74
	v_add3_u32 v24, v24, v22, 0x6200
	v_lshlrev_b32_e32 v26, 5, v26
	v_lshlrev_b32_e32 v18, 5, v27
	v_add_nc_u32_e32 v75, s11, v73
	v_add3_u32 v19, v28, v22, 0x6200
	v_add3_u32 v27, v29, v22, 0x6200
	v_add3_u32 v22, v30, v22, 0x6200
	v_mul_lo_u32 v80, s14, v3
	v_mul_lo_u32 v81, s14, v4
	v_add_nc_u32_e32 v2, 0x400, v20
	v_mul_lo_u32 v82, s14, v5
	v_add_nc_u32_e32 v3, 0x800, v20
	;; [unrolled: 2-line block ×4, first 2 shown]
	v_add_nc_u32_e32 v6, 0x1400, v20
	v_add_nc_u32_e32 v8, 0x1800, v20
	;; [unrolled: 1-line block ×3, first 2 shown]
	v_lshrrev_b32_e32 v89, 3, v13
	v_add_nc_u32_e32 v13, v14, v11
	v_add_nc_u32_e32 v23, v14, v12
	;; [unrolled: 1-line block ×5, first 2 shown]
	v_add_co_u32 v11, s0, s2, v15
	v_mov_b32_e32 v36, 0
	v_add_nc_u32_e32 v60, 0x2940, v52
	v_add_nc_u32_e32 v61, 0x2d60, v52
	;; [unrolled: 1-line block ×7, first 2 shown]
	v_mul_u32_u24_e32 v88, 0x84, v0
	v_add_co_ci_u32_e64 v12, null, s3, 0, s0
	v_add_nc_u32_e32 v90, 0x6e00, v13
	v_add_nc_u32_e32 v91, 0x6a00, v23
	;; [unrolled: 1-line block ×4, first 2 shown]
	v_lshl_add_u32 v94, v1, 4, 0x7280
	v_add_nc_u32_e32 v95, 0x4200, v20
	v_mad_u32_u24 v96, 0x84, v0, 64
	v_add_nc_u32_e32 v97, 0x6e10, v13
	v_add_nc_u32_e32 v98, 0x6a10, v23
	;; [unrolled: 1-line block ×16, first 2 shown]
	v_mov_b32_e32 v49, 0
	v_mov_b32_e32 v40, 0
	;; [unrolled: 1-line block ×31, first 2 shown]
	s_add_i32 s11, s4, 3
	s_mov_b32 s14, 0
	s_branch .LBB159_6
.LBB159_5:                              ;   in Loop: Header=BB159_6 Depth=1
	s_add_i32 s14, s14, 8
	s_add_i32 s11, s11, -8
	s_cmp_ge_i32 s14, s4
	s_cbranch_scc1 .LBB159_13
.LBB159_6:                              ; =>This Loop Header: Depth=1
                                        ;     Child Loop BB159_8 Depth 2
                                        ;     Child Loop BB159_11 Depth 2
	s_mul_i32 s0, s14, 20
	s_mul_hi_u32 s1, s14, 20
	s_add_u32 s0, s5, s0
	s_addc_u32 s1, s9, s1
	s_cmp_gt_u32 s11, 3
	v_mad_u64_u32 v[2:3], null, v41, 20, s[0:1]
	v_mad_u64_u32 v[4:5], null, v47, 20, v[2:3]
	v_add_co_u32 v4, vcc_lo, v4, v51
	v_add_co_ci_u32_e64 v5, null, 0, v5, vcc_lo
	global_load_dword v4, v[4:5], off offset:4
	s_waitcnt vmcnt(0)
	ds_write_b32 v52, v4
	v_mad_u64_u32 v[4:5], null, v48, 20, v[2:3]
	v_add_co_u32 v4, vcc_lo, v4, v51
	v_add_co_ci_u32_e64 v5, null, 0, v5, vcc_lo
	global_load_dword v4, v[4:5], off offset:4
	v_add_nc_u32_e32 v5, 0x420, v52
	s_waitcnt vmcnt(0)
	ds_write_b32 v5, v4
	v_mad_u64_u32 v[4:5], null, v50, 20, v[2:3]
	v_add_co_u32 v4, vcc_lo, v4, v51
	v_add_co_ci_u32_e64 v5, null, 0, v5, vcc_lo
	global_load_dword v4, v[4:5], off offset:4
	v_add_nc_u32_e32 v5, 0x840, v52
	;; [unrolled: 7-line block ×9, first 2 shown]
	s_waitcnt vmcnt(0)
	ds_write_b32 v5, v4
	v_mad_u64_u32 v[4:5], null, v70, 20, v[2:3]
	v_add_co_u32 v4, vcc_lo, v4, v51
	v_add_co_ci_u32_e64 v5, null, 0, v5, vcc_lo
	global_load_dword v4, v[4:5], off offset:4
	s_waitcnt vmcnt(0)
	ds_write_b32 v60, v4
	v_mad_u64_u32 v[4:5], null, v71, 20, v[2:3]
	v_add_co_u32 v4, vcc_lo, v4, v51
	v_add_co_ci_u32_e64 v5, null, 0, v5, vcc_lo
	global_load_dword v4, v[4:5], off offset:4
	;; [unrolled: 6-line block ×4, first 2 shown]
	s_waitcnt vmcnt(0)
	ds_write_b32 v63, v4
	v_mad_u64_u32 v[4:5], null, v76, 20, v[2:3]
	v_mad_u64_u32 v[2:3], null, v78, 20, v[2:3]
	v_add_co_u32 v4, vcc_lo, v4, v51
	v_add_co_ci_u32_e64 v5, null, 0, v5, vcc_lo
	v_add_co_u32 v2, vcc_lo, v2, v51
	v_add_co_ci_u32_e64 v3, null, 0, v3, vcc_lo
	s_clause 0x1
	global_load_dword v4, v[4:5], off offset:4
	global_load_dword v2, v[2:3], off offset:4
	s_waitcnt vmcnt(1)
	ds_write_b32 v65, v4
	s_waitcnt vmcnt(0)
	ds_write_b32 v66, v2
	v_mad_u64_u32 v[2:3], null, v43, 20, s[0:1]
	v_mad_u64_u32 v[4:5], null, v67, 20, v[2:3]
	global_load_dword v4, v[4:5], off
	s_waitcnt vmcnt(0)
	ds_write_b32 v101, v4
	v_mad_u64_u32 v[4:5], null, v73, 20, v[2:3]
	global_load_dword v4, v[4:5], off
	s_waitcnt vmcnt(0)
	ds_write_b32 v102, v4
	v_mad_u64_u32 v[4:5], null, v75, 20, v[2:3]
	v_mad_u64_u32 v[2:3], null, v77, 20, v[2:3]
	s_clause 0x1
	global_load_dword v4, v[4:5], off
	global_load_dword v2, v[2:3], off
	s_waitcnt vmcnt(1)
	ds_write_b32 v103, v4
	s_waitcnt vmcnt(0)
	ds_write_b32 v104, v2
	s_cbranch_scc0 .LBB159_5
; %bb.7:                                ;   in Loop: Header=BB159_6 Depth=1
	v_add_nc_u32_e32 v116, s14, v44
	v_add_nc_u32_e32 v113, s14, v10
	s_mov_b32 s0, -4
	v_add_nc_u32_e32 v2, v116, v80
	v_add_nc_u32_e32 v4, v116, v81
	;; [unrolled: 1-line block ×5, first 2 shown]
	v_mad_u64_u32 v[114:115], null, v113, 36, s[2:3]
	v_mad_i64_i32 v[2:3], null, v2, 36, v[11:12]
	v_add_nc_u32_e32 v117, v116, v85
	v_mad_i64_i32 v[4:5], null, v4, 36, v[11:12]
	v_add_nc_u32_e32 v118, v116, v86
	;; [unrolled: 2-line block ×3, first 2 shown]
	v_mad_i64_i32 v[8:9], null, v8, 36, v[11:12]
	v_mad_i64_i32 v[13:14], null, v13, 36, v[11:12]
	;; [unrolled: 1-line block ×5, first 2 shown]
	s_clause 0x8
	global_load_dword v122, v[114:115], off
	global_load_dword v2, v[2:3], off offset:4
	global_load_dword v3, v[4:5], off offset:4
	;; [unrolled: 1-line block ×8, first 2 shown]
	v_mov_b32_e32 v114, v95
	v_mov_b32_e32 v115, v94
	;; [unrolled: 1-line block ×7, first 2 shown]
	s_waitcnt vmcnt(8)
	ds_write_b32 v79, v122
	s_waitcnt vmcnt(7)
	ds_write_b32 v105, v2
	s_waitcnt vmcnt(6)
	ds_write_b32 v106, v3
	s_waitcnt vmcnt(5)
	ds_write_b32 v107, v4
	s_waitcnt vmcnt(4)
	ds_write_b32 v108, v5
	s_waitcnt vmcnt(3)
	ds_write_b32 v109, v6
	s_waitcnt vmcnt(2)
	ds_write_b32 v110, v7
	s_waitcnt vmcnt(1)
	ds_write_b32 v111, v8
	s_waitcnt vmcnt(0)
	ds_write_b32 v112, v9
	s_waitcnt lgkmcnt(0)
	s_barrier
	buffer_gl0_inv
.LBB159_8:                              ;   Parent Loop BB159_6 Depth=1
                                        ; =>  This Inner Loop Header: Depth=2
	ds_read_b128 v[2:5], v114
	ds_read_b128 v[6:9], v114 offset:16
	ds_read2_b32 v[13:14], v115 offset1:32
	ds_read_b32 v139, v116
	ds_read2_b32 v[121:122], v120 offset1:1
	v_mov_b32_e32 v123, 0
	v_add_nc_u32_e32 v126, 0x2108, v120
	v_mov_b32_e32 v140, 0
	v_mov_b32_e32 v155, 0
	v_add_nc_u32_e32 v116, 4, v116
	s_add_i32 s0, s0, 4
	s_cmp_lt_u32 s0, 12
	s_waitcnt lgkmcnt(0)
	v_and_b32_e32 v141, 0xf0f0f0f, v121
	v_lshrrev_b32_e32 v121, 4, v121
	v_and_b32_e32 v143, 0xf0f0f0f, v122
	v_dot4c_i32_i8 v123, v141, v2
	v_and_b32_e32 v142, 0xf0f0f0f, v121
	v_lshrrev_b32_e32 v121, 4, v122
	v_dot4c_i32_i8 v123, v142, v6
	v_and_b32_e32 v144, 0xf0f0f0f, v121
	ds_read2_b32 v[121:122], v120 offset0:2 offset1:3
	v_dot4c_i32_i8 v123, v143, v3
	v_dot4c_i32_i8 v123, v144, v7
	s_waitcnt lgkmcnt(0)
	v_and_b32_e32 v145, 0xf0f0f0f, v121
	v_lshrrev_b32_e32 v121, 4, v121
	v_and_b32_e32 v147, 0xf0f0f0f, v122
	v_dot4c_i32_i8 v123, v145, v4
	v_and_b32_e32 v146, 0xf0f0f0f, v121
	v_lshrrev_b32_e32 v121, 4, v122
	v_dot4c_i32_i8 v123, v146, v8
	v_and_b32_e32 v148, 0xf0f0f0f, v121
	v_pk_mul_f16 v121, v13, v139
	v_dot4c_i32_i8 v123, v147, v5
	v_dot4c_i32_i8 v123, v148, v9
	v_cvt_f32_i32_e32 v122, v123
	v_mov_b32_e32 v123, 0
	v_fma_mix_f32 v121, v121, v122, v121 op_sel:[0,0,1] op_sel_hi:[1,0,1]
	v_add_f32_e32 v36, v36, v121
	v_add_nc_u32_e32 v121, 0x1080, v120
	ds_read_b32 v130, v117
	ds_read2_b32 v[121:122], v121 offset1:1
	v_add_nc_u32_e32 v117, 4, v117
	s_waitcnt lgkmcnt(0)
	v_and_b32_e32 v131, 0xf0f0f0f, v121
	v_lshrrev_b32_e32 v121, 4, v121
	v_and_b32_e32 v133, 0xf0f0f0f, v122
	v_dot4c_i32_i8 v123, v131, v2
	v_and_b32_e32 v132, 0xf0f0f0f, v121
	v_lshrrev_b32_e32 v121, 4, v122
	v_dot4c_i32_i8 v123, v132, v6
	v_and_b32_e32 v134, 0xf0f0f0f, v121
	v_add_nc_u32_e32 v121, 0x1088, v120
	v_dot4c_i32_i8 v123, v133, v3
	ds_read2_b32 v[121:122], v121 offset1:1
	v_dot4c_i32_i8 v123, v134, v7
	s_waitcnt lgkmcnt(0)
	v_and_b32_e32 v135, 0xf0f0f0f, v121
	v_lshrrev_b32_e32 v121, 4, v121
	v_and_b32_e32 v137, 0xf0f0f0f, v122
	v_dot4c_i32_i8 v123, v135, v4
	v_and_b32_e32 v136, 0xf0f0f0f, v121
	v_lshrrev_b32_e32 v121, 4, v122
	v_dot4c_i32_i8 v123, v136, v8
	v_and_b32_e32 v138, 0xf0f0f0f, v121
	v_pk_mul_f16 v121, v13, v130
	v_dot4c_i32_i8 v123, v137, v5
	v_dot4c_i32_i8 v123, v138, v9
	v_cvt_f32_i32_e32 v122, v123
	v_fma_mix_f32 v121, v121, v122, v121 op_sel:[0,0,1] op_sel_hi:[1,0,1]
	v_add_nc_u32_e32 v122, 0x2100, v120
	v_add_f32_e32 v58, v58, v121
	ds_read_b32 v121, v118
	ds_read2_b32 v[124:125], v122 offset1:1
	ds_read2_b32 v[128:129], v126 offset1:1
	v_add_nc_u32_e32 v118, 4, v118
	s_waitcnt lgkmcnt(2)
	v_pk_mul_f16 v149, v13, v121
	s_waitcnt lgkmcnt(1)
	v_and_b32_e32 v122, 0xf0f0f0f, v124
	v_lshrrev_b32_e32 v123, 4, v124
	v_and_b32_e32 v124, 0xf0f0f0f, v125
	v_lshrrev_b32_e32 v125, 4, v125
	s_waitcnt lgkmcnt(0)
	v_and_b32_e32 v126, 0xf0f0f0f, v128
	v_dot4c_i32_i8 v140, v122, v2
	v_and_b32_e32 v123, 0xf0f0f0f, v123
	v_lshrrev_b32_e32 v127, 4, v128
	v_and_b32_e32 v125, 0xf0f0f0f, v125
	v_and_b32_e32 v128, 0xf0f0f0f, v129
	v_lshrrev_b32_e32 v129, 4, v129
	v_dot4c_i32_i8 v140, v123, v6
	v_and_b32_e32 v127, 0xf0f0f0f, v127
	v_and_b32_e32 v129, 0xf0f0f0f, v129
	v_dot4c_i32_i8 v140, v124, v3
	v_dot4c_i32_i8 v140, v125, v7
	;; [unrolled: 1-line block ×6, first 2 shown]
	v_cvt_f32_i32_e32 v140, v140
	v_fma_mix_f32 v140, v149, v140, v149 op_sel:[0,0,1] op_sel_hi:[1,0,1]
	v_add_nc_u32_e32 v149, 0x3180, v120
	v_add_f32_e32 v57, v57, v140
	ds_read_b32 v140, v119
	ds_read2_b32 v[153:154], v149 offset1:1
	v_add_nc_u32_e32 v119, 4, v119
	s_waitcnt lgkmcnt(0)
	v_and_b32_e32 v152, 0xf0f0f0f, v153
	v_lshrrev_b32_e32 v149, 4, v153
	v_and_b32_e32 v151, 0xf0f0f0f, v154
	v_dot4c_i32_i8 v155, v152, v2
	v_and_b32_e32 v150, 0xf0f0f0f, v149
	v_lshrrev_b32_e32 v2, 4, v154
	v_dot4c_i32_i8 v155, v150, v6
	v_and_b32_e32 v149, 0xf0f0f0f, v2
	v_add_nc_u32_e32 v2, 0x3188, v120
	v_mov_b32_e32 v6, 0
	v_add_nc_u32_e32 v120, 16, v120
	v_dot4c_i32_i8 v155, v151, v3
	ds_read2_b32 v[2:3], v2 offset1:1
	v_dot4c_i32_i8 v155, v149, v7
	s_waitcnt lgkmcnt(0)
	v_and_b32_e32 v7, 0xf0f0f0f, v2
	v_lshrrev_b32_e32 v2, 4, v2
	v_and_b32_e32 v154, 0xf0f0f0f, v3
	v_dot4c_i32_i8 v155, v7, v4
	v_and_b32_e32 v153, 0xf0f0f0f, v2
	v_lshrrev_b32_e32 v2, 4, v3
	v_dot4c_i32_i8 v155, v153, v8
	v_and_b32_e32 v8, 0xf0f0f0f, v2
	v_pk_mul_f16 v2, v13, v140
	v_dot4c_i32_i8 v155, v154, v5
	v_dot4c_i32_i8 v155, v8, v9
	v_pk_mul_f16 v9, v139, v14
	v_cvt_f32_i32_e32 v3, v155
	v_fma_mix_f32 v2, v2, v3, v2 op_sel:[0,0,1] op_sel_hi:[1,0,1]
	v_add_f32_e32 v53, v53, v2
	ds_read_b128 v[2:5], v114 offset:1024
	ds_read_b128 v[155:158], v114 offset:1040
	s_waitcnt lgkmcnt(1)
	v_dot4c_i32_i8 v6, v141, v2
	s_waitcnt lgkmcnt(0)
	v_dot4c_i32_i8 v6, v142, v155
	v_dot4c_i32_i8 v6, v143, v3
	;; [unrolled: 1-line block ×7, first 2 shown]
	v_cvt_f32_i32_e32 v6, v6
	v_fma_mix_f32 v6, v6, v9, v9 op_sel:[0,0,1] op_sel_hi:[0,1,1]
	v_pk_mul_f16 v9, v130, v14
	v_add_f32_e32 v49, v49, v6
	v_mov_b32_e32 v6, 0
	v_dot4c_i32_i8 v6, v131, v2
	v_dot4c_i32_i8 v6, v132, v155
	;; [unrolled: 1-line block ×8, first 2 shown]
	v_cvt_f32_i32_e32 v6, v6
	v_fma_mix_f32 v6, v6, v9, v9 op_sel:[0,0,1] op_sel_hi:[0,1,1]
	v_pk_mul_f16 v9, v121, v14
	v_add_f32_e32 v46, v46, v6
	v_mov_b32_e32 v6, 0
	v_dot4c_i32_i8 v6, v122, v2
	v_dot4c_i32_i8 v6, v123, v155
	;; [unrolled: 1-line block ×8, first 2 shown]
	v_cvt_f32_i32_e32 v6, v6
	v_fma_mix_f32 v6, v6, v9, v9 op_sel:[0,0,1] op_sel_hi:[0,1,1]
	v_mov_b32_e32 v9, 0
	v_add_f32_e32 v45, v45, v6
	v_mov_b32_e32 v6, 0
	v_dot4c_i32_i8 v6, v152, v2
	v_pk_mul_f16 v2, v140, v14
	v_dot4c_i32_i8 v6, v150, v155
	v_dot4c_i32_i8 v6, v151, v3
	;; [unrolled: 1-line block ×4, first 2 shown]
	v_mov_b32_e32 v4, 0
	v_dot4c_i32_i8 v6, v153, v157
	v_dot4c_i32_i8 v6, v154, v5
	;; [unrolled: 1-line block ×3, first 2 shown]
	v_cvt_f32_i32_e32 v3, v6
	v_fma_mix_f32 v2, v3, v2, v2 op_sel:[0,0,1] op_sel_hi:[0,1,1]
	v_add_f32_e32 v42, v42, v2
	ds_read_b128 v[155:158], v114 offset:2048
	ds_read_b128 v[159:162], v114 offset:2064
	ds_read2_b32 v[2:3], v115 offset0:64 offset1:96
	s_waitcnt lgkmcnt(2)
	v_dot4c_i32_i8 v4, v141, v155
	s_waitcnt lgkmcnt(0)
	v_pk_mul_f16 v5, v139, v2
	v_dot4c_i32_i8 v4, v142, v159
	v_dot4c_i32_i8 v4, v143, v156
	v_dot4c_i32_i8 v4, v144, v160
	v_dot4c_i32_i8 v4, v145, v157
	v_dot4c_i32_i8 v4, v146, v161
	v_dot4c_i32_i8 v4, v147, v158
	v_dot4c_i32_i8 v4, v148, v162
	v_cvt_f32_i32_e32 v4, v4
	v_fma_mix_f32 v4, v4, v5, v5 op_sel:[0,0,1] op_sel_hi:[0,1,1]
	v_pk_mul_f16 v5, v130, v2
	v_add_f32_e32 v40, v40, v4
	v_mov_b32_e32 v4, 0
	v_dot4c_i32_i8 v4, v131, v155
	v_dot4c_i32_i8 v4, v132, v159
	;; [unrolled: 1-line block ×8, first 2 shown]
	v_cvt_f32_i32_e32 v4, v4
	v_fma_mix_f32 v4, v4, v5, v5 op_sel:[0,0,1] op_sel_hi:[0,1,1]
	v_pk_mul_f16 v5, v121, v2
	v_pk_mul_f16 v2, v140, v2
	v_add_f32_e32 v39, v39, v4
	v_mov_b32_e32 v4, 0
	v_dot4c_i32_i8 v4, v122, v155
	v_dot4c_i32_i8 v4, v123, v159
	;; [unrolled: 1-line block ×8, first 2 shown]
	v_cvt_f32_i32_e32 v4, v4
	v_fma_mix_f32 v4, v4, v5, v5 op_sel:[0,0,1] op_sel_hi:[0,1,1]
	v_add_f32_e32 v38, v38, v4
	v_mov_b32_e32 v4, 0
	v_dot4c_i32_i8 v4, v152, v155
	v_dot4c_i32_i8 v4, v150, v159
	;; [unrolled: 1-line block ×8, first 2 shown]
	ds_read_b128 v[155:158], v114 offset:3072
	ds_read_b128 v[159:162], v114 offset:3088
	v_cvt_f32_i32_e32 v4, v4
	v_fma_mix_f32 v2, v4, v2, v2 op_sel:[0,0,1] op_sel_hi:[0,1,1]
	v_pk_mul_f16 v4, v139, v3
	v_add_f32_e32 v37, v37, v2
	v_mov_b32_e32 v2, 0
	s_waitcnt lgkmcnt(1)
	v_dot4c_i32_i8 v2, v141, v155
	s_waitcnt lgkmcnt(0)
	v_dot4c_i32_i8 v2, v142, v159
	v_dot4c_i32_i8 v2, v143, v156
	v_dot4c_i32_i8 v2, v144, v160
	v_dot4c_i32_i8 v2, v145, v157
	v_dot4c_i32_i8 v2, v146, v161
	v_dot4c_i32_i8 v2, v147, v158
	v_dot4c_i32_i8 v2, v148, v162
	v_cvt_f32_i32_e32 v2, v2
	v_fma_mix_f32 v2, v2, v4, v4 op_sel:[0,0,1] op_sel_hi:[0,1,1]
	v_pk_mul_f16 v4, v130, v3
	v_add_f32_e32 v34, v34, v2
	v_mov_b32_e32 v2, 0
	v_dot4c_i32_i8 v2, v131, v155
	v_dot4c_i32_i8 v2, v132, v159
	;; [unrolled: 1-line block ×8, first 2 shown]
	v_cvt_f32_i32_e32 v2, v2
	v_fma_mix_f32 v2, v2, v4, v4 op_sel:[0,0,1] op_sel_hi:[0,1,1]
	v_pk_mul_f16 v4, v121, v3
	v_pk_mul_f16 v3, v140, v3
	v_add_f32_e32 v33, v33, v2
	v_mov_b32_e32 v2, 0
	v_dot4c_i32_i8 v2, v122, v155
	v_dot4c_i32_i8 v2, v123, v159
	;; [unrolled: 1-line block ×8, first 2 shown]
	v_cvt_f32_i32_e32 v2, v2
	v_fma_mix_f32 v2, v2, v4, v4 op_sel:[0,0,1] op_sel_hi:[0,1,1]
	v_mov_b32_e32 v4, 0
	v_add_f32_e32 v32, v32, v2
	v_mov_b32_e32 v2, 0
	v_dot4c_i32_i8 v2, v152, v155
	v_dot4c_i32_i8 v2, v150, v159
	;; [unrolled: 1-line block ×8, first 2 shown]
	v_cvt_f32_i32_e32 v2, v2
	v_fma_mix_f32 v2, v2, v3, v3 op_sel:[0,0,1] op_sel_hi:[0,1,1]
	v_add_f32_e32 v31, v31, v2
	ds_read_b128 v[155:158], v114 offset:4096
	ds_read_b128 v[159:162], v114 offset:4112
	ds_read2_b32 v[2:3], v115 offset0:128 offset1:160
	s_waitcnt lgkmcnt(2)
	v_dot4c_i32_i8 v4, v141, v155
	s_waitcnt lgkmcnt(0)
	v_pk_mul_f16 v5, v139, v2
	v_dot4c_i32_i8 v4, v142, v159
	v_dot4c_i32_i8 v4, v143, v156
	;; [unrolled: 1-line block ×7, first 2 shown]
	v_cvt_f32_i32_e32 v4, v4
	v_fma_mix_f32 v4, v4, v5, v5 op_sel:[0,0,1] op_sel_hi:[0,1,1]
	v_pk_mul_f16 v5, v130, v2
	v_add_f32_e32 v30, v30, v4
	v_mov_b32_e32 v4, 0
	v_dot4c_i32_i8 v4, v131, v155
	v_dot4c_i32_i8 v4, v132, v159
	;; [unrolled: 1-line block ×8, first 2 shown]
	v_cvt_f32_i32_e32 v4, v4
	v_fma_mix_f32 v4, v4, v5, v5 op_sel:[0,0,1] op_sel_hi:[0,1,1]
	v_pk_mul_f16 v5, v121, v2
	v_pk_mul_f16 v2, v140, v2
	v_add_f32_e32 v29, v29, v4
	v_mov_b32_e32 v4, 0
	v_dot4c_i32_i8 v4, v122, v155
	v_dot4c_i32_i8 v4, v123, v159
	;; [unrolled: 1-line block ×8, first 2 shown]
	v_cvt_f32_i32_e32 v4, v4
	v_fma_mix_f32 v4, v4, v5, v5 op_sel:[0,0,1] op_sel_hi:[0,1,1]
	v_add_f32_e32 v28, v28, v4
	v_mov_b32_e32 v4, 0
	v_dot4c_i32_i8 v4, v152, v155
	v_dot4c_i32_i8 v4, v150, v159
	;; [unrolled: 1-line block ×8, first 2 shown]
	ds_read_b128 v[155:158], v114 offset:5120
	ds_read_b128 v[159:162], v114 offset:5136
	v_cvt_f32_i32_e32 v4, v4
	v_fma_mix_f32 v2, v4, v2, v2 op_sel:[0,0,1] op_sel_hi:[0,1,1]
	v_pk_mul_f16 v4, v139, v3
	v_add_f32_e32 v27, v27, v2
	v_mov_b32_e32 v2, 0
	s_waitcnt lgkmcnt(1)
	v_dot4c_i32_i8 v2, v141, v155
	s_waitcnt lgkmcnt(0)
	v_dot4c_i32_i8 v2, v142, v159
	v_dot4c_i32_i8 v2, v143, v156
	v_dot4c_i32_i8 v2, v144, v160
	v_dot4c_i32_i8 v2, v145, v157
	v_dot4c_i32_i8 v2, v146, v161
	v_dot4c_i32_i8 v2, v147, v158
	v_dot4c_i32_i8 v2, v148, v162
	v_cvt_f32_i32_e32 v2, v2
	v_fma_mix_f32 v2, v2, v4, v4 op_sel:[0,0,1] op_sel_hi:[0,1,1]
	v_pk_mul_f16 v4, v130, v3
	v_add_f32_e32 v26, v26, v2
	v_mov_b32_e32 v2, 0
	v_dot4c_i32_i8 v2, v131, v155
	v_dot4c_i32_i8 v2, v132, v159
	;; [unrolled: 1-line block ×8, first 2 shown]
	v_cvt_f32_i32_e32 v2, v2
	v_fma_mix_f32 v2, v2, v4, v4 op_sel:[0,0,1] op_sel_hi:[0,1,1]
	v_pk_mul_f16 v4, v121, v3
	v_pk_mul_f16 v3, v140, v3
	v_add_f32_e32 v25, v25, v2
	v_mov_b32_e32 v2, 0
	v_dot4c_i32_i8 v2, v122, v155
	v_dot4c_i32_i8 v2, v123, v159
	;; [unrolled: 1-line block ×8, first 2 shown]
	v_cvt_f32_i32_e32 v2, v2
	v_fma_mix_f32 v2, v2, v4, v4 op_sel:[0,0,1] op_sel_hi:[0,1,1]
	v_add_f32_e32 v24, v24, v2
	v_mov_b32_e32 v2, 0
	v_dot4c_i32_i8 v2, v152, v155
	v_dot4c_i32_i8 v2, v150, v159
	;; [unrolled: 1-line block ×8, first 2 shown]
	ds_read_b128 v[155:158], v114 offset:6144
	ds_read_b128 v[159:162], v114 offset:6160
	ds_read2_b32 v[5:6], v115 offset0:192 offset1:224
	v_add_nc_u32_e32 v115, 4, v115
	v_cvt_f32_i32_e32 v2, v2
	v_fma_mix_f32 v2, v2, v3, v3 op_sel:[0,0,1] op_sel_hi:[0,1,1]
	v_add_f32_e32 v23, v23, v2
	v_mov_b32_e32 v2, 0
	s_waitcnt lgkmcnt(2)
	v_dot4c_i32_i8 v2, v141, v155
	s_waitcnt lgkmcnt(0)
	v_pk_mul_f16 v3, v139, v5
	v_pk_mul_f16 v13, v139, v6
	v_dot4c_i32_i8 v2, v142, v159
	v_dot4c_i32_i8 v2, v143, v156
	v_dot4c_i32_i8 v2, v144, v160
	v_dot4c_i32_i8 v2, v145, v157
	v_dot4c_i32_i8 v2, v146, v161
	v_dot4c_i32_i8 v2, v147, v158
	v_dot4c_i32_i8 v2, v148, v162
	v_cvt_f32_i32_e32 v2, v2
	v_fma_mix_f32 v2, v2, v3, v3 op_sel:[0,0,1] op_sel_hi:[0,1,1]
	v_pk_mul_f16 v3, v130, v5
	v_add_f32_e32 v22, v22, v2
	v_mov_b32_e32 v2, 0
	v_dot4c_i32_i8 v2, v131, v155
	v_dot4c_i32_i8 v2, v132, v159
	v_dot4c_i32_i8 v2, v133, v156
	v_dot4c_i32_i8 v2, v134, v160
	v_dot4c_i32_i8 v2, v135, v157
	v_dot4c_i32_i8 v2, v136, v161
	v_dot4c_i32_i8 v2, v137, v158
	v_dot4c_i32_i8 v2, v138, v162
	v_cvt_f32_i32_e32 v2, v2
	v_fma_mix_f32 v2, v2, v3, v3 op_sel:[0,0,1] op_sel_hi:[0,1,1]
	v_pk_mul_f16 v3, v121, v5
	v_add_f32_e32 v21, v21, v2
	v_mov_b32_e32 v2, 0
	v_dot4c_i32_i8 v2, v122, v155
	;; [unrolled: 13-line block ×3, first 2 shown]
	v_dot4c_i32_i8 v2, v150, v159
	v_dot4c_i32_i8 v2, v151, v156
	;; [unrolled: 1-line block ×7, first 2 shown]
	v_cvt_f32_i32_e32 v2, v2
	v_fma_mix_f32 v2, v2, v3, v3 op_sel:[0,0,1] op_sel_hi:[0,1,1]
	v_add_f32_e32 v19, v19, v2
	ds_read_b128 v[155:158], v114 offset:7168
	ds_read_b128 v[2:5], v114 offset:7184
	v_add_nc_u32_e32 v114, 32, v114
	s_waitcnt lgkmcnt(1)
	v_dot4c_i32_i8 v9, v141, v155
	s_waitcnt lgkmcnt(0)
	v_dot4c_i32_i8 v9, v142, v2
	v_dot4c_i32_i8 v9, v143, v156
	;; [unrolled: 1-line block ×7, first 2 shown]
	v_cvt_f32_i32_e32 v9, v9
	v_fma_mix_f32 v9, v9, v13, v13 op_sel:[0,0,1] op_sel_hi:[0,1,1]
	v_pk_mul_f16 v13, v130, v6
	v_add_f32_e32 v18, v18, v9
	v_mov_b32_e32 v9, 0
	v_dot4c_i32_i8 v9, v131, v155
	v_dot4c_i32_i8 v9, v132, v2
	v_dot4c_i32_i8 v9, v133, v156
	v_dot4c_i32_i8 v9, v134, v3
	v_dot4c_i32_i8 v9, v135, v157
	v_dot4c_i32_i8 v9, v136, v4
	v_dot4c_i32_i8 v9, v137, v158
	v_dot4c_i32_i8 v9, v138, v5
	v_cvt_f32_i32_e32 v9, v9
	v_fma_mix_f32 v9, v9, v13, v13 op_sel:[0,0,1] op_sel_hi:[0,1,1]
	v_pk_mul_f16 v13, v121, v6
	v_add_f32_e32 v17, v17, v9
	v_mov_b32_e32 v9, 0
	v_dot4c_i32_i8 v9, v122, v155
	v_dot4c_i32_i8 v9, v123, v2
	;; [unrolled: 1-line block ×8, first 2 shown]
	v_cvt_f32_i32_e32 v9, v9
	v_fma_mix_f32 v9, v9, v13, v13 op_sel:[0,0,1] op_sel_hi:[0,1,1]
	v_add_f32_e32 v16, v16, v9
	v_mov_b32_e32 v9, 0
	v_dot4c_i32_i8 v9, v152, v155
	v_dot4c_i32_i8 v9, v150, v2
	v_pk_mul_f16 v2, v140, v6
	v_dot4c_i32_i8 v9, v151, v156
	v_dot4c_i32_i8 v9, v149, v3
	;; [unrolled: 1-line block ×6, first 2 shown]
	v_cvt_f32_i32_e32 v3, v9
	v_fma_mix_f32 v2, v3, v2, v2 op_sel:[0,0,1] op_sel_hi:[0,1,1]
	v_add_f32_e32 v15, v15, v2
	s_cbranch_scc1 .LBB159_8
; %bb.9:                                ;   in Loop: Header=BB159_6 Depth=1
	s_and_b32 s0, s11, -4
	s_cmp_eq_u32 s0, 4
	s_barrier
	buffer_gl0_inv
	s_cbranch_scc1 .LBB159_5
; %bb.10:                               ;   in Loop: Header=BB159_6 Depth=1
	v_add_nc_u32_e32 v115, s14, v89
	v_add_nc_u32_e32 v113, 4, v113
	s_mov_b32 s0, 12
	v_add_nc_u32_e32 v2, v115, v80
	v_add_nc_u32_e32 v4, v115, v81
	;; [unrolled: 1-line block ×5, first 2 shown]
	v_mad_u64_u32 v[113:114], null, v113, 36, s[2:3]
	v_mad_i64_i32 v[2:3], null, v2, 36, v[11:12]
	v_add_nc_u32_e32 v116, v115, v85
	v_mad_i64_i32 v[4:5], null, v4, 36, v[11:12]
	v_add_nc_u32_e32 v117, v115, v86
	;; [unrolled: 2-line block ×3, first 2 shown]
	v_mad_i64_i32 v[8:9], null, v8, 36, v[11:12]
	v_mad_i64_i32 v[13:14], null, v13, 36, v[11:12]
	;; [unrolled: 1-line block ×5, first 2 shown]
	s_clause 0x8
	global_load_dword v121, v[113:114], off
	global_load_dword v2, v[2:3], off offset:4
	global_load_dword v3, v[4:5], off offset:4
	;; [unrolled: 1-line block ×8, first 2 shown]
	v_mov_b32_e32 v113, v94
	v_mov_b32_e32 v114, v95
	;; [unrolled: 1-line block ×7, first 2 shown]
	s_waitcnt vmcnt(8)
	ds_write_b32 v79, v121
	s_waitcnt vmcnt(7)
	ds_write_b32 v105, v2
	;; [unrolled: 2-line block ×9, first 2 shown]
	s_waitcnt lgkmcnt(0)
	s_barrier
	buffer_gl0_inv
.LBB159_11:                             ;   Parent Loop BB159_6 Depth=1
                                        ; =>  This Inner Loop Header: Depth=2
	ds_read_b128 v[2:5], v114
	ds_read_b128 v[6:9], v114 offset:16
	ds_read2_b32 v[13:14], v113 offset1:32
	ds_read_b32 v139, v115
	ds_read2_b32 v[120:121], v119 offset1:1
	v_mov_b32_e32 v122, 0
	v_add_nc_u32_e32 v125, 0x2108, v119
	v_mov_b32_e32 v136, 0
	v_mov_b32_e32 v153, 0
	v_add_nc_u32_e32 v115, 4, v115
	s_add_i32 s0, s0, 4
	s_cmp_lt_u32 s0, 28
	s_waitcnt lgkmcnt(0)
	v_and_b32_e32 v140, 0xf0f0f0f, v120
	v_lshrrev_b32_e32 v120, 4, v120
	v_and_b32_e32 v142, 0xf0f0f0f, v121
	v_dot4c_i32_i8 v122, v140, v2
	v_and_b32_e32 v141, 0xf0f0f0f, v120
	v_lshrrev_b32_e32 v120, 4, v121
	v_dot4c_i32_i8 v122, v141, v6
	v_and_b32_e32 v143, 0xf0f0f0f, v120
	ds_read2_b32 v[120:121], v119 offset0:2 offset1:3
	v_dot4c_i32_i8 v122, v142, v3
	v_dot4c_i32_i8 v122, v143, v7
	s_waitcnt lgkmcnt(0)
	v_and_b32_e32 v144, 0xf0f0f0f, v120
	v_lshrrev_b32_e32 v120, 4, v120
	v_and_b32_e32 v146, 0xf0f0f0f, v121
	v_dot4c_i32_i8 v122, v144, v4
	v_and_b32_e32 v145, 0xf0f0f0f, v120
	v_lshrrev_b32_e32 v120, 4, v121
	v_dot4c_i32_i8 v122, v145, v8
	v_and_b32_e32 v147, 0xf0f0f0f, v120
	v_pk_mul_f16 v120, v13, v139
	v_dot4c_i32_i8 v122, v146, v5
	v_dot4c_i32_i8 v122, v147, v9
	v_cvt_f32_i32_e32 v121, v122
	v_mov_b32_e32 v122, 0
	v_fma_mix_f32 v120, v120, v121, v120 op_sel:[0,0,1] op_sel_hi:[1,0,1]
	v_add_f32_e32 v36, v36, v120
	v_add_nc_u32_e32 v120, 0x1080, v119
	ds_read_b32 v129, v116
	ds_read2_b32 v[120:121], v120 offset1:1
	v_add_nc_u32_e32 v116, 4, v116
	s_waitcnt lgkmcnt(0)
	v_and_b32_e32 v130, 0xf0f0f0f, v120
	v_lshrrev_b32_e32 v120, 4, v120
	v_and_b32_e32 v132, 0xf0f0f0f, v121
	v_dot4c_i32_i8 v122, v130, v2
	v_and_b32_e32 v131, 0xf0f0f0f, v120
	v_lshrrev_b32_e32 v120, 4, v121
	v_dot4c_i32_i8 v122, v131, v6
	v_and_b32_e32 v133, 0xf0f0f0f, v120
	v_add_nc_u32_e32 v120, 0x1088, v119
	v_dot4c_i32_i8 v122, v132, v3
	ds_read2_b32 v[120:121], v120 offset1:1
	v_dot4c_i32_i8 v122, v133, v7
	s_waitcnt lgkmcnt(0)
	v_and_b32_e32 v134, 0xf0f0f0f, v120
	v_lshrrev_b32_e32 v120, 4, v120
	v_and_b32_e32 v137, 0xf0f0f0f, v121
	v_dot4c_i32_i8 v122, v134, v4
	v_and_b32_e32 v135, 0xf0f0f0f, v120
	v_lshrrev_b32_e32 v120, 4, v121
	v_dot4c_i32_i8 v122, v135, v8
	v_and_b32_e32 v138, 0xf0f0f0f, v120
	v_pk_mul_f16 v120, v13, v129
	v_dot4c_i32_i8 v122, v137, v5
	v_dot4c_i32_i8 v122, v138, v9
	v_cvt_f32_i32_e32 v121, v122
	v_fma_mix_f32 v120, v120, v121, v120 op_sel:[0,0,1] op_sel_hi:[1,0,1]
	v_add_nc_u32_e32 v121, 0x2100, v119
	v_add_f32_e32 v58, v58, v120
	ds_read_b32 v120, v117
	ds_read2_b32 v[123:124], v121 offset1:1
	ds_read2_b32 v[127:128], v125 offset1:1
	v_add_nc_u32_e32 v117, 4, v117
	s_waitcnt lgkmcnt(2)
	v_pk_mul_f16 v148, v13, v120
	s_waitcnt lgkmcnt(1)
	v_and_b32_e32 v121, 0xf0f0f0f, v123
	v_lshrrev_b32_e32 v122, 4, v123
	v_and_b32_e32 v123, 0xf0f0f0f, v124
	v_lshrrev_b32_e32 v124, 4, v124
	s_waitcnt lgkmcnt(0)
	v_and_b32_e32 v125, 0xf0f0f0f, v127
	v_dot4c_i32_i8 v136, v121, v2
	v_and_b32_e32 v122, 0xf0f0f0f, v122
	v_lshrrev_b32_e32 v126, 4, v127
	v_and_b32_e32 v124, 0xf0f0f0f, v124
	v_and_b32_e32 v127, 0xf0f0f0f, v128
	v_lshrrev_b32_e32 v128, 4, v128
	v_dot4c_i32_i8 v136, v122, v6
	v_and_b32_e32 v126, 0xf0f0f0f, v126
	v_and_b32_e32 v128, 0xf0f0f0f, v128
	v_dot4c_i32_i8 v136, v123, v3
	v_dot4c_i32_i8 v136, v124, v7
	v_dot4c_i32_i8 v136, v125, v4
	v_dot4c_i32_i8 v136, v126, v8
	v_dot4c_i32_i8 v136, v127, v5
	v_dot4c_i32_i8 v136, v128, v9
	v_cvt_f32_i32_e32 v136, v136
	v_fma_mix_f32 v136, v148, v136, v148 op_sel:[0,0,1] op_sel_hi:[1,0,1]
	v_add_nc_u32_e32 v148, 0x3180, v119
	v_add_f32_e32 v57, v57, v136
	ds_read_b32 v136, v118
	ds_read2_b32 v[151:152], v148 offset1:1
	v_add_nc_u32_e32 v118, 4, v118
	s_waitcnt lgkmcnt(0)
	v_and_b32_e32 v150, 0xf0f0f0f, v151
	v_lshrrev_b32_e32 v148, 4, v151
	v_dot4c_i32_i8 v153, v150, v2
	v_and_b32_e32 v149, 0xf0f0f0f, v148
	v_lshrrev_b32_e32 v2, 4, v152
	v_and_b32_e32 v148, 0xf0f0f0f, v152
	v_dot4c_i32_i8 v153, v149, v6
	v_and_b32_e32 v6, 0xf0f0f0f, v2
	v_add_nc_u32_e32 v2, 0x3188, v119
	v_add_nc_u32_e32 v119, 16, v119
	v_dot4c_i32_i8 v153, v148, v3
	ds_read2_b32 v[2:3], v2 offset1:1
	v_dot4c_i32_i8 v153, v6, v7
	s_waitcnt lgkmcnt(0)
	v_and_b32_e32 v7, 0xf0f0f0f, v2
	v_lshrrev_b32_e32 v2, 4, v2
	v_dot4c_i32_i8 v153, v7, v4
	v_and_b32_e32 v151, 0xf0f0f0f, v2
	v_lshrrev_b32_e32 v2, 4, v3
	v_dot4c_i32_i8 v153, v151, v8
	v_and_b32_e32 v8, 0xf0f0f0f, v3
	v_and_b32_e32 v4, 0xf0f0f0f, v2
	v_pk_mul_f16 v2, v13, v136
	v_dot4c_i32_i8 v153, v8, v5
	v_mov_b32_e32 v5, 0
	v_dot4c_i32_i8 v153, v4, v9
	v_cvt_f32_i32_e32 v3, v153
	ds_read_b128 v[152:155], v114 offset:1024
	ds_read_b128 v[156:159], v114 offset:1040
	v_fma_mix_f32 v2, v2, v3, v2 op_sel:[0,0,1] op_sel_hi:[1,0,1]
	v_pk_mul_f16 v3, v139, v14
	v_add_f32_e32 v53, v53, v2
	v_mov_b32_e32 v2, 0
	s_waitcnt lgkmcnt(1)
	v_dot4c_i32_i8 v2, v140, v152
	s_waitcnt lgkmcnt(0)
	v_dot4c_i32_i8 v2, v141, v156
	v_dot4c_i32_i8 v2, v142, v153
	v_dot4c_i32_i8 v2, v143, v157
	v_dot4c_i32_i8 v2, v144, v154
	v_dot4c_i32_i8 v2, v145, v158
	v_dot4c_i32_i8 v2, v146, v155
	v_dot4c_i32_i8 v2, v147, v159
	v_cvt_f32_i32_e32 v2, v2
	v_fma_mix_f32 v2, v2, v3, v3 op_sel:[0,0,1] op_sel_hi:[0,1,1]
	v_pk_mul_f16 v3, v129, v14
	v_add_f32_e32 v49, v49, v2
	v_mov_b32_e32 v2, 0
	v_dot4c_i32_i8 v2, v130, v152
	v_dot4c_i32_i8 v2, v131, v156
	v_dot4c_i32_i8 v2, v132, v153
	v_dot4c_i32_i8 v2, v133, v157
	v_dot4c_i32_i8 v2, v134, v154
	v_dot4c_i32_i8 v2, v135, v158
	v_dot4c_i32_i8 v2, v137, v155
	v_dot4c_i32_i8 v2, v138, v159
	v_cvt_f32_i32_e32 v2, v2
	v_fma_mix_f32 v2, v2, v3, v3 op_sel:[0,0,1] op_sel_hi:[0,1,1]
	v_pk_mul_f16 v3, v120, v14
	v_add_f32_e32 v46, v46, v2
	v_mov_b32_e32 v2, 0
	v_dot4c_i32_i8 v2, v121, v152
	;; [unrolled: 13-line block ×3, first 2 shown]
	v_dot4c_i32_i8 v2, v149, v156
	v_dot4c_i32_i8 v2, v148, v153
	;; [unrolled: 1-line block ×7, first 2 shown]
	v_cvt_f32_i32_e32 v2, v2
	v_fma_mix_f32 v2, v2, v3, v3 op_sel:[0,0,1] op_sel_hi:[0,1,1]
	v_add_f32_e32 v42, v42, v2
	ds_read_b128 v[152:155], v114 offset:2048
	ds_read_b128 v[156:159], v114 offset:2064
	ds_read2_b32 v[2:3], v113 offset0:64 offset1:96
	s_waitcnt lgkmcnt(2)
	v_dot4c_i32_i8 v5, v140, v152
	s_waitcnt lgkmcnt(0)
	v_pk_mul_f16 v9, v139, v2
	v_dot4c_i32_i8 v5, v141, v156
	v_dot4c_i32_i8 v5, v142, v153
	v_dot4c_i32_i8 v5, v143, v157
	v_dot4c_i32_i8 v5, v144, v154
	v_dot4c_i32_i8 v5, v145, v158
	v_dot4c_i32_i8 v5, v146, v155
	v_dot4c_i32_i8 v5, v147, v159
	v_cvt_f32_i32_e32 v5, v5
	v_fma_mix_f32 v5, v5, v9, v9 op_sel:[0,0,1] op_sel_hi:[0,1,1]
	v_pk_mul_f16 v9, v129, v2
	v_add_f32_e32 v40, v40, v5
	v_mov_b32_e32 v5, 0
	v_dot4c_i32_i8 v5, v130, v152
	v_dot4c_i32_i8 v5, v131, v156
	;; [unrolled: 1-line block ×8, first 2 shown]
	v_cvt_f32_i32_e32 v5, v5
	v_fma_mix_f32 v5, v5, v9, v9 op_sel:[0,0,1] op_sel_hi:[0,1,1]
	v_pk_mul_f16 v9, v120, v2
	v_pk_mul_f16 v2, v136, v2
	v_add_f32_e32 v39, v39, v5
	v_mov_b32_e32 v5, 0
	v_dot4c_i32_i8 v5, v121, v152
	v_dot4c_i32_i8 v5, v122, v156
	;; [unrolled: 1-line block ×8, first 2 shown]
	v_cvt_f32_i32_e32 v5, v5
	v_fma_mix_f32 v5, v5, v9, v9 op_sel:[0,0,1] op_sel_hi:[0,1,1]
	v_add_f32_e32 v38, v38, v5
	v_mov_b32_e32 v5, 0
	v_dot4c_i32_i8 v5, v150, v152
	v_dot4c_i32_i8 v5, v149, v156
	;; [unrolled: 1-line block ×8, first 2 shown]
	ds_read_b128 v[152:155], v114 offset:3072
	ds_read_b128 v[156:159], v114 offset:3088
	v_cvt_f32_i32_e32 v5, v5
	v_fma_mix_f32 v2, v5, v2, v2 op_sel:[0,0,1] op_sel_hi:[0,1,1]
	v_pk_mul_f16 v5, v139, v3
	v_add_f32_e32 v37, v37, v2
	v_mov_b32_e32 v2, 0
	s_waitcnt lgkmcnt(1)
	v_dot4c_i32_i8 v2, v140, v152
	s_waitcnt lgkmcnt(0)
	v_dot4c_i32_i8 v2, v141, v156
	v_dot4c_i32_i8 v2, v142, v153
	;; [unrolled: 1-line block ×7, first 2 shown]
	v_cvt_f32_i32_e32 v2, v2
	v_fma_mix_f32 v2, v2, v5, v5 op_sel:[0,0,1] op_sel_hi:[0,1,1]
	v_pk_mul_f16 v5, v129, v3
	v_add_f32_e32 v34, v34, v2
	v_mov_b32_e32 v2, 0
	v_dot4c_i32_i8 v2, v130, v152
	v_dot4c_i32_i8 v2, v131, v156
	;; [unrolled: 1-line block ×8, first 2 shown]
	v_cvt_f32_i32_e32 v2, v2
	v_fma_mix_f32 v2, v2, v5, v5 op_sel:[0,0,1] op_sel_hi:[0,1,1]
	v_pk_mul_f16 v5, v120, v3
	v_pk_mul_f16 v3, v136, v3
	v_add_f32_e32 v33, v33, v2
	v_mov_b32_e32 v2, 0
	v_dot4c_i32_i8 v2, v121, v152
	v_dot4c_i32_i8 v2, v122, v156
	;; [unrolled: 1-line block ×8, first 2 shown]
	v_cvt_f32_i32_e32 v2, v2
	v_fma_mix_f32 v2, v2, v5, v5 op_sel:[0,0,1] op_sel_hi:[0,1,1]
	v_mov_b32_e32 v5, 0
	v_add_f32_e32 v32, v32, v2
	v_mov_b32_e32 v2, 0
	v_dot4c_i32_i8 v2, v150, v152
	v_dot4c_i32_i8 v2, v149, v156
	;; [unrolled: 1-line block ×8, first 2 shown]
	v_cvt_f32_i32_e32 v2, v2
	v_fma_mix_f32 v2, v2, v3, v3 op_sel:[0,0,1] op_sel_hi:[0,1,1]
	v_add_f32_e32 v31, v31, v2
	ds_read_b128 v[152:155], v114 offset:4096
	ds_read_b128 v[156:159], v114 offset:4112
	ds_read2_b32 v[2:3], v113 offset0:128 offset1:160
	s_waitcnt lgkmcnt(2)
	v_dot4c_i32_i8 v5, v140, v152
	s_waitcnt lgkmcnt(0)
	v_pk_mul_f16 v9, v139, v2
	v_dot4c_i32_i8 v5, v141, v156
	v_dot4c_i32_i8 v5, v142, v153
	;; [unrolled: 1-line block ×7, first 2 shown]
	v_cvt_f32_i32_e32 v5, v5
	v_fma_mix_f32 v5, v5, v9, v9 op_sel:[0,0,1] op_sel_hi:[0,1,1]
	v_pk_mul_f16 v9, v129, v2
	v_add_f32_e32 v30, v30, v5
	v_mov_b32_e32 v5, 0
	v_dot4c_i32_i8 v5, v130, v152
	v_dot4c_i32_i8 v5, v131, v156
	;; [unrolled: 1-line block ×8, first 2 shown]
	v_cvt_f32_i32_e32 v5, v5
	v_fma_mix_f32 v5, v5, v9, v9 op_sel:[0,0,1] op_sel_hi:[0,1,1]
	v_pk_mul_f16 v9, v120, v2
	v_pk_mul_f16 v2, v136, v2
	v_add_f32_e32 v29, v29, v5
	v_mov_b32_e32 v5, 0
	v_dot4c_i32_i8 v5, v121, v152
	v_dot4c_i32_i8 v5, v122, v156
	;; [unrolled: 1-line block ×8, first 2 shown]
	v_cvt_f32_i32_e32 v5, v5
	v_fma_mix_f32 v5, v5, v9, v9 op_sel:[0,0,1] op_sel_hi:[0,1,1]
	v_add_f32_e32 v28, v28, v5
	v_mov_b32_e32 v5, 0
	v_dot4c_i32_i8 v5, v150, v152
	v_dot4c_i32_i8 v5, v149, v156
	v_dot4c_i32_i8 v5, v148, v153
	v_dot4c_i32_i8 v5, v6, v157
	v_dot4c_i32_i8 v5, v7, v154
	v_dot4c_i32_i8 v5, v151, v158
	v_dot4c_i32_i8 v5, v8, v155
	v_dot4c_i32_i8 v5, v4, v159
	ds_read_b128 v[152:155], v114 offset:5120
	ds_read_b128 v[156:159], v114 offset:5136
	v_cvt_f32_i32_e32 v5, v5
	v_fma_mix_f32 v2, v5, v2, v2 op_sel:[0,0,1] op_sel_hi:[0,1,1]
	v_pk_mul_f16 v5, v139, v3
	v_add_f32_e32 v27, v27, v2
	v_mov_b32_e32 v2, 0
	s_waitcnt lgkmcnt(1)
	v_dot4c_i32_i8 v2, v140, v152
	s_waitcnt lgkmcnt(0)
	v_dot4c_i32_i8 v2, v141, v156
	v_dot4c_i32_i8 v2, v142, v153
	;; [unrolled: 1-line block ×7, first 2 shown]
	v_cvt_f32_i32_e32 v2, v2
	v_fma_mix_f32 v2, v2, v5, v5 op_sel:[0,0,1] op_sel_hi:[0,1,1]
	v_pk_mul_f16 v5, v129, v3
	v_add_f32_e32 v26, v26, v2
	v_mov_b32_e32 v2, 0
	v_dot4c_i32_i8 v2, v130, v152
	v_dot4c_i32_i8 v2, v131, v156
	;; [unrolled: 1-line block ×8, first 2 shown]
	v_cvt_f32_i32_e32 v2, v2
	v_fma_mix_f32 v2, v2, v5, v5 op_sel:[0,0,1] op_sel_hi:[0,1,1]
	v_pk_mul_f16 v5, v120, v3
	v_pk_mul_f16 v3, v136, v3
	v_add_f32_e32 v25, v25, v2
	v_mov_b32_e32 v2, 0
	v_dot4c_i32_i8 v2, v121, v152
	v_dot4c_i32_i8 v2, v122, v156
	;; [unrolled: 1-line block ×8, first 2 shown]
	v_cvt_f32_i32_e32 v2, v2
	v_fma_mix_f32 v2, v2, v5, v5 op_sel:[0,0,1] op_sel_hi:[0,1,1]
	v_mov_b32_e32 v5, 0
	v_add_f32_e32 v24, v24, v2
	v_mov_b32_e32 v2, 0
	v_dot4c_i32_i8 v2, v150, v152
	v_dot4c_i32_i8 v2, v149, v156
	;; [unrolled: 1-line block ×8, first 2 shown]
	v_cvt_f32_i32_e32 v2, v2
	v_fma_mix_f32 v2, v2, v3, v3 op_sel:[0,0,1] op_sel_hi:[0,1,1]
	v_add_f32_e32 v23, v23, v2
	ds_read_b128 v[152:155], v114 offset:6144
	ds_read_b128 v[156:159], v114 offset:6160
	ds_read2_b32 v[2:3], v113 offset0:192 offset1:224
	v_add_nc_u32_e32 v113, 4, v113
	s_waitcnt lgkmcnt(2)
	v_dot4c_i32_i8 v5, v140, v152
	s_waitcnt lgkmcnt(0)
	v_pk_mul_f16 v9, v139, v2
	v_dot4c_i32_i8 v5, v141, v156
	v_dot4c_i32_i8 v5, v142, v153
	;; [unrolled: 1-line block ×7, first 2 shown]
	v_cvt_f32_i32_e32 v5, v5
	v_fma_mix_f32 v5, v5, v9, v9 op_sel:[0,0,1] op_sel_hi:[0,1,1]
	v_pk_mul_f16 v9, v129, v2
	v_add_f32_e32 v22, v22, v5
	v_mov_b32_e32 v5, 0
	v_dot4c_i32_i8 v5, v130, v152
	v_dot4c_i32_i8 v5, v131, v156
	;; [unrolled: 1-line block ×8, first 2 shown]
	v_cvt_f32_i32_e32 v5, v5
	v_fma_mix_f32 v5, v5, v9, v9 op_sel:[0,0,1] op_sel_hi:[0,1,1]
	v_pk_mul_f16 v9, v120, v2
	v_pk_mul_f16 v2, v136, v2
	v_add_f32_e32 v21, v21, v5
	v_mov_b32_e32 v5, 0
	v_dot4c_i32_i8 v5, v121, v152
	v_dot4c_i32_i8 v5, v122, v156
	;; [unrolled: 1-line block ×8, first 2 shown]
	v_cvt_f32_i32_e32 v5, v5
	v_fma_mix_f32 v5, v5, v9, v9 op_sel:[0,0,1] op_sel_hi:[0,1,1]
	v_add_f32_e32 v20, v20, v5
	v_mov_b32_e32 v5, 0
	v_dot4c_i32_i8 v5, v150, v152
	v_dot4c_i32_i8 v5, v149, v156
	;; [unrolled: 1-line block ×8, first 2 shown]
	ds_read_b128 v[152:155], v114 offset:7168
	ds_read_b128 v[156:159], v114 offset:7184
	v_add_nc_u32_e32 v114, 32, v114
	v_cvt_f32_i32_e32 v5, v5
	v_fma_mix_f32 v2, v5, v2, v2 op_sel:[0,0,1] op_sel_hi:[0,1,1]
	v_pk_mul_f16 v5, v139, v3
	v_add_f32_e32 v19, v19, v2
	v_mov_b32_e32 v2, 0
	s_waitcnt lgkmcnt(1)
	v_dot4c_i32_i8 v2, v140, v152
	s_waitcnt lgkmcnt(0)
	v_dot4c_i32_i8 v2, v141, v156
	v_dot4c_i32_i8 v2, v142, v153
	;; [unrolled: 1-line block ×7, first 2 shown]
	v_cvt_f32_i32_e32 v2, v2
	v_fma_mix_f32 v2, v2, v5, v5 op_sel:[0,0,1] op_sel_hi:[0,1,1]
	v_pk_mul_f16 v5, v129, v3
	v_add_f32_e32 v18, v18, v2
	v_mov_b32_e32 v2, 0
	v_dot4c_i32_i8 v2, v130, v152
	v_dot4c_i32_i8 v2, v131, v156
	;; [unrolled: 1-line block ×8, first 2 shown]
	v_cvt_f32_i32_e32 v2, v2
	v_fma_mix_f32 v2, v2, v5, v5 op_sel:[0,0,1] op_sel_hi:[0,1,1]
	v_pk_mul_f16 v5, v120, v3
	v_pk_mul_f16 v3, v136, v3
	v_add_f32_e32 v17, v17, v2
	v_mov_b32_e32 v2, 0
	v_dot4c_i32_i8 v2, v121, v152
	v_dot4c_i32_i8 v2, v122, v156
	;; [unrolled: 1-line block ×8, first 2 shown]
	v_cvt_f32_i32_e32 v2, v2
	v_fma_mix_f32 v2, v2, v5, v5 op_sel:[0,0,1] op_sel_hi:[0,1,1]
	v_add_f32_e32 v16, v16, v2
	v_mov_b32_e32 v2, 0
	v_dot4c_i32_i8 v2, v150, v152
	v_dot4c_i32_i8 v2, v149, v156
	;; [unrolled: 1-line block ×8, first 2 shown]
	v_cvt_f32_i32_e32 v2, v2
	v_fma_mix_f32 v2, v2, v3, v3 op_sel:[0,0,1] op_sel_hi:[0,1,1]
	v_add_f32_e32 v15, v15, v2
	s_cbranch_scc1 .LBB159_11
; %bb.12:                               ;   in Loop: Header=BB159_6 Depth=1
	s_barrier
	buffer_gl0_inv
	s_branch .LBB159_5
.LBB159_13:
	v_mov_b32_e32 v2, v35
.LBB159_14:
	s_mov_b32 s0, exec_lo
	v_cmpx_gt_u32_e64 s8, v2
	s_cbranch_execz .LBB159_65
; %bb.15:
	v_add_nc_u32_e32 v0, s6, v0
	v_mul_lo_u32 v5, v2, s10
	v_cmp_gt_u32_e64 s0, s10, v0
	s_and_saveexec_b32 s1, s0
	s_cbranch_execz .LBB159_17
; %bb.16:
	v_add_nc_u32_e32 v2, v0, v5
	v_mov_b32_e32 v3, 0
	v_bfe_u32 v4, v36, 16, 1
	v_cmp_o_f32_e32 vcc_lo, v36, v36
	v_mov_b32_e32 v6, 0x7fc0
	v_lshlrev_b64 v[2:3], 1, v[2:3]
	v_add3_u32 v4, v36, v4, 0x7fff
	v_cndmask_b32_sdwa v4, v6, v4, vcc_lo dst_sel:DWORD dst_unused:UNUSED_PAD src0_sel:DWORD src1_sel:WORD_1
	s_waitcnt lgkmcnt(0)
	v_add_co_u32 v2, vcc_lo, s12, v2
	v_add_co_ci_u32_e64 v3, null, s13, v3, vcc_lo
	global_store_short v[2:3], v4, off
.LBB159_17:
	s_or_b32 exec_lo, exec_lo, s1
	v_add_nc_u32_e32 v2, 32, v0
	v_cmp_gt_u32_e64 s1, s10, v2
	s_and_saveexec_b32 s2, s1
	s_cbranch_execz .LBB159_19
; %bb.18:
	v_add_nc_u32_e32 v3, v2, v5
	v_mov_b32_e32 v4, 0
	v_bfe_u32 v6, v58, 16, 1
	v_cmp_o_f32_e32 vcc_lo, v58, v58
	v_mov_b32_e32 v7, 0x7fc0
	v_lshlrev_b64 v[3:4], 1, v[3:4]
	v_add3_u32 v6, v58, v6, 0x7fff
	v_cndmask_b32_sdwa v6, v7, v6, vcc_lo dst_sel:DWORD dst_unused:UNUSED_PAD src0_sel:DWORD src1_sel:WORD_1
	s_waitcnt lgkmcnt(0)
	v_add_co_u32 v3, vcc_lo, s12, v3
	v_add_co_ci_u32_e64 v4, null, s13, v4, vcc_lo
	global_store_short v[3:4], v6, off
.LBB159_19:
	s_or_b32 exec_lo, exec_lo, s2
	v_add_nc_u32_e32 v3, 64, v0
	;; [unrolled: 19-line block ×3, first 2 shown]
	v_cmp_gt_u32_e64 s3, s10, v4
	s_and_saveexec_b32 s4, s3
	s_cbranch_execz .LBB159_23
; %bb.22:
	v_add_nc_u32_e32 v5, v4, v5
	v_mov_b32_e32 v6, 0
	v_bfe_u32 v7, v53, 16, 1
	v_cmp_o_f32_e32 vcc_lo, v53, v53
	v_mov_b32_e32 v8, 0x7fc0
	v_lshlrev_b64 v[5:6], 1, v[5:6]
	v_add3_u32 v7, v53, v7, 0x7fff
	v_cndmask_b32_sdwa v7, v8, v7, vcc_lo dst_sel:DWORD dst_unused:UNUSED_PAD src0_sel:DWORD src1_sel:WORD_1
	s_waitcnt lgkmcnt(0)
	v_add_co_u32 v5, vcc_lo, s12, v5
	v_add_co_ci_u32_e64 v6, null, s13, v6, vcc_lo
	global_store_short v[5:6], v7, off
.LBB159_23:
	s_or_b32 exec_lo, exec_lo, s4
	v_add3_u32 v5, v1, s7, 8
	v_cmp_gt_u32_e32 vcc_lo, s8, v5
	s_and_b32 exec_lo, exec_lo, vcc_lo
	s_cbranch_execz .LBB159_65
; %bb.24:
	v_mul_lo_u32 v5, v5, s10
	s_and_saveexec_b32 s4, s0
	s_cbranch_execnz .LBB159_66
; %bb.25:
	s_or_b32 exec_lo, exec_lo, s4
	s_and_saveexec_b32 s4, s1
	s_cbranch_execnz .LBB159_67
.LBB159_26:
	s_or_b32 exec_lo, exec_lo, s4
	s_and_saveexec_b32 s4, s2
	s_cbranch_execnz .LBB159_68
.LBB159_27:
	s_or_b32 exec_lo, exec_lo, s4
	s_and_saveexec_b32 s4, s3
	s_cbranch_execz .LBB159_29
.LBB159_28:
	v_add_nc_u32_e32 v5, v5, v4
	v_mov_b32_e32 v6, 0
	v_bfe_u32 v7, v42, 16, 1
	v_cmp_o_f32_e32 vcc_lo, v42, v42
	v_mov_b32_e32 v8, 0x7fc0
	v_lshlrev_b64 v[5:6], 1, v[5:6]
	v_add3_u32 v7, v42, v7, 0x7fff
	v_cndmask_b32_sdwa v7, v8, v7, vcc_lo dst_sel:DWORD dst_unused:UNUSED_PAD src0_sel:DWORD src1_sel:WORD_1
	s_waitcnt lgkmcnt(0)
	v_add_co_u32 v5, vcc_lo, s12, v5
	v_add_co_ci_u32_e64 v6, null, s13, v6, vcc_lo
	global_store_short v[5:6], v7, off
.LBB159_29:
	s_or_b32 exec_lo, exec_lo, s4
	v_add3_u32 v5, v1, s7, 16
	v_cmp_gt_u32_e32 vcc_lo, s8, v5
	s_and_b32 exec_lo, exec_lo, vcc_lo
	s_cbranch_execz .LBB159_65
; %bb.30:
	v_mul_lo_u32 v5, v5, s10
	s_and_saveexec_b32 s4, s0
	s_cbranch_execnz .LBB159_69
; %bb.31:
	s_or_b32 exec_lo, exec_lo, s4
	s_and_saveexec_b32 s4, s1
	s_cbranch_execnz .LBB159_70
.LBB159_32:
	s_or_b32 exec_lo, exec_lo, s4
	s_and_saveexec_b32 s4, s2
	s_cbranch_execnz .LBB159_71
.LBB159_33:
	s_or_b32 exec_lo, exec_lo, s4
	s_and_saveexec_b32 s4, s3
	s_cbranch_execz .LBB159_35
.LBB159_34:
	v_add_nc_u32_e32 v5, v5, v4
	v_mov_b32_e32 v6, 0
	v_bfe_u32 v7, v37, 16, 1
	v_cmp_o_f32_e32 vcc_lo, v37, v37
	v_mov_b32_e32 v8, 0x7fc0
	v_lshlrev_b64 v[5:6], 1, v[5:6]
	v_add3_u32 v7, v37, v7, 0x7fff
	v_cndmask_b32_sdwa v7, v8, v7, vcc_lo dst_sel:DWORD dst_unused:UNUSED_PAD src0_sel:DWORD src1_sel:WORD_1
	s_waitcnt lgkmcnt(0)
	v_add_co_u32 v5, vcc_lo, s12, v5
	v_add_co_ci_u32_e64 v6, null, s13, v6, vcc_lo
	global_store_short v[5:6], v7, off
.LBB159_35:
	s_or_b32 exec_lo, exec_lo, s4
	v_add3_u32 v5, v1, s7, 24
	v_cmp_gt_u32_e32 vcc_lo, s8, v5
	s_and_b32 exec_lo, exec_lo, vcc_lo
	s_cbranch_execz .LBB159_65
; %bb.36:
	v_mul_lo_u32 v5, v5, s10
	s_and_saveexec_b32 s4, s0
	s_cbranch_execnz .LBB159_72
; %bb.37:
	s_or_b32 exec_lo, exec_lo, s4
	s_and_saveexec_b32 s4, s1
	s_cbranch_execnz .LBB159_73
.LBB159_38:
	s_or_b32 exec_lo, exec_lo, s4
	s_and_saveexec_b32 s4, s2
	s_cbranch_execnz .LBB159_74
.LBB159_39:
	s_or_b32 exec_lo, exec_lo, s4
	s_and_saveexec_b32 s4, s3
	s_cbranch_execz .LBB159_41
.LBB159_40:
	v_add_nc_u32_e32 v5, v5, v4
	v_mov_b32_e32 v6, 0
	v_bfe_u32 v7, v31, 16, 1
	v_cmp_o_f32_e32 vcc_lo, v31, v31
	v_mov_b32_e32 v8, 0x7fc0
	v_lshlrev_b64 v[5:6], 1, v[5:6]
	v_add3_u32 v7, v31, v7, 0x7fff
	v_cndmask_b32_sdwa v7, v8, v7, vcc_lo dst_sel:DWORD dst_unused:UNUSED_PAD src0_sel:DWORD src1_sel:WORD_1
	s_waitcnt lgkmcnt(0)
	v_add_co_u32 v5, vcc_lo, s12, v5
	v_add_co_ci_u32_e64 v6, null, s13, v6, vcc_lo
	global_store_short v[5:6], v7, off
.LBB159_41:
	s_or_b32 exec_lo, exec_lo, s4
	v_add3_u32 v5, v1, s7, 32
	v_cmp_gt_u32_e32 vcc_lo, s8, v5
	s_and_b32 exec_lo, exec_lo, vcc_lo
	s_cbranch_execz .LBB159_65
; %bb.42:
	v_mul_lo_u32 v5, v5, s10
	s_and_saveexec_b32 s4, s0
	s_cbranch_execnz .LBB159_75
; %bb.43:
	s_or_b32 exec_lo, exec_lo, s4
	s_and_saveexec_b32 s4, s1
	s_cbranch_execnz .LBB159_76
.LBB159_44:
	s_or_b32 exec_lo, exec_lo, s4
	s_and_saveexec_b32 s4, s2
	s_cbranch_execnz .LBB159_77
.LBB159_45:
	s_or_b32 exec_lo, exec_lo, s4
	s_and_saveexec_b32 s4, s3
	s_cbranch_execz .LBB159_47
.LBB159_46:
	v_add_nc_u32_e32 v5, v5, v4
	v_mov_b32_e32 v6, 0
	v_bfe_u32 v7, v27, 16, 1
	v_cmp_o_f32_e32 vcc_lo, v27, v27
	v_mov_b32_e32 v8, 0x7fc0
	v_lshlrev_b64 v[5:6], 1, v[5:6]
	v_add3_u32 v7, v27, v7, 0x7fff
	v_cndmask_b32_sdwa v7, v8, v7, vcc_lo dst_sel:DWORD dst_unused:UNUSED_PAD src0_sel:DWORD src1_sel:WORD_1
	s_waitcnt lgkmcnt(0)
	v_add_co_u32 v5, vcc_lo, s12, v5
	v_add_co_ci_u32_e64 v6, null, s13, v6, vcc_lo
	global_store_short v[5:6], v7, off
.LBB159_47:
	s_or_b32 exec_lo, exec_lo, s4
	v_add3_u32 v5, v1, s7, 40
	v_cmp_gt_u32_e32 vcc_lo, s8, v5
	s_and_b32 exec_lo, exec_lo, vcc_lo
	s_cbranch_execz .LBB159_65
; %bb.48:
	v_mul_lo_u32 v5, v5, s10
	s_and_saveexec_b32 s4, s0
	s_cbranch_execnz .LBB159_78
; %bb.49:
	s_or_b32 exec_lo, exec_lo, s4
	s_and_saveexec_b32 s4, s1
	s_cbranch_execnz .LBB159_79
.LBB159_50:
	s_or_b32 exec_lo, exec_lo, s4
	s_and_saveexec_b32 s4, s2
	s_cbranch_execnz .LBB159_80
.LBB159_51:
	s_or_b32 exec_lo, exec_lo, s4
	s_and_saveexec_b32 s4, s3
	s_cbranch_execz .LBB159_53
.LBB159_52:
	v_add_nc_u32_e32 v5, v5, v4
	v_mov_b32_e32 v6, 0
	v_bfe_u32 v7, v23, 16, 1
	v_cmp_o_f32_e32 vcc_lo, v23, v23
	v_mov_b32_e32 v8, 0x7fc0
	v_lshlrev_b64 v[5:6], 1, v[5:6]
	v_add3_u32 v7, v23, v7, 0x7fff
	v_cndmask_b32_sdwa v7, v8, v7, vcc_lo dst_sel:DWORD dst_unused:UNUSED_PAD src0_sel:DWORD src1_sel:WORD_1
	s_waitcnt lgkmcnt(0)
	v_add_co_u32 v5, vcc_lo, s12, v5
	v_add_co_ci_u32_e64 v6, null, s13, v6, vcc_lo
	global_store_short v[5:6], v7, off
.LBB159_53:
	s_or_b32 exec_lo, exec_lo, s4
	v_add3_u32 v5, v1, s7, 48
	v_cmp_gt_u32_e32 vcc_lo, s8, v5
	s_and_b32 exec_lo, exec_lo, vcc_lo
	s_cbranch_execz .LBB159_65
; %bb.54:
	v_mul_lo_u32 v5, v5, s10
	s_and_saveexec_b32 s4, s0
	s_cbranch_execnz .LBB159_81
; %bb.55:
	s_or_b32 exec_lo, exec_lo, s4
	s_and_saveexec_b32 s4, s1
	s_cbranch_execnz .LBB159_82
.LBB159_56:
	s_or_b32 exec_lo, exec_lo, s4
	s_and_saveexec_b32 s4, s2
	s_cbranch_execnz .LBB159_83
.LBB159_57:
	s_or_b32 exec_lo, exec_lo, s4
	s_and_saveexec_b32 s4, s3
	s_cbranch_execz .LBB159_59
.LBB159_58:
	v_add_nc_u32_e32 v5, v5, v4
	v_mov_b32_e32 v6, 0
	v_bfe_u32 v7, v19, 16, 1
	v_cmp_o_f32_e32 vcc_lo, v19, v19
	v_mov_b32_e32 v8, 0x7fc0
	v_lshlrev_b64 v[5:6], 1, v[5:6]
	v_add3_u32 v7, v19, v7, 0x7fff
	v_cndmask_b32_sdwa v7, v8, v7, vcc_lo dst_sel:DWORD dst_unused:UNUSED_PAD src0_sel:DWORD src1_sel:WORD_1
	s_waitcnt lgkmcnt(0)
	v_add_co_u32 v5, vcc_lo, s12, v5
	v_add_co_ci_u32_e64 v6, null, s13, v6, vcc_lo
	global_store_short v[5:6], v7, off
.LBB159_59:
	s_or_b32 exec_lo, exec_lo, s4
	v_add3_u32 v1, v1, s7, 56
	v_cmp_gt_u32_e32 vcc_lo, s8, v1
	s_and_b32 exec_lo, exec_lo, vcc_lo
	s_cbranch_execz .LBB159_65
; %bb.60:
	v_mul_lo_u32 v1, v1, s10
	s_and_saveexec_b32 s4, s0
	s_cbranch_execnz .LBB159_84
; %bb.61:
	s_or_b32 exec_lo, exec_lo, s4
	s_and_saveexec_b32 s0, s1
	s_cbranch_execnz .LBB159_85
.LBB159_62:
	s_or_b32 exec_lo, exec_lo, s0
	s_and_saveexec_b32 s0, s2
	s_cbranch_execnz .LBB159_86
.LBB159_63:
	s_or_b32 exec_lo, exec_lo, s0
	s_and_b32 exec_lo, exec_lo, s3
	s_cbranch_execz .LBB159_65
.LBB159_64:
	v_add_nc_u32_e32 v0, v1, v4
	v_mov_b32_e32 v1, 0
	v_bfe_u32 v2, v15, 16, 1
	v_cmp_o_f32_e32 vcc_lo, v15, v15
	v_mov_b32_e32 v3, 0x7fc0
	v_lshlrev_b64 v[0:1], 1, v[0:1]
	v_add3_u32 v2, v15, v2, 0x7fff
	v_cndmask_b32_sdwa v2, v3, v2, vcc_lo dst_sel:DWORD dst_unused:UNUSED_PAD src0_sel:DWORD src1_sel:WORD_1
	s_waitcnt lgkmcnt(0)
	v_add_co_u32 v0, vcc_lo, s12, v0
	v_add_co_ci_u32_e64 v1, null, s13, v1, vcc_lo
	global_store_short v[0:1], v2, off
.LBB159_65:
	s_endpgm
.LBB159_66:
	v_add_nc_u32_e32 v6, v5, v0
	v_mov_b32_e32 v7, 0
	v_bfe_u32 v8, v49, 16, 1
	v_cmp_o_f32_e32 vcc_lo, v49, v49
	v_mov_b32_e32 v9, 0x7fc0
	v_lshlrev_b64 v[6:7], 1, v[6:7]
	v_add3_u32 v8, v49, v8, 0x7fff
	v_cndmask_b32_sdwa v8, v9, v8, vcc_lo dst_sel:DWORD dst_unused:UNUSED_PAD src0_sel:DWORD src1_sel:WORD_1
	s_waitcnt lgkmcnt(0)
	v_add_co_u32 v6, vcc_lo, s12, v6
	v_add_co_ci_u32_e64 v7, null, s13, v7, vcc_lo
	global_store_short v[6:7], v8, off
	s_or_b32 exec_lo, exec_lo, s4
	s_and_saveexec_b32 s4, s1
	s_cbranch_execz .LBB159_26
.LBB159_67:
	v_add_nc_u32_e32 v6, v5, v2
	v_mov_b32_e32 v7, 0
	v_bfe_u32 v8, v46, 16, 1
	v_cmp_o_f32_e32 vcc_lo, v46, v46
	v_mov_b32_e32 v9, 0x7fc0
	v_lshlrev_b64 v[6:7], 1, v[6:7]
	v_add3_u32 v8, v46, v8, 0x7fff
	v_cndmask_b32_sdwa v8, v9, v8, vcc_lo dst_sel:DWORD dst_unused:UNUSED_PAD src0_sel:DWORD src1_sel:WORD_1
	s_waitcnt lgkmcnt(0)
	v_add_co_u32 v6, vcc_lo, s12, v6
	v_add_co_ci_u32_e64 v7, null, s13, v7, vcc_lo
	global_store_short v[6:7], v8, off
	s_or_b32 exec_lo, exec_lo, s4
	s_and_saveexec_b32 s4, s2
	s_cbranch_execz .LBB159_27
.LBB159_68:
	v_add_nc_u32_e32 v6, v5, v3
	v_mov_b32_e32 v7, 0
	v_bfe_u32 v8, v45, 16, 1
	v_cmp_o_f32_e32 vcc_lo, v45, v45
	v_mov_b32_e32 v9, 0x7fc0
	v_lshlrev_b64 v[6:7], 1, v[6:7]
	v_add3_u32 v8, v45, v8, 0x7fff
	v_cndmask_b32_sdwa v8, v9, v8, vcc_lo dst_sel:DWORD dst_unused:UNUSED_PAD src0_sel:DWORD src1_sel:WORD_1
	s_waitcnt lgkmcnt(0)
	v_add_co_u32 v6, vcc_lo, s12, v6
	v_add_co_ci_u32_e64 v7, null, s13, v7, vcc_lo
	global_store_short v[6:7], v8, off
	s_or_b32 exec_lo, exec_lo, s4
	s_and_saveexec_b32 s4, s3
	s_cbranch_execnz .LBB159_28
	s_branch .LBB159_29
.LBB159_69:
	v_add_nc_u32_e32 v6, v5, v0
	v_mov_b32_e32 v7, 0
	v_bfe_u32 v8, v40, 16, 1
	v_cmp_o_f32_e32 vcc_lo, v40, v40
	v_mov_b32_e32 v9, 0x7fc0
	v_lshlrev_b64 v[6:7], 1, v[6:7]
	v_add3_u32 v8, v40, v8, 0x7fff
	v_cndmask_b32_sdwa v8, v9, v8, vcc_lo dst_sel:DWORD dst_unused:UNUSED_PAD src0_sel:DWORD src1_sel:WORD_1
	s_waitcnt lgkmcnt(0)
	v_add_co_u32 v6, vcc_lo, s12, v6
	v_add_co_ci_u32_e64 v7, null, s13, v7, vcc_lo
	global_store_short v[6:7], v8, off
	s_or_b32 exec_lo, exec_lo, s4
	s_and_saveexec_b32 s4, s1
	s_cbranch_execz .LBB159_32
.LBB159_70:
	v_add_nc_u32_e32 v6, v5, v2
	v_mov_b32_e32 v7, 0
	v_bfe_u32 v8, v39, 16, 1
	v_cmp_o_f32_e32 vcc_lo, v39, v39
	v_mov_b32_e32 v9, 0x7fc0
	v_lshlrev_b64 v[6:7], 1, v[6:7]
	v_add3_u32 v8, v39, v8, 0x7fff
	v_cndmask_b32_sdwa v8, v9, v8, vcc_lo dst_sel:DWORD dst_unused:UNUSED_PAD src0_sel:DWORD src1_sel:WORD_1
	s_waitcnt lgkmcnt(0)
	v_add_co_u32 v6, vcc_lo, s12, v6
	v_add_co_ci_u32_e64 v7, null, s13, v7, vcc_lo
	global_store_short v[6:7], v8, off
	s_or_b32 exec_lo, exec_lo, s4
	s_and_saveexec_b32 s4, s2
	s_cbranch_execz .LBB159_33
.LBB159_71:
	v_add_nc_u32_e32 v6, v5, v3
	v_mov_b32_e32 v7, 0
	v_bfe_u32 v8, v38, 16, 1
	v_cmp_o_f32_e32 vcc_lo, v38, v38
	v_mov_b32_e32 v9, 0x7fc0
	v_lshlrev_b64 v[6:7], 1, v[6:7]
	v_add3_u32 v8, v38, v8, 0x7fff
	v_cndmask_b32_sdwa v8, v9, v8, vcc_lo dst_sel:DWORD dst_unused:UNUSED_PAD src0_sel:DWORD src1_sel:WORD_1
	s_waitcnt lgkmcnt(0)
	v_add_co_u32 v6, vcc_lo, s12, v6
	v_add_co_ci_u32_e64 v7, null, s13, v7, vcc_lo
	global_store_short v[6:7], v8, off
	s_or_b32 exec_lo, exec_lo, s4
	s_and_saveexec_b32 s4, s3
	s_cbranch_execnz .LBB159_34
	s_branch .LBB159_35
.LBB159_72:
	v_add_nc_u32_e32 v6, v5, v0
	v_mov_b32_e32 v7, 0
	v_bfe_u32 v8, v34, 16, 1
	v_cmp_o_f32_e32 vcc_lo, v34, v34
	v_mov_b32_e32 v9, 0x7fc0
	v_lshlrev_b64 v[6:7], 1, v[6:7]
	v_add3_u32 v8, v34, v8, 0x7fff
	v_cndmask_b32_sdwa v8, v9, v8, vcc_lo dst_sel:DWORD dst_unused:UNUSED_PAD src0_sel:DWORD src1_sel:WORD_1
	s_waitcnt lgkmcnt(0)
	v_add_co_u32 v6, vcc_lo, s12, v6
	v_add_co_ci_u32_e64 v7, null, s13, v7, vcc_lo
	global_store_short v[6:7], v8, off
	s_or_b32 exec_lo, exec_lo, s4
	s_and_saveexec_b32 s4, s1
	s_cbranch_execz .LBB159_38
.LBB159_73:
	v_add_nc_u32_e32 v6, v5, v2
	v_mov_b32_e32 v7, 0
	v_bfe_u32 v8, v33, 16, 1
	v_cmp_o_f32_e32 vcc_lo, v33, v33
	v_mov_b32_e32 v9, 0x7fc0
	v_lshlrev_b64 v[6:7], 1, v[6:7]
	v_add3_u32 v8, v33, v8, 0x7fff
	v_cndmask_b32_sdwa v8, v9, v8, vcc_lo dst_sel:DWORD dst_unused:UNUSED_PAD src0_sel:DWORD src1_sel:WORD_1
	s_waitcnt lgkmcnt(0)
	v_add_co_u32 v6, vcc_lo, s12, v6
	v_add_co_ci_u32_e64 v7, null, s13, v7, vcc_lo
	global_store_short v[6:7], v8, off
	s_or_b32 exec_lo, exec_lo, s4
	s_and_saveexec_b32 s4, s2
	s_cbranch_execz .LBB159_39
.LBB159_74:
	v_add_nc_u32_e32 v6, v5, v3
	v_mov_b32_e32 v7, 0
	v_bfe_u32 v8, v32, 16, 1
	v_cmp_o_f32_e32 vcc_lo, v32, v32
	v_mov_b32_e32 v9, 0x7fc0
	v_lshlrev_b64 v[6:7], 1, v[6:7]
	v_add3_u32 v8, v32, v8, 0x7fff
	v_cndmask_b32_sdwa v8, v9, v8, vcc_lo dst_sel:DWORD dst_unused:UNUSED_PAD src0_sel:DWORD src1_sel:WORD_1
	s_waitcnt lgkmcnt(0)
	v_add_co_u32 v6, vcc_lo, s12, v6
	v_add_co_ci_u32_e64 v7, null, s13, v7, vcc_lo
	global_store_short v[6:7], v8, off
	s_or_b32 exec_lo, exec_lo, s4
	s_and_saveexec_b32 s4, s3
	s_cbranch_execnz .LBB159_40
	s_branch .LBB159_41
.LBB159_75:
	v_add_nc_u32_e32 v6, v5, v0
	v_mov_b32_e32 v7, 0
	v_bfe_u32 v8, v30, 16, 1
	v_cmp_o_f32_e32 vcc_lo, v30, v30
	v_mov_b32_e32 v9, 0x7fc0
	v_lshlrev_b64 v[6:7], 1, v[6:7]
	v_add3_u32 v8, v30, v8, 0x7fff
	v_cndmask_b32_sdwa v8, v9, v8, vcc_lo dst_sel:DWORD dst_unused:UNUSED_PAD src0_sel:DWORD src1_sel:WORD_1
	s_waitcnt lgkmcnt(0)
	v_add_co_u32 v6, vcc_lo, s12, v6
	v_add_co_ci_u32_e64 v7, null, s13, v7, vcc_lo
	global_store_short v[6:7], v8, off
	s_or_b32 exec_lo, exec_lo, s4
	s_and_saveexec_b32 s4, s1
	s_cbranch_execz .LBB159_44
.LBB159_76:
	v_add_nc_u32_e32 v6, v5, v2
	v_mov_b32_e32 v7, 0
	v_bfe_u32 v8, v29, 16, 1
	v_cmp_o_f32_e32 vcc_lo, v29, v29
	v_mov_b32_e32 v9, 0x7fc0
	v_lshlrev_b64 v[6:7], 1, v[6:7]
	v_add3_u32 v8, v29, v8, 0x7fff
	v_cndmask_b32_sdwa v8, v9, v8, vcc_lo dst_sel:DWORD dst_unused:UNUSED_PAD src0_sel:DWORD src1_sel:WORD_1
	s_waitcnt lgkmcnt(0)
	v_add_co_u32 v6, vcc_lo, s12, v6
	v_add_co_ci_u32_e64 v7, null, s13, v7, vcc_lo
	global_store_short v[6:7], v8, off
	s_or_b32 exec_lo, exec_lo, s4
	s_and_saveexec_b32 s4, s2
	s_cbranch_execz .LBB159_45
.LBB159_77:
	v_add_nc_u32_e32 v6, v5, v3
	v_mov_b32_e32 v7, 0
	v_bfe_u32 v8, v28, 16, 1
	v_cmp_o_f32_e32 vcc_lo, v28, v28
	v_mov_b32_e32 v9, 0x7fc0
	v_lshlrev_b64 v[6:7], 1, v[6:7]
	v_add3_u32 v8, v28, v8, 0x7fff
	v_cndmask_b32_sdwa v8, v9, v8, vcc_lo dst_sel:DWORD dst_unused:UNUSED_PAD src0_sel:DWORD src1_sel:WORD_1
	s_waitcnt lgkmcnt(0)
	v_add_co_u32 v6, vcc_lo, s12, v6
	v_add_co_ci_u32_e64 v7, null, s13, v7, vcc_lo
	global_store_short v[6:7], v8, off
	s_or_b32 exec_lo, exec_lo, s4
	s_and_saveexec_b32 s4, s3
	s_cbranch_execnz .LBB159_46
	s_branch .LBB159_47
.LBB159_78:
	v_add_nc_u32_e32 v6, v5, v0
	v_mov_b32_e32 v7, 0
	v_bfe_u32 v8, v26, 16, 1
	v_cmp_o_f32_e32 vcc_lo, v26, v26
	v_mov_b32_e32 v9, 0x7fc0
	v_lshlrev_b64 v[6:7], 1, v[6:7]
	v_add3_u32 v8, v26, v8, 0x7fff
	v_cndmask_b32_sdwa v8, v9, v8, vcc_lo dst_sel:DWORD dst_unused:UNUSED_PAD src0_sel:DWORD src1_sel:WORD_1
	s_waitcnt lgkmcnt(0)
	v_add_co_u32 v6, vcc_lo, s12, v6
	v_add_co_ci_u32_e64 v7, null, s13, v7, vcc_lo
	global_store_short v[6:7], v8, off
	s_or_b32 exec_lo, exec_lo, s4
	s_and_saveexec_b32 s4, s1
	s_cbranch_execz .LBB159_50
.LBB159_79:
	v_add_nc_u32_e32 v6, v5, v2
	v_mov_b32_e32 v7, 0
	v_bfe_u32 v8, v25, 16, 1
	v_cmp_o_f32_e32 vcc_lo, v25, v25
	v_mov_b32_e32 v9, 0x7fc0
	v_lshlrev_b64 v[6:7], 1, v[6:7]
	v_add3_u32 v8, v25, v8, 0x7fff
	v_cndmask_b32_sdwa v8, v9, v8, vcc_lo dst_sel:DWORD dst_unused:UNUSED_PAD src0_sel:DWORD src1_sel:WORD_1
	s_waitcnt lgkmcnt(0)
	v_add_co_u32 v6, vcc_lo, s12, v6
	v_add_co_ci_u32_e64 v7, null, s13, v7, vcc_lo
	global_store_short v[6:7], v8, off
	s_or_b32 exec_lo, exec_lo, s4
	s_and_saveexec_b32 s4, s2
	s_cbranch_execz .LBB159_51
.LBB159_80:
	v_add_nc_u32_e32 v6, v5, v3
	v_mov_b32_e32 v7, 0
	v_bfe_u32 v8, v24, 16, 1
	v_cmp_o_f32_e32 vcc_lo, v24, v24
	v_mov_b32_e32 v9, 0x7fc0
	v_lshlrev_b64 v[6:7], 1, v[6:7]
	v_add3_u32 v8, v24, v8, 0x7fff
	v_cndmask_b32_sdwa v8, v9, v8, vcc_lo dst_sel:DWORD dst_unused:UNUSED_PAD src0_sel:DWORD src1_sel:WORD_1
	s_waitcnt lgkmcnt(0)
	v_add_co_u32 v6, vcc_lo, s12, v6
	v_add_co_ci_u32_e64 v7, null, s13, v7, vcc_lo
	global_store_short v[6:7], v8, off
	s_or_b32 exec_lo, exec_lo, s4
	s_and_saveexec_b32 s4, s3
	s_cbranch_execnz .LBB159_52
	s_branch .LBB159_53
.LBB159_81:
	v_add_nc_u32_e32 v6, v5, v0
	v_mov_b32_e32 v7, 0
	v_bfe_u32 v8, v22, 16, 1
	v_cmp_o_f32_e32 vcc_lo, v22, v22
	v_mov_b32_e32 v9, 0x7fc0
	v_lshlrev_b64 v[6:7], 1, v[6:7]
	v_add3_u32 v8, v22, v8, 0x7fff
	v_cndmask_b32_sdwa v8, v9, v8, vcc_lo dst_sel:DWORD dst_unused:UNUSED_PAD src0_sel:DWORD src1_sel:WORD_1
	s_waitcnt lgkmcnt(0)
	v_add_co_u32 v6, vcc_lo, s12, v6
	v_add_co_ci_u32_e64 v7, null, s13, v7, vcc_lo
	global_store_short v[6:7], v8, off
	s_or_b32 exec_lo, exec_lo, s4
	s_and_saveexec_b32 s4, s1
	s_cbranch_execz .LBB159_56
.LBB159_82:
	v_add_nc_u32_e32 v6, v5, v2
	v_mov_b32_e32 v7, 0
	v_bfe_u32 v8, v21, 16, 1
	v_cmp_o_f32_e32 vcc_lo, v21, v21
	v_mov_b32_e32 v9, 0x7fc0
	v_lshlrev_b64 v[6:7], 1, v[6:7]
	v_add3_u32 v8, v21, v8, 0x7fff
	v_cndmask_b32_sdwa v8, v9, v8, vcc_lo dst_sel:DWORD dst_unused:UNUSED_PAD src0_sel:DWORD src1_sel:WORD_1
	s_waitcnt lgkmcnt(0)
	v_add_co_u32 v6, vcc_lo, s12, v6
	v_add_co_ci_u32_e64 v7, null, s13, v7, vcc_lo
	global_store_short v[6:7], v8, off
	s_or_b32 exec_lo, exec_lo, s4
	s_and_saveexec_b32 s4, s2
	s_cbranch_execz .LBB159_57
.LBB159_83:
	v_add_nc_u32_e32 v6, v5, v3
	v_mov_b32_e32 v7, 0
	v_bfe_u32 v8, v20, 16, 1
	v_cmp_o_f32_e32 vcc_lo, v20, v20
	v_mov_b32_e32 v9, 0x7fc0
	v_lshlrev_b64 v[6:7], 1, v[6:7]
	v_add3_u32 v8, v20, v8, 0x7fff
	v_cndmask_b32_sdwa v8, v9, v8, vcc_lo dst_sel:DWORD dst_unused:UNUSED_PAD src0_sel:DWORD src1_sel:WORD_1
	s_waitcnt lgkmcnt(0)
	v_add_co_u32 v6, vcc_lo, s12, v6
	v_add_co_ci_u32_e64 v7, null, s13, v7, vcc_lo
	global_store_short v[6:7], v8, off
	s_or_b32 exec_lo, exec_lo, s4
	s_and_saveexec_b32 s4, s3
	s_cbranch_execnz .LBB159_58
	s_branch .LBB159_59
.LBB159_84:
	v_add_nc_u32_e32 v5, v1, v0
	v_mov_b32_e32 v6, 0
	v_bfe_u32 v7, v18, 16, 1
	v_cmp_o_f32_e32 vcc_lo, v18, v18
	v_mov_b32_e32 v0, 0x7fc0
	v_lshlrev_b64 v[5:6], 1, v[5:6]
	v_add3_u32 v7, v18, v7, 0x7fff
	v_cndmask_b32_sdwa v0, v0, v7, vcc_lo dst_sel:DWORD dst_unused:UNUSED_PAD src0_sel:DWORD src1_sel:WORD_1
	s_waitcnt lgkmcnt(0)
	v_add_co_u32 v5, vcc_lo, s12, v5
	v_add_co_ci_u32_e64 v6, null, s13, v6, vcc_lo
	global_store_short v[5:6], v0, off
	s_or_b32 exec_lo, exec_lo, s4
	s_and_saveexec_b32 s0, s1
	s_cbranch_execz .LBB159_62
.LBB159_85:
	v_add_nc_u32_e32 v5, v1, v2
	v_mov_b32_e32 v6, 0
	v_bfe_u32 v0, v17, 16, 1
	v_cmp_o_f32_e32 vcc_lo, v17, v17
	v_mov_b32_e32 v2, 0x7fc0
	v_lshlrev_b64 v[5:6], 1, v[5:6]
	v_add3_u32 v0, v17, v0, 0x7fff
	v_cndmask_b32_sdwa v0, v2, v0, vcc_lo dst_sel:DWORD dst_unused:UNUSED_PAD src0_sel:DWORD src1_sel:WORD_1
	s_waitcnt lgkmcnt(0)
	v_add_co_u32 v5, vcc_lo, s12, v5
	v_add_co_ci_u32_e64 v6, null, s13, v6, vcc_lo
	global_store_short v[5:6], v0, off
	s_or_b32 exec_lo, exec_lo, s0
	s_and_saveexec_b32 s0, s2
	s_cbranch_execz .LBB159_63
.LBB159_86:
	v_add_nc_u32_e32 v2, v1, v3
	v_mov_b32_e32 v3, 0
	v_bfe_u32 v0, v16, 16, 1
	v_cmp_o_f32_e32 vcc_lo, v16, v16
	v_mov_b32_e32 v5, 0x7fc0
	v_lshlrev_b64 v[2:3], 1, v[2:3]
	v_add3_u32 v0, v16, v0, 0x7fff
	v_cndmask_b32_sdwa v0, v5, v0, vcc_lo dst_sel:DWORD dst_unused:UNUSED_PAD src0_sel:DWORD src1_sel:WORD_1
	s_waitcnt lgkmcnt(0)
	v_add_co_u32 v2, vcc_lo, s12, v2
	v_add_co_ci_u32_e64 v3, null, s13, v3, vcc_lo
	global_store_short v[2:3], v0, off
	s_or_b32 exec_lo, exec_lo, s0
	s_and_b32 exec_lo, exec_lo, s3
	s_cbranch_execnz .LBB159_64
	s_branch .LBB159_65
	.section	.rodata,"a",@progbits
	.p2align	6, 0x0
	.amdhsa_kernel _ZL12mul_mat_q4_1IN3c108BFloat16ELb0EEvPKvS3_PT_iiiii
		.amdhsa_group_segment_fixed_size 30336
		.amdhsa_private_segment_fixed_size 0
		.amdhsa_kernarg_size 44
		.amdhsa_user_sgpr_count 6
		.amdhsa_user_sgpr_private_segment_buffer 1
		.amdhsa_user_sgpr_dispatch_ptr 0
		.amdhsa_user_sgpr_queue_ptr 0
		.amdhsa_user_sgpr_kernarg_segment_ptr 1
		.amdhsa_user_sgpr_dispatch_id 0
		.amdhsa_user_sgpr_flat_scratch_init 0
		.amdhsa_user_sgpr_private_segment_size 0
		.amdhsa_wavefront_size32 1
		.amdhsa_uses_dynamic_stack 0
		.amdhsa_system_sgpr_private_segment_wavefront_offset 0
		.amdhsa_system_sgpr_workgroup_id_x 1
		.amdhsa_system_sgpr_workgroup_id_y 1
		.amdhsa_system_sgpr_workgroup_id_z 0
		.amdhsa_system_sgpr_workgroup_info 0
		.amdhsa_system_vgpr_workitem_id 1
		.amdhsa_next_free_vgpr 163
		.amdhsa_next_free_sgpr 15
		.amdhsa_reserve_vcc 1
		.amdhsa_reserve_flat_scratch 0
		.amdhsa_float_round_mode_32 0
		.amdhsa_float_round_mode_16_64 0
		.amdhsa_float_denorm_mode_32 3
		.amdhsa_float_denorm_mode_16_64 3
		.amdhsa_dx10_clamp 1
		.amdhsa_ieee_mode 1
		.amdhsa_fp16_overflow 0
		.amdhsa_workgroup_processor_mode 1
		.amdhsa_memory_ordered 1
		.amdhsa_forward_progress 1
		.amdhsa_shared_vgpr_count 0
		.amdhsa_exception_fp_ieee_invalid_op 0
		.amdhsa_exception_fp_denorm_src 0
		.amdhsa_exception_fp_ieee_div_zero 0
		.amdhsa_exception_fp_ieee_overflow 0
		.amdhsa_exception_fp_ieee_underflow 0
		.amdhsa_exception_fp_ieee_inexact 0
		.amdhsa_exception_int_div_zero 0
	.end_amdhsa_kernel
	.section	.text._ZL12mul_mat_q4_1IN3c108BFloat16ELb0EEvPKvS3_PT_iiiii,"axG",@progbits,_ZL12mul_mat_q4_1IN3c108BFloat16ELb0EEvPKvS3_PT_iiiii,comdat
.Lfunc_end159:
	.size	_ZL12mul_mat_q4_1IN3c108BFloat16ELb0EEvPKvS3_PT_iiiii, .Lfunc_end159-_ZL12mul_mat_q4_1IN3c108BFloat16ELb0EEvPKvS3_PT_iiiii
                                        ; -- End function
	.set _ZL12mul_mat_q4_1IN3c108BFloat16ELb0EEvPKvS3_PT_iiiii.num_vgpr, 163
	.set _ZL12mul_mat_q4_1IN3c108BFloat16ELb0EEvPKvS3_PT_iiiii.num_agpr, 0
	.set _ZL12mul_mat_q4_1IN3c108BFloat16ELb0EEvPKvS3_PT_iiiii.numbered_sgpr, 15
	.set _ZL12mul_mat_q4_1IN3c108BFloat16ELb0EEvPKvS3_PT_iiiii.num_named_barrier, 0
	.set _ZL12mul_mat_q4_1IN3c108BFloat16ELb0EEvPKvS3_PT_iiiii.private_seg_size, 0
	.set _ZL12mul_mat_q4_1IN3c108BFloat16ELb0EEvPKvS3_PT_iiiii.uses_vcc, 1
	.set _ZL12mul_mat_q4_1IN3c108BFloat16ELb0EEvPKvS3_PT_iiiii.uses_flat_scratch, 0
	.set _ZL12mul_mat_q4_1IN3c108BFloat16ELb0EEvPKvS3_PT_iiiii.has_dyn_sized_stack, 0
	.set _ZL12mul_mat_q4_1IN3c108BFloat16ELb0EEvPKvS3_PT_iiiii.has_recursion, 0
	.set _ZL12mul_mat_q4_1IN3c108BFloat16ELb0EEvPKvS3_PT_iiiii.has_indirect_call, 0
	.section	.AMDGPU.csdata,"",@progbits
; Kernel info:
; codeLenInByte = 11968
; TotalNumSgprs: 17
; NumVgprs: 163
; ScratchSize: 0
; MemoryBound: 0
; FloatMode: 240
; IeeeMode: 1
; LDSByteSize: 30336 bytes/workgroup (compile time only)
; SGPRBlocks: 0
; VGPRBlocks: 20
; NumSGPRsForWavesPerEU: 17
; NumVGPRsForWavesPerEU: 163
; Occupancy: 5
; WaveLimiterHint : 0
; COMPUTE_PGM_RSRC2:SCRATCH_EN: 0
; COMPUTE_PGM_RSRC2:USER_SGPR: 6
; COMPUTE_PGM_RSRC2:TRAP_HANDLER: 0
; COMPUTE_PGM_RSRC2:TGID_X_EN: 1
; COMPUTE_PGM_RSRC2:TGID_Y_EN: 1
; COMPUTE_PGM_RSRC2:TGID_Z_EN: 0
; COMPUTE_PGM_RSRC2:TIDIG_COMP_CNT: 1
	.section	.text._ZL12mul_mat_q4_1IN3c108BFloat16ELb1EEvPKvS3_PT_iiiii,"axG",@progbits,_ZL12mul_mat_q4_1IN3c108BFloat16ELb1EEvPKvS3_PT_iiiii,comdat
	.globl	_ZL12mul_mat_q4_1IN3c108BFloat16ELb1EEvPKvS3_PT_iiiii ; -- Begin function _ZL12mul_mat_q4_1IN3c108BFloat16ELb1EEvPKvS3_PT_iiiii
	.p2align	8
	.type	_ZL12mul_mat_q4_1IN3c108BFloat16ELb1EEvPKvS3_PT_iiiii,@function
_ZL12mul_mat_q4_1IN3c108BFloat16ELb1EEvPKvS3_PT_iiiii: ; @_ZL12mul_mat_q4_1IN3c108BFloat16ELb1EEvPKvS3_PT_iiiii
; %bb.0:
	s_clause 0x1
	s_load_dwordx4 s[8:11], s[4:5], 0x18
	s_load_dword s14, s[4:5], 0x28
	s_lshl_b32 s7, s7, 6
	v_add_nc_u32_e32 v49, s7, v1
	s_waitcnt lgkmcnt(0)
	s_cmp_gt_i32 s8, 31
	s_cbranch_scc1 .LBB160_2
; %bb.1:
	v_add_nc_u32_e32 v2, s7, v1
	s_mov_b32 s0, 0
	s_branch .LBB160_3
.LBB160_2:
	s_mov_b32 s0, -1
                                        ; implicit-def: $vgpr2
.LBB160_3:
	s_load_dwordx2 s[12:13], s[4:5], 0x10
	v_mov_b32_e32 v31, 0
	v_mov_b32_e32 v35, 0
	;; [unrolled: 1-line block ×32, first 2 shown]
	s_andn2_b32 vcc_lo, exec_lo, s0
	s_lshl_b32 s6, s6, 7
	s_cbranch_vccnz .LBB160_14
; %bb.4:
	s_load_dwordx4 s[0:3], s[4:5], 0x0
	s_ashr_i32 s4, s8, 31
	s_ashr_i32 s5, s11, 31
	s_lshr_b32 s4, s4, 27
	s_lshr_b32 s5, s5, 27
	s_add_i32 s4, s8, s4
	s_add_i32 s5, s11, s5
	s_ashr_i32 s4, s4, 5
	s_ashr_i32 s11, s5, 5
	s_mul_i32 s8, s4, s6
	v_add_nc_u32_e32 v9, 8, v1
	s_mul_i32 s5, s8, 20
	s_mul_hi_i32 s8, s8, 20
	v_lshlrev_b32_e32 v2, 2, v0
	v_add_nc_u32_e32 v38, 16, v1
	v_add_nc_u32_e32 v39, 24, v1
	;; [unrolled: 1-line block ×6, first 2 shown]
	s_waitcnt lgkmcnt(0)
	s_add_u32 s5, s0, s5
	s_addc_u32 s8, s1, s8
	s_not_b32 s0, s6
	v_lshrrev_b32_e32 v71, 3, v0
	s_add_i32 s0, s9, s0
	v_add_nc_u32_e32 v28, 24, v49
	v_min_i32_e32 v3, s0, v1
	v_min_i32_e32 v4, s0, v9
	;; [unrolled: 1-line block ×3, first 2 shown]
	v_lshl_add_u32 v34, v1, 2, v71
	v_add_nc_u32_e32 v30, 32, v49
	v_mad_u64_u32 v[10:11], null, 0x84, v3, v[2:3]
	v_mul_lo_u32 v59, v3, s4
	v_mad_u64_u32 v[11:12], null, 0x84, v4, v[2:3]
	v_min_i32_e32 v3, s0, v39
	v_mul_lo_u32 v60, v4, s4
	v_min_i32_e32 v4, s0, v40
	v_mul_lo_u32 v61, v5, s4
	v_min_i32_e32 v44, s0, v34
	v_mad_u64_u32 v[12:13], null, 0x84, v5, v[2:3]
	v_mul_lo_u32 v62, v3, s4
	v_mad_u64_u32 v[13:14], null, 0x84, v3, v[2:3]
	v_min_i32_e32 v3, s0, v41
	v_mul_lo_u32 v63, v4, s4
	v_add_nc_u32_e32 v5, 64, v1
	v_ashrrev_i32_e32 v6, 31, v44
	v_add_nc_u32_e32 v32, 40, v49
	v_mad_u64_u32 v[14:15], null, 0x84, v4, v[2:3]
	v_min_i32_e32 v4, s0, v42
	v_mul_lo_u32 v64, v3, s4
	v_mad_u64_u32 v[15:16], null, 0x84, v3, v[2:3]
	v_min_i32_e32 v3, s0, v43
	v_mul_lo_u32 v66, v4, s4
	v_min_i32_e32 v5, s0, v5
	v_lshrrev_b32_e32 v6, 30, v6
	s_add_i32 s1, s10, -1
	v_mad_u64_u32 v[16:17], null, 0x84, v4, v[2:3]
	v_add_nc_u32_e32 v4, 0x48, v1
	v_mul_lo_u32 v67, v3, s4
	v_mad_u64_u32 v[17:18], null, 0x84, v3, v[2:3]
	v_mul_lo_u32 v68, v5, s4
	v_min_i32_e32 v3, s0, v4
	v_add_nc_u32_e32 v4, 0x50, v1
	v_cvt_f64_u32_e32 v[28:29], v28
	v_add_nc_u32_e32 v35, 48, v49
	v_cvt_f64_u32_e32 v[30:31], v30
	v_mad_u64_u32 v[18:19], null, 0x84, v5, v[2:3]
	v_add_nc_u32_e32 v5, 0x58, v1
	v_mul_lo_u32 v69, v3, s4
	v_min_i32_e32 v4, s0, v4
	v_mad_u64_u32 v[19:20], null, 0x84, v3, v[2:3]
	v_min_i32_e32 v3, s0, v5
	v_add_nc_u32_e32 v5, 0x60, v1
	v_mul_lo_u32 v72, v4, s4
	v_cvt_f64_u32_e32 v[32:33], v32
	v_add_nc_u32_e32 v7, 8, v49
	v_mad_u64_u32 v[20:21], null, 0x84, v4, v[2:3]
	v_min_i32_e32 v4, s0, v5
	v_add_nc_u32_e32 v5, 0x68, v1
	v_mul_lo_u32 v74, v3, s4
	v_mad_u64_u32 v[21:22], null, 0x84, v3, v[2:3]
	v_mul_lo_u32 v75, v4, s4
	v_min_i32_e32 v3, s0, v5
	v_add_nc_u32_e32 v5, 0x70, v1
	v_add_nc_u32_e32 v37, 56, v49
	;; [unrolled: 1-line block ×3, first 2 shown]
	v_cvt_f64_u32_e32 v[7:8], v7
	v_mad_u64_u32 v[22:23], null, 0x84, v4, v[2:3]
	v_min_i32_e32 v4, s0, v5
	v_add_nc_u32_e32 v5, 0x78, v1
	v_mul_lo_u32 v76, v3, s4
	v_mad_u64_u32 v[23:24], null, 0x84, v3, v[2:3]
	v_mul_lo_u32 v77, v4, s4
	v_min_i32_e32 v3, s0, v5
	v_add_nc_u32_e32 v5, v44, v6
	v_add_nc_u32_e32 v6, 32, v34
	v_min_i32_e32 v50, s0, v50
	v_and_b32_e32 v78, 7, v0
	v_mad_u64_u32 v[24:25], null, 0x84, v4, v[2:3]
	v_add_nc_u32_e32 v4, 64, v34
	v_mul_lo_u32 v80, v3, s4
	v_and_b32_e32 v45, -4, v5
	v_min_i32_e32 v47, s0, v6
	v_mad_u64_u32 v[25:26], null, 0x84, v3, v[2:3]
	v_min_i32_e32 v48, s0, v4
	v_cvt_f64_i32_e32 v[3:4], s1
	v_cvt_f64_u32_e32 v[5:6], v49
	v_ashrrev_i32_e32 v36, 31, v47
	v_add_nc_u32_e32 v26, 16, v49
	v_cvt_f64_u32_e32 v[34:35], v35
	v_ashrrev_i32_e32 v53, 31, v48
	v_ashrrev_i32_e32 v54, 31, v50
	v_lshrrev_b32_e32 v52, 30, v36
	v_cvt_f64_u32_e32 v[26:27], v26
	v_cvt_f64_u32_e32 v[36:37], v37
	v_lshrrev_b32_e32 v53, 30, v53
	v_lshrrev_b32_e32 v55, 2, v0
	v_lshlrev_b32_e32 v46, 2, v78
	v_lshrrev_b32_e32 v54, 30, v54
	v_add_nc_u32_e32 v52, v47, v52
	v_add_nc_u32_e32 v53, v48, v53
	v_mul_lo_u32 v85, v47, s4
	v_add3_u32 v45, v45, v46, 0x6200
	v_add_nc_u32_e32 v54, v50, v54
	v_and_b32_e32 v52, -4, v52
	v_and_b32_e32 v53, -4, v53
	v_and_b32_e32 v58, 12, v2
	v_min_f64 v[28:29], v[28:29], v[3:4]
	v_min_f64 v[5:6], v[5:6], v[3:4]
	;; [unrolled: 1-line block ×6, first 2 shown]
	v_add3_u32 v52, v52, v46, 0x6200
	v_and_b32_e32 v2, 28, v2
	v_min_f64 v[26:27], v[26:27], v[3:4]
	v_min_f64 v[3:4], v[36:37], v[3:4]
	v_lshlrev_b32_e32 v36, 5, v47
	v_add3_u32 v47, v53, v46, 0x6200
	v_lshl_add_u32 v53, v1, 3, v55
	v_and_b32_e32 v37, -4, v54
	v_mul_lo_u32 v81, v44, s4
	v_lshlrev_b32_e32 v44, 5, v44
	v_mul_lo_u32 v86, v48, s4
	v_lshlrev_b32_e32 v48, 5, v48
	v_add3_u32 v37, v37, v46, 0x6200
	v_mul_lo_u32 v87, v50, s4
	v_mov_b32_e32 v51, 0
	v_mul_u32_u24_e32 v97, 0x84, v0
	v_cvt_i32_f64_e32 v28, v[28:29]
	v_cvt_i32_f64_e32 v6, v[5:6]
	;; [unrolled: 1-line block ×6, first 2 shown]
	v_and_b32_e32 v8, 63, v53
	v_and_b32_e32 v5, 3, v0
	v_cvt_i32_f64_e32 v46, v[26:27]
	v_cvt_i32_f64_e32 v3, v[3:4]
	v_and_b32_e32 v33, 31, v0
	v_or_b32_e32 v26, s7, v8
	v_lshlrev_b32_e32 v27, 2, v5
	v_and_b32_e32 v35, 0xfc, v0
	v_lshlrev_b32_e32 v29, 5, v50
	v_lshl_or_b32 v33, v33, 2, 0x4200
	v_min_i32_e32 v4, s1, v26
	v_lshl_or_b32 v8, v8, 4, v27
	v_lshl_add_u32 v103, v1, 4, 0x7280
	v_mad_u32_u24 v105, 0x84, v0, 64
	v_add_nc_u32_e32 v110, v45, v44
	v_add_nc_u32_e32 v111, v52, v36
	v_mul_lo_u32 v92, s11, v28
	v_mad_u64_u32 v[26:27], null, v4, s11, v[5:6]
	v_mul_lo_u32 v94, s11, v31
	v_add_nc_u32_e32 v27, 0x60, v0
	v_add_nc_u32_e32 v28, 64, v0
	;; [unrolled: 1-line block ×3, first 2 shown]
	v_mul_lo_u32 v95, s11, v32
	v_lshlrev_b32_e32 v32, 5, v0
	v_and_b32_e32 v27, 0x1fc, v27
	v_and_b32_e32 v28, 0x1fc, v28
	;; [unrolled: 1-line block ×3, first 2 shown]
	v_add_nc_u32_e32 v88, 0x7280, v8
	v_mul_lo_u32 v89, s11, v6
	v_lshlrev_b32_e32 v4, 7, v1
	v_mul_lo_u32 v90, s11, v7
	v_lshlrev_b32_e32 v5, 7, v9
	v_lshlrev_b32_e32 v6, 7, v38
	;; [unrolled: 1-line block ×3, first 2 shown]
	v_mul_lo_u32 v93, s11, v30
	v_lshlrev_b32_e32 v8, 7, v40
	v_lshlrev_b32_e32 v9, 7, v41
	v_lshlrev_b32_e32 v30, 7, v42
	v_mul_lo_u32 v96, s11, v3
	v_lshlrev_b32_e32 v3, 7, v43
	v_lshrrev_b32_e32 v98, 3, v31
	v_add_nc_u32_e32 v31, v32, v27
	v_add_nc_u32_e32 v38, v32, v28
	;; [unrolled: 1-line block ×4, first 2 shown]
	v_mul_lo_u32 v91, s11, v46
	v_add_co_u32 v27, s0, s2, v2
	v_add_co_ci_u32_e64 v28, null, s3, 0, s0
	v_add_nc_u32_e32 v99, 0x6e00, v31
	v_add_nc_u32_e32 v100, 0x6a00, v38
	;; [unrolled: 1-line block ×19, first 2 shown]
	v_mov_b32_e32 v79, 0
	v_mov_b32_e32 v57, 0
	;; [unrolled: 1-line block ×31, first 2 shown]
	s_add_i32 s9, s4, 3
	s_mov_b32 s11, 0
	s_branch .LBB160_6
.LBB160_5:                              ;   in Loop: Header=BB160_6 Depth=1
	s_add_i32 s11, s11, 8
	s_add_i32 s9, s9, -8
	s_cmp_ge_i32 s11, s4
	s_cbranch_scc1 .LBB160_13
.LBB160_6:                              ; =>This Loop Header: Depth=1
                                        ;     Child Loop BB160_8 Depth 2
                                        ;     Child Loop BB160_11 Depth 2
	s_mul_i32 s0, s11, 20
	s_mul_hi_u32 s1, s11, 20
	s_add_u32 s0, s5, s0
	s_addc_u32 s1, s8, s1
	s_cmp_gt_u32 s9, 3
	v_mad_u64_u32 v[2:3], null, v55, 20, s[0:1]
	v_mad_i64_i32 v[4:5], null, v59, 20, v[2:3]
	v_add_co_u32 v4, vcc_lo, v4, v58
	v_add_co_ci_u32_e64 v5, null, 0, v5, vcc_lo
	global_load_dword v4, v[4:5], off offset:4
	s_waitcnt vmcnt(0)
	ds_write_b32 v10, v4
	v_mad_i64_i32 v[4:5], null, v60, 20, v[2:3]
	v_add_co_u32 v4, vcc_lo, v4, v58
	v_add_co_ci_u32_e64 v5, null, 0, v5, vcc_lo
	global_load_dword v4, v[4:5], off offset:4
	s_waitcnt vmcnt(0)
	ds_write_b32 v11, v4
	;; [unrolled: 6-line block ×14, first 2 shown]
	v_mad_i64_i32 v[4:5], null, v77, 20, v[2:3]
	v_mad_i64_i32 v[2:3], null, v80, 20, v[2:3]
	v_add_co_u32 v4, vcc_lo, v4, v58
	v_add_co_ci_u32_e64 v5, null, 0, v5, vcc_lo
	v_add_co_u32 v2, vcc_lo, v2, v58
	v_add_co_ci_u32_e64 v3, null, 0, v3, vcc_lo
	s_clause 0x1
	global_load_dword v4, v[4:5], off offset:4
	global_load_dword v2, v[2:3], off offset:4
	s_waitcnt vmcnt(1)
	ds_write_b32 v24, v4
	s_waitcnt vmcnt(0)
	ds_write_b32 v25, v2
	v_mad_u64_u32 v[2:3], null, v78, 20, s[0:1]
	v_mad_i64_i32 v[4:5], null, v81, 20, v[2:3]
	global_load_dword v4, v[4:5], off
	s_waitcnt vmcnt(0)
	ds_write_b32 v110, v4
	v_mad_i64_i32 v[4:5], null, v85, 20, v[2:3]
	global_load_dword v4, v[4:5], off
	s_waitcnt vmcnt(0)
	ds_write_b32 v111, v4
	v_mad_i64_i32 v[4:5], null, v86, 20, v[2:3]
	v_mad_i64_i32 v[2:3], null, v87, 20, v[2:3]
	s_clause 0x1
	global_load_dword v4, v[4:5], off
	global_load_dword v2, v[2:3], off
	s_waitcnt vmcnt(1)
	ds_write_b32 v112, v4
	s_waitcnt vmcnt(0)
	ds_write_b32 v113, v2
	s_cbranch_scc0 .LBB160_5
; %bb.7:                                ;   in Loop: Header=BB160_6 Depth=1
	v_add_nc_u32_e32 v5, s11, v71
	v_add_nc_u32_e32 v4, s11, v26
	v_mov_b32_e32 v6, v103
	v_mov_b32_e32 v7, v102
	;; [unrolled: 1-line block ×3, first 2 shown]
	v_add_nc_u32_e32 v2, v5, v89
	v_mov_b32_e32 v9, v100
	v_mov_b32_e32 v29, v99
	;; [unrolled: 1-line block ×3, first 2 shown]
	s_mov_b32 s0, -4
	v_mad_i64_i32 v[2:3], null, v2, 36, v[27:28]
	global_load_dword v2, v[2:3], off offset:4
	s_waitcnt vmcnt(0)
	ds_write_b32 v114, v2
	v_add_nc_u32_e32 v2, v5, v90
	v_mad_i64_i32 v[2:3], null, v2, 36, v[27:28]
	global_load_dword v2, v[2:3], off offset:4
	s_waitcnt vmcnt(0)
	ds_write_b32 v115, v2
	v_add_nc_u32_e32 v2, v5, v91
	;; [unrolled: 5-line block ×7, first 2 shown]
	v_mov_b32_e32 v5, v104
	v_mad_i64_i32 v[2:3], null, v2, 36, v[27:28]
	global_load_dword v2, v[2:3], off offset:4
	s_waitcnt vmcnt(0)
	ds_write_b32 v121, v2
	v_mad_u64_u32 v[2:3], null, v4, 36, s[2:3]
	global_load_dword v2, v[2:3], off
	s_waitcnt vmcnt(0)
	ds_write_b32 v88, v2
	s_waitcnt lgkmcnt(0)
	s_barrier
	buffer_gl0_inv
.LBB160_8:                              ;   Parent Loop BB160_6 Depth=1
                                        ; =>  This Inner Loop Header: Depth=2
	ds_read_b128 v[155:158], v5
	ds_read_b128 v[159:162], v5 offset:16
	ds_read2_b32 v[2:3], v6 offset1:32
	ds_read_b32 v122, v7
	ds_read2_b32 v[123:124], v30 offset1:1
	v_mov_b32_e32 v127, 0
	v_add_nc_u32_e32 v146, 0x2108, v30
	v_mov_b32_e32 v163, 0
	v_add_nc_u32_e32 v154, 0x3188, v30
	v_add_nc_u32_e32 v7, 4, v7
	s_add_i32 s0, s0, 4
	s_cmp_lt_u32 s0, 12
	s_waitcnt lgkmcnt(1)
	v_pk_mul_f16 v166, v122, v3
	s_waitcnt lgkmcnt(0)
	v_and_b32_e32 v125, 0xf0f0f0f, v123
	v_lshrrev_b32_e32 v123, 4, v123
	v_and_b32_e32 v130, 0xf0f0f0f, v124
	v_dot4c_i32_i8 v127, v125, v155
	v_and_b32_e32 v126, 0xf0f0f0f, v123
	v_lshrrev_b32_e32 v123, 4, v124
	v_dot4c_i32_i8 v127, v126, v159
	v_and_b32_e32 v131, 0xf0f0f0f, v123
	ds_read2_b32 v[123:124], v30 offset0:2 offset1:3
	v_dot4c_i32_i8 v127, v130, v156
	v_dot4c_i32_i8 v127, v131, v160
	s_waitcnt lgkmcnt(0)
	v_and_b32_e32 v134, 0xf0f0f0f, v123
	v_lshrrev_b32_e32 v123, 4, v123
	v_and_b32_e32 v136, 0xf0f0f0f, v124
	v_dot4c_i32_i8 v127, v134, v157
	v_and_b32_e32 v135, 0xf0f0f0f, v123
	v_lshrrev_b32_e32 v123, 4, v124
	v_dot4c_i32_i8 v127, v135, v161
	v_and_b32_e32 v137, 0xf0f0f0f, v123
	v_pk_mul_f16 v123, v2, v122
	v_dot4c_i32_i8 v127, v136, v158
	v_dot4c_i32_i8 v127, v137, v162
	v_cvt_f32_i32_e32 v124, v127
	v_fma_mix_f32 v123, v123, v124, v123 op_sel:[0,0,1] op_sel_hi:[1,0,1]
	v_add_nc_u32_e32 v124, 0x1080, v30
	v_add_f32_e32 v51, v51, v123
	ds_read_b32 v123, v8
	ds_read2_b32 v[128:129], v124 offset1:1
	v_add_nc_u32_e32 v8, 4, v8
	s_waitcnt lgkmcnt(0)
	v_and_b32_e32 v132, 0xf0f0f0f, v129
	v_lshrrev_b32_e32 v129, 4, v129
	v_lshrrev_b32_e32 v124, 4, v128
	v_and_b32_e32 v127, 0xf0f0f0f, v128
	v_and_b32_e32 v133, 0xf0f0f0f, v129
	v_add_nc_u32_e32 v129, 0x1088, v30
	v_and_b32_e32 v128, 0xf0f0f0f, v124
	v_mov_b32_e32 v124, 0
	ds_read2_b32 v[140:141], v129 offset1:1
	v_dot4c_i32_i8 v124, v127, v155
	v_dot4c_i32_i8 v124, v128, v159
	;; [unrolled: 1-line block ×4, first 2 shown]
	s_waitcnt lgkmcnt(0)
	v_and_b32_e32 v138, 0xf0f0f0f, v140
	v_lshrrev_b32_e32 v129, 4, v140
	v_and_b32_e32 v140, 0xf0f0f0f, v141
	v_dot4c_i32_i8 v124, v138, v157
	v_and_b32_e32 v139, 0xf0f0f0f, v129
	v_lshrrev_b32_e32 v129, 4, v141
	v_dot4c_i32_i8 v124, v139, v161
	v_and_b32_e32 v141, 0xf0f0f0f, v129
	v_pk_mul_f16 v129, v2, v123
	v_dot4c_i32_i8 v124, v140, v158
	v_dot4c_i32_i8 v124, v141, v162
	v_cvt_f32_i32_e32 v124, v124
	v_fma_mix_f32 v124, v129, v124, v129 op_sel:[0,0,1] op_sel_hi:[1,0,1]
	v_add_f32_e32 v84, v84, v124
	v_add_nc_u32_e32 v124, 0x2100, v30
	ds_read_b32 v129, v9
	ds_read2_b32 v[144:145], v124 offset1:1
	ds_read2_b32 v[148:149], v146 offset1:1
	v_add_nc_u32_e32 v9, 4, v9
	s_waitcnt lgkmcnt(2)
	v_pk_mul_f16 v150, v2, v129
	s_waitcnt lgkmcnt(1)
	v_lshrrev_b32_e32 v124, 4, v144
	v_and_b32_e32 v142, 0xf0f0f0f, v144
	v_and_b32_e32 v144, 0xf0f0f0f, v145
	v_lshrrev_b32_e32 v145, 4, v145
	s_waitcnt lgkmcnt(0)
	v_and_b32_e32 v146, 0xf0f0f0f, v148
	v_and_b32_e32 v143, 0xf0f0f0f, v124
	v_mov_b32_e32 v124, 0
	v_lshrrev_b32_e32 v147, 4, v148
	v_and_b32_e32 v145, 0xf0f0f0f, v145
	v_and_b32_e32 v148, 0xf0f0f0f, v149
	v_lshrrev_b32_e32 v149, 4, v149
	v_dot4c_i32_i8 v124, v142, v155
	v_and_b32_e32 v147, 0xf0f0f0f, v147
	v_and_b32_e32 v149, 0xf0f0f0f, v149
	v_dot4c_i32_i8 v124, v143, v159
	v_dot4c_i32_i8 v124, v144, v156
	;; [unrolled: 1-line block ×7, first 2 shown]
	v_cvt_f32_i32_e32 v124, v124
	v_fma_mix_f32 v124, v150, v124, v150 op_sel:[0,0,1] op_sel_hi:[1,0,1]
	v_add_nc_u32_e32 v150, 0x3180, v30
	v_add_nc_u32_e32 v30, 16, v30
	v_add_f32_e32 v83, v83, v124
	ds_read_b32 v124, v29
	ds_read2_b32 v[152:153], v150 offset1:1
	v_add_nc_u32_e32 v29, 4, v29
	s_waitcnt lgkmcnt(1)
	v_pk_mul_f16 v2, v2, v124
	s_waitcnt lgkmcnt(0)
	v_and_b32_e32 v150, 0xf0f0f0f, v152
	v_lshrrev_b32_e32 v151, 4, v152
	v_and_b32_e32 v152, 0xf0f0f0f, v153
	v_lshrrev_b32_e32 v153, 4, v153
	v_dot4c_i32_i8 v163, v150, v155
	v_and_b32_e32 v151, 0xf0f0f0f, v151
	v_and_b32_e32 v153, 0xf0f0f0f, v153
	v_dot4c_i32_i8 v163, v151, v159
	v_dot4c_i32_i8 v163, v152, v156
	;; [unrolled: 1-line block ×3, first 2 shown]
	ds_read2_b32 v[159:160], v154 offset1:1
	s_waitcnt lgkmcnt(0)
	v_and_b32_e32 v154, 0xf0f0f0f, v159
	v_lshrrev_b32_e32 v155, 4, v159
	v_and_b32_e32 v156, 0xf0f0f0f, v160
	v_dot4c_i32_i8 v163, v154, v157
	v_and_b32_e32 v155, 0xf0f0f0f, v155
	v_lshrrev_b32_e32 v157, 4, v160
	v_dot4c_i32_i8 v163, v155, v161
	v_and_b32_e32 v157, 0xf0f0f0f, v157
	v_dot4c_i32_i8 v163, v156, v158
	v_dot4c_i32_i8 v163, v157, v162
	v_cvt_f32_i32_e32 v158, v163
	v_fma_mix_f32 v2, v2, v158, v2 op_sel:[0,0,1] op_sel_hi:[1,0,1]
	ds_read_b128 v[158:161], v5 offset:1024
	ds_read_b128 v[162:165], v5 offset:1040
	v_add_f32_e32 v82, v82, v2
	v_mov_b32_e32 v2, 0
	s_waitcnt lgkmcnt(1)
	v_dot4c_i32_i8 v2, v125, v158
	s_waitcnt lgkmcnt(0)
	v_dot4c_i32_i8 v2, v126, v162
	v_dot4c_i32_i8 v2, v130, v159
	v_dot4c_i32_i8 v2, v131, v163
	v_dot4c_i32_i8 v2, v134, v160
	v_dot4c_i32_i8 v2, v135, v164
	v_dot4c_i32_i8 v2, v136, v161
	v_dot4c_i32_i8 v2, v137, v165
	v_cvt_f32_i32_e32 v2, v2
	v_fma_mix_f32 v2, v2, v166, v166 op_sel:[0,0,1] op_sel_hi:[0,1,1]
	v_pk_mul_f16 v166, v123, v3
	v_add_f32_e32 v79, v79, v2
	v_mov_b32_e32 v2, 0
	v_dot4c_i32_i8 v2, v127, v158
	v_dot4c_i32_i8 v2, v128, v162
	;; [unrolled: 1-line block ×8, first 2 shown]
	v_cvt_f32_i32_e32 v2, v2
	v_fma_mix_f32 v2, v2, v166, v166 op_sel:[0,0,1] op_sel_hi:[0,1,1]
	v_pk_mul_f16 v166, v129, v3
	v_pk_mul_f16 v3, v124, v3
	v_add_f32_e32 v73, v73, v2
	v_mov_b32_e32 v2, 0
	v_dot4c_i32_i8 v2, v142, v158
	v_dot4c_i32_i8 v2, v143, v162
	;; [unrolled: 1-line block ×8, first 2 shown]
	v_cvt_f32_i32_e32 v2, v2
	v_fma_mix_f32 v2, v2, v166, v166 op_sel:[0,0,1] op_sel_hi:[0,1,1]
	v_mov_b32_e32 v166, 0
	v_add_f32_e32 v70, v70, v2
	v_mov_b32_e32 v2, 0
	v_dot4c_i32_i8 v2, v150, v158
	v_dot4c_i32_i8 v2, v151, v162
	;; [unrolled: 1-line block ×8, first 2 shown]
	v_cvt_f32_i32_e32 v2, v2
	v_fma_mix_f32 v2, v2, v3, v3 op_sel:[0,0,1] op_sel_hi:[0,1,1]
	v_add_f32_e32 v65, v65, v2
	ds_read_b128 v[158:161], v5 offset:2048
	ds_read_b128 v[162:165], v5 offset:2064
	ds_read2_b32 v[2:3], v6 offset0:64 offset1:96
	s_waitcnt lgkmcnt(2)
	v_dot4c_i32_i8 v166, v125, v158
	s_waitcnt lgkmcnt(0)
	v_pk_mul_f16 v167, v122, v2
	v_dot4c_i32_i8 v166, v126, v162
	v_dot4c_i32_i8 v166, v130, v159
	;; [unrolled: 1-line block ×7, first 2 shown]
	v_cvt_f32_i32_e32 v166, v166
	v_fma_mix_f32 v166, v166, v167, v167 op_sel:[0,0,1] op_sel_hi:[0,1,1]
	v_pk_mul_f16 v167, v123, v2
	v_add_f32_e32 v57, v57, v166
	v_mov_b32_e32 v166, 0
	v_dot4c_i32_i8 v166, v127, v158
	v_dot4c_i32_i8 v166, v128, v162
	v_dot4c_i32_i8 v166, v132, v159
	v_dot4c_i32_i8 v166, v133, v163
	v_dot4c_i32_i8 v166, v138, v160
	v_dot4c_i32_i8 v166, v139, v164
	v_dot4c_i32_i8 v166, v140, v161
	v_dot4c_i32_i8 v166, v141, v165
	v_cvt_f32_i32_e32 v166, v166
	v_fma_mix_f32 v166, v166, v167, v167 op_sel:[0,0,1] op_sel_hi:[0,1,1]
	v_pk_mul_f16 v167, v129, v2
	v_pk_mul_f16 v2, v124, v2
	v_add_f32_e32 v56, v56, v166
	v_mov_b32_e32 v166, 0
	v_dot4c_i32_i8 v166, v142, v158
	v_dot4c_i32_i8 v166, v143, v162
	;; [unrolled: 1-line block ×8, first 2 shown]
	v_cvt_f32_i32_e32 v166, v166
	v_fma_mix_f32 v166, v166, v167, v167 op_sel:[0,0,1] op_sel_hi:[0,1,1]
	v_add_f32_e32 v54, v54, v166
	v_mov_b32_e32 v166, 0
	v_dot4c_i32_i8 v166, v150, v158
	v_dot4c_i32_i8 v166, v151, v162
	;; [unrolled: 1-line block ×8, first 2 shown]
	v_cvt_f32_i32_e32 v158, v166
	v_pk_mul_f16 v166, v122, v3
	v_fma_mix_f32 v2, v158, v2, v2 op_sel:[0,0,1] op_sel_hi:[0,1,1]
	ds_read_b128 v[158:161], v5 offset:3072
	ds_read_b128 v[162:165], v5 offset:3088
	v_add_f32_e32 v53, v53, v2
	v_mov_b32_e32 v2, 0
	s_waitcnt lgkmcnt(1)
	v_dot4c_i32_i8 v2, v125, v158
	s_waitcnt lgkmcnt(0)
	v_dot4c_i32_i8 v2, v126, v162
	v_dot4c_i32_i8 v2, v130, v159
	;; [unrolled: 1-line block ×7, first 2 shown]
	v_cvt_f32_i32_e32 v2, v2
	v_fma_mix_f32 v2, v2, v166, v166 op_sel:[0,0,1] op_sel_hi:[0,1,1]
	v_pk_mul_f16 v166, v123, v3
	v_add_f32_e32 v52, v52, v2
	v_mov_b32_e32 v2, 0
	v_dot4c_i32_i8 v2, v127, v158
	v_dot4c_i32_i8 v2, v128, v162
	;; [unrolled: 1-line block ×8, first 2 shown]
	v_cvt_f32_i32_e32 v2, v2
	v_fma_mix_f32 v2, v2, v166, v166 op_sel:[0,0,1] op_sel_hi:[0,1,1]
	v_pk_mul_f16 v166, v129, v3
	v_pk_mul_f16 v3, v124, v3
	v_add_f32_e32 v50, v50, v2
	v_mov_b32_e32 v2, 0
	v_dot4c_i32_i8 v2, v142, v158
	v_dot4c_i32_i8 v2, v143, v162
	;; [unrolled: 1-line block ×8, first 2 shown]
	v_cvt_f32_i32_e32 v2, v2
	v_fma_mix_f32 v2, v2, v166, v166 op_sel:[0,0,1] op_sel_hi:[0,1,1]
	v_mov_b32_e32 v166, 0
	v_add_f32_e32 v48, v48, v2
	v_mov_b32_e32 v2, 0
	v_dot4c_i32_i8 v2, v150, v158
	v_dot4c_i32_i8 v2, v151, v162
	;; [unrolled: 1-line block ×8, first 2 shown]
	v_cvt_f32_i32_e32 v2, v2
	v_fma_mix_f32 v2, v2, v3, v3 op_sel:[0,0,1] op_sel_hi:[0,1,1]
	v_add_f32_e32 v47, v47, v2
	ds_read_b128 v[158:161], v5 offset:4096
	ds_read_b128 v[162:165], v5 offset:4112
	ds_read2_b32 v[2:3], v6 offset0:128 offset1:160
	s_waitcnt lgkmcnt(2)
	v_dot4c_i32_i8 v166, v125, v158
	s_waitcnt lgkmcnt(0)
	v_pk_mul_f16 v167, v122, v2
	v_dot4c_i32_i8 v166, v126, v162
	v_dot4c_i32_i8 v166, v130, v159
	v_dot4c_i32_i8 v166, v131, v163
	v_dot4c_i32_i8 v166, v134, v160
	v_dot4c_i32_i8 v166, v135, v164
	v_dot4c_i32_i8 v166, v136, v161
	v_dot4c_i32_i8 v166, v137, v165
	v_cvt_f32_i32_e32 v166, v166
	v_fma_mix_f32 v166, v166, v167, v167 op_sel:[0,0,1] op_sel_hi:[0,1,1]
	v_pk_mul_f16 v167, v123, v2
	v_add_f32_e32 v46, v46, v166
	v_mov_b32_e32 v166, 0
	v_dot4c_i32_i8 v166, v127, v158
	v_dot4c_i32_i8 v166, v128, v162
	;; [unrolled: 1-line block ×8, first 2 shown]
	v_cvt_f32_i32_e32 v166, v166
	v_fma_mix_f32 v166, v166, v167, v167 op_sel:[0,0,1] op_sel_hi:[0,1,1]
	v_pk_mul_f16 v167, v129, v2
	v_pk_mul_f16 v2, v124, v2
	v_add_f32_e32 v45, v45, v166
	v_mov_b32_e32 v166, 0
	v_dot4c_i32_i8 v166, v142, v158
	v_dot4c_i32_i8 v166, v143, v162
	;; [unrolled: 1-line block ×8, first 2 shown]
	v_cvt_f32_i32_e32 v166, v166
	v_fma_mix_f32 v166, v166, v167, v167 op_sel:[0,0,1] op_sel_hi:[0,1,1]
	v_add_f32_e32 v44, v44, v166
	v_mov_b32_e32 v166, 0
	v_dot4c_i32_i8 v166, v150, v158
	v_dot4c_i32_i8 v166, v151, v162
	;; [unrolled: 1-line block ×8, first 2 shown]
	v_cvt_f32_i32_e32 v158, v166
	v_pk_mul_f16 v166, v122, v3
	v_fma_mix_f32 v2, v158, v2, v2 op_sel:[0,0,1] op_sel_hi:[0,1,1]
	ds_read_b128 v[158:161], v5 offset:5120
	ds_read_b128 v[162:165], v5 offset:5136
	v_add_f32_e32 v43, v43, v2
	v_mov_b32_e32 v2, 0
	s_waitcnt lgkmcnt(1)
	v_dot4c_i32_i8 v2, v125, v158
	s_waitcnt lgkmcnt(0)
	v_dot4c_i32_i8 v2, v126, v162
	v_dot4c_i32_i8 v2, v130, v159
	;; [unrolled: 1-line block ×7, first 2 shown]
	v_cvt_f32_i32_e32 v2, v2
	v_fma_mix_f32 v2, v2, v166, v166 op_sel:[0,0,1] op_sel_hi:[0,1,1]
	v_pk_mul_f16 v166, v123, v3
	v_add_f32_e32 v42, v42, v2
	v_mov_b32_e32 v2, 0
	v_dot4c_i32_i8 v2, v127, v158
	v_dot4c_i32_i8 v2, v128, v162
	;; [unrolled: 1-line block ×8, first 2 shown]
	v_cvt_f32_i32_e32 v2, v2
	v_fma_mix_f32 v2, v2, v166, v166 op_sel:[0,0,1] op_sel_hi:[0,1,1]
	v_pk_mul_f16 v166, v129, v3
	v_pk_mul_f16 v3, v124, v3
	v_add_f32_e32 v41, v41, v2
	v_mov_b32_e32 v2, 0
	v_dot4c_i32_i8 v2, v142, v158
	v_dot4c_i32_i8 v2, v143, v162
	;; [unrolled: 1-line block ×8, first 2 shown]
	v_cvt_f32_i32_e32 v2, v2
	v_fma_mix_f32 v2, v2, v166, v166 op_sel:[0,0,1] op_sel_hi:[0,1,1]
	v_mov_b32_e32 v166, 0
	v_add_f32_e32 v40, v40, v2
	v_mov_b32_e32 v2, 0
	v_dot4c_i32_i8 v2, v150, v158
	v_dot4c_i32_i8 v2, v151, v162
	;; [unrolled: 1-line block ×8, first 2 shown]
	v_cvt_f32_i32_e32 v2, v2
	v_fma_mix_f32 v2, v2, v3, v3 op_sel:[0,0,1] op_sel_hi:[0,1,1]
	v_add_f32_e32 v39, v39, v2
	ds_read_b128 v[158:161], v5 offset:6144
	ds_read_b128 v[162:165], v5 offset:6160
	ds_read2_b32 v[2:3], v6 offset0:192 offset1:224
	v_add_nc_u32_e32 v6, 4, v6
	s_waitcnt lgkmcnt(2)
	v_dot4c_i32_i8 v166, v125, v158
	s_waitcnt lgkmcnt(0)
	v_pk_mul_f16 v167, v122, v2
	v_pk_mul_f16 v122, v122, v3
	v_dot4c_i32_i8 v166, v126, v162
	v_dot4c_i32_i8 v166, v130, v159
	;; [unrolled: 1-line block ×7, first 2 shown]
	v_cvt_f32_i32_e32 v166, v166
	v_fma_mix_f32 v166, v166, v167, v167 op_sel:[0,0,1] op_sel_hi:[0,1,1]
	v_pk_mul_f16 v167, v123, v2
	v_add_f32_e32 v38, v38, v166
	v_mov_b32_e32 v166, 0
	v_dot4c_i32_i8 v166, v127, v158
	v_dot4c_i32_i8 v166, v128, v162
	;; [unrolled: 1-line block ×8, first 2 shown]
	v_cvt_f32_i32_e32 v166, v166
	v_fma_mix_f32 v166, v166, v167, v167 op_sel:[0,0,1] op_sel_hi:[0,1,1]
	v_pk_mul_f16 v167, v129, v2
	v_pk_mul_f16 v2, v124, v2
	v_add_f32_e32 v37, v37, v166
	v_mov_b32_e32 v166, 0
	v_dot4c_i32_i8 v166, v142, v158
	v_dot4c_i32_i8 v166, v143, v162
	;; [unrolled: 1-line block ×8, first 2 shown]
	v_cvt_f32_i32_e32 v166, v166
	v_fma_mix_f32 v166, v166, v167, v167 op_sel:[0,0,1] op_sel_hi:[0,1,1]
	v_add_f32_e32 v36, v36, v166
	v_mov_b32_e32 v166, 0
	v_dot4c_i32_i8 v166, v150, v158
	v_dot4c_i32_i8 v166, v151, v162
	;; [unrolled: 1-line block ×8, first 2 shown]
	v_cvt_f32_i32_e32 v158, v166
	v_fma_mix_f32 v2, v158, v2, v2 op_sel:[0,0,1] op_sel_hi:[0,1,1]
	ds_read_b128 v[158:161], v5 offset:7168
	ds_read_b128 v[162:165], v5 offset:7184
	v_add_nc_u32_e32 v5, 32, v5
	v_add_f32_e32 v35, v35, v2
	v_mov_b32_e32 v2, 0
	s_waitcnt lgkmcnt(1)
	v_dot4c_i32_i8 v2, v125, v158
	s_waitcnt lgkmcnt(0)
	v_dot4c_i32_i8 v2, v126, v162
	v_dot4c_i32_i8 v2, v130, v159
	;; [unrolled: 1-line block ×7, first 2 shown]
	v_cvt_f32_i32_e32 v2, v2
	v_fma_mix_f32 v2, v2, v122, v122 op_sel:[0,0,1] op_sel_hi:[0,1,1]
	v_pk_mul_f16 v122, v123, v3
	v_add_f32_e32 v34, v34, v2
	v_mov_b32_e32 v2, 0
	v_dot4c_i32_i8 v2, v127, v158
	v_dot4c_i32_i8 v2, v128, v162
	;; [unrolled: 1-line block ×8, first 2 shown]
	v_cvt_f32_i32_e32 v2, v2
	v_fma_mix_f32 v2, v2, v122, v122 op_sel:[0,0,1] op_sel_hi:[0,1,1]
	v_pk_mul_f16 v122, v129, v3
	v_pk_mul_f16 v3, v124, v3
	v_add_f32_e32 v33, v33, v2
	v_mov_b32_e32 v2, 0
	v_dot4c_i32_i8 v2, v142, v158
	v_dot4c_i32_i8 v2, v143, v162
	;; [unrolled: 1-line block ×8, first 2 shown]
	v_cvt_f32_i32_e32 v2, v2
	v_fma_mix_f32 v2, v2, v122, v122 op_sel:[0,0,1] op_sel_hi:[0,1,1]
	v_add_f32_e32 v32, v32, v2
	v_mov_b32_e32 v2, 0
	v_dot4c_i32_i8 v2, v150, v158
	v_dot4c_i32_i8 v2, v151, v162
	;; [unrolled: 1-line block ×8, first 2 shown]
	v_cvt_f32_i32_e32 v2, v2
	v_fma_mix_f32 v2, v2, v3, v3 op_sel:[0,0,1] op_sel_hi:[0,1,1]
	v_add_f32_e32 v31, v31, v2
	s_cbranch_scc1 .LBB160_8
; %bb.9:                                ;   in Loop: Header=BB160_6 Depth=1
	s_and_b32 s0, s9, -4
	s_cmp_eq_u32 s0, 4
	s_barrier
	buffer_gl0_inv
	s_cbranch_scc1 .LBB160_5
; %bb.10:                               ;   in Loop: Header=BB160_6 Depth=1
	v_add_nc_u32_e32 v9, s11, v98
	v_add_nc_u32_e32 v4, 4, v4
	s_mov_b32 s0, 12
	v_add_nc_u32_e32 v2, v9, v89
	v_add_nc_u32_e32 v5, v9, v90
	;; [unrolled: 1-line block ×5, first 2 shown]
	v_mad_u64_u32 v[124:125], null, v4, 36, s[2:3]
	v_mad_i64_i32 v[2:3], null, v2, 36, v[27:28]
	v_add_nc_u32_e32 v126, v9, v94
	v_mad_i64_i32 v[5:6], null, v5, 36, v[27:28]
	v_add_nc_u32_e32 v128, v9, v95
	;; [unrolled: 2-line block ×3, first 2 shown]
	v_mad_i64_i32 v[29:30], null, v29, 36, v[27:28]
	v_mad_i64_i32 v[122:123], null, v122, 36, v[27:28]
	;; [unrolled: 1-line block ×5, first 2 shown]
	s_clause 0x8
	global_load_dword v4, v[124:125], off
	global_load_dword v2, v[2:3], off offset:4
	global_load_dword v3, v[5:6], off offset:4
	;; [unrolled: 1-line block ×8, first 2 shown]
	v_mov_b32_e32 v122, v103
	v_mov_b32_e32 v123, v104
	;; [unrolled: 1-line block ×7, first 2 shown]
	s_waitcnt vmcnt(8)
	ds_write_b32 v88, v4
	s_waitcnt vmcnt(7)
	ds_write_b32 v114, v2
	;; [unrolled: 2-line block ×9, first 2 shown]
	s_waitcnt lgkmcnt(0)
	s_barrier
	buffer_gl0_inv
.LBB160_11:                             ;   Parent Loop BB160_6 Depth=1
                                        ; =>  This Inner Loop Header: Depth=2
	ds_read_b128 v[2:5], v123
	ds_read_b128 v[6:9], v123 offset:16
	ds_read2_b32 v[29:30], v122 offset1:32
	ds_read_b32 v144, v124
	ds_read2_b32 v[129:130], v128 offset1:1
	v_mov_b32_e32 v131, 0
	v_add_nc_u32_e32 v134, 0x2108, v128
	v_mov_b32_e32 v138, 0
	v_mov_b32_e32 v162, 0
	v_add_nc_u32_e32 v124, 4, v124
	s_add_i32 s0, s0, 4
	s_cmp_lt_u32 s0, 28
	s_waitcnt lgkmcnt(0)
	v_and_b32_e32 v149, 0xf0f0f0f, v129
	v_lshrrev_b32_e32 v129, 4, v129
	v_and_b32_e32 v151, 0xf0f0f0f, v130
	v_dot4c_i32_i8 v131, v149, v2
	v_and_b32_e32 v150, 0xf0f0f0f, v129
	v_lshrrev_b32_e32 v129, 4, v130
	v_dot4c_i32_i8 v131, v150, v6
	v_and_b32_e32 v152, 0xf0f0f0f, v129
	ds_read2_b32 v[129:130], v128 offset0:2 offset1:3
	v_dot4c_i32_i8 v131, v151, v3
	v_dot4c_i32_i8 v131, v152, v7
	s_waitcnt lgkmcnt(0)
	v_and_b32_e32 v153, 0xf0f0f0f, v129
	v_lshrrev_b32_e32 v129, 4, v129
	v_and_b32_e32 v155, 0xf0f0f0f, v130
	v_dot4c_i32_i8 v131, v153, v4
	v_and_b32_e32 v154, 0xf0f0f0f, v129
	v_lshrrev_b32_e32 v129, 4, v130
	v_dot4c_i32_i8 v131, v154, v8
	v_and_b32_e32 v156, 0xf0f0f0f, v129
	v_pk_mul_f16 v129, v29, v144
	v_dot4c_i32_i8 v131, v155, v5
	v_dot4c_i32_i8 v131, v156, v9
	v_cvt_f32_i32_e32 v130, v131
	v_mov_b32_e32 v131, 0
	v_fma_mix_f32 v129, v129, v130, v129 op_sel:[0,0,1] op_sel_hi:[1,0,1]
	v_add_f32_e32 v51, v51, v129
	v_add_nc_u32_e32 v129, 0x1080, v128
	ds_read_b32 v139, v125
	ds_read2_b32 v[129:130], v129 offset1:1
	v_add_nc_u32_e32 v125, 4, v125
	s_waitcnt lgkmcnt(0)
	v_and_b32_e32 v140, 0xf0f0f0f, v129
	v_lshrrev_b32_e32 v129, 4, v129
	v_and_b32_e32 v142, 0xf0f0f0f, v130
	v_dot4c_i32_i8 v131, v140, v2
	v_and_b32_e32 v141, 0xf0f0f0f, v129
	v_lshrrev_b32_e32 v129, 4, v130
	v_dot4c_i32_i8 v131, v141, v6
	v_and_b32_e32 v143, 0xf0f0f0f, v129
	v_add_nc_u32_e32 v129, 0x1088, v128
	v_dot4c_i32_i8 v131, v142, v3
	ds_read2_b32 v[129:130], v129 offset1:1
	v_dot4c_i32_i8 v131, v143, v7
	s_waitcnt lgkmcnt(0)
	v_and_b32_e32 v145, 0xf0f0f0f, v129
	v_lshrrev_b32_e32 v129, 4, v129
	v_and_b32_e32 v147, 0xf0f0f0f, v130
	v_dot4c_i32_i8 v131, v145, v4
	v_and_b32_e32 v146, 0xf0f0f0f, v129
	v_lshrrev_b32_e32 v129, 4, v130
	v_dot4c_i32_i8 v131, v146, v8
	v_and_b32_e32 v148, 0xf0f0f0f, v129
	v_pk_mul_f16 v129, v29, v139
	v_dot4c_i32_i8 v131, v147, v5
	v_dot4c_i32_i8 v131, v148, v9
	v_cvt_f32_i32_e32 v130, v131
	v_fma_mix_f32 v129, v129, v130, v129 op_sel:[0,0,1] op_sel_hi:[1,0,1]
	v_add_nc_u32_e32 v130, 0x2100, v128
	v_add_f32_e32 v84, v84, v129
	ds_read_b32 v129, v126
	ds_read2_b32 v[132:133], v130 offset1:1
	ds_read2_b32 v[136:137], v134 offset1:1
	v_add_nc_u32_e32 v126, 4, v126
	s_waitcnt lgkmcnt(2)
	v_pk_mul_f16 v157, v29, v129
	s_waitcnt lgkmcnt(1)
	v_and_b32_e32 v130, 0xf0f0f0f, v132
	v_lshrrev_b32_e32 v131, 4, v132
	v_and_b32_e32 v132, 0xf0f0f0f, v133
	v_lshrrev_b32_e32 v133, 4, v133
	s_waitcnt lgkmcnt(0)
	v_and_b32_e32 v134, 0xf0f0f0f, v136
	v_dot4c_i32_i8 v138, v130, v2
	v_and_b32_e32 v131, 0xf0f0f0f, v131
	v_lshrrev_b32_e32 v135, 4, v136
	v_and_b32_e32 v133, 0xf0f0f0f, v133
	v_and_b32_e32 v136, 0xf0f0f0f, v137
	v_lshrrev_b32_e32 v137, 4, v137
	v_dot4c_i32_i8 v138, v131, v6
	v_and_b32_e32 v135, 0xf0f0f0f, v135
	v_and_b32_e32 v137, 0xf0f0f0f, v137
	v_dot4c_i32_i8 v138, v132, v3
	v_dot4c_i32_i8 v138, v133, v7
	;; [unrolled: 1-line block ×6, first 2 shown]
	v_cvt_f32_i32_e32 v138, v138
	v_fma_mix_f32 v138, v157, v138, v157 op_sel:[0,0,1] op_sel_hi:[1,0,1]
	v_add_nc_u32_e32 v157, 0x3180, v128
	v_add_f32_e32 v83, v83, v138
	ds_read_b32 v138, v127
	ds_read2_b32 v[160:161], v157 offset1:1
	v_add_nc_u32_e32 v127, 4, v127
	s_waitcnt lgkmcnt(0)
	v_and_b32_e32 v159, 0xf0f0f0f, v160
	v_lshrrev_b32_e32 v157, 4, v160
	v_dot4c_i32_i8 v162, v159, v2
	v_and_b32_e32 v158, 0xf0f0f0f, v157
	v_lshrrev_b32_e32 v2, 4, v161
	v_and_b32_e32 v157, 0xf0f0f0f, v161
	v_dot4c_i32_i8 v162, v158, v6
	v_and_b32_e32 v6, 0xf0f0f0f, v2
	v_add_nc_u32_e32 v2, 0x3188, v128
	v_add_nc_u32_e32 v128, 16, v128
	v_dot4c_i32_i8 v162, v157, v3
	ds_read2_b32 v[2:3], v2 offset1:1
	v_dot4c_i32_i8 v162, v6, v7
	s_waitcnt lgkmcnt(0)
	v_and_b32_e32 v7, 0xf0f0f0f, v2
	v_lshrrev_b32_e32 v2, 4, v2
	v_dot4c_i32_i8 v162, v7, v4
	v_and_b32_e32 v160, 0xf0f0f0f, v2
	v_lshrrev_b32_e32 v2, 4, v3
	v_dot4c_i32_i8 v162, v160, v8
	v_and_b32_e32 v8, 0xf0f0f0f, v3
	v_and_b32_e32 v4, 0xf0f0f0f, v2
	v_pk_mul_f16 v2, v29, v138
	v_dot4c_i32_i8 v162, v8, v5
	v_mov_b32_e32 v5, 0
	v_dot4c_i32_i8 v162, v4, v9
	v_cvt_f32_i32_e32 v3, v162
	ds_read_b128 v[161:164], v123 offset:1024
	ds_read_b128 v[165:168], v123 offset:1040
	v_fma_mix_f32 v2, v2, v3, v2 op_sel:[0,0,1] op_sel_hi:[1,0,1]
	v_pk_mul_f16 v3, v144, v30
	v_add_f32_e32 v82, v82, v2
	v_mov_b32_e32 v2, 0
	s_waitcnt lgkmcnt(1)
	v_dot4c_i32_i8 v2, v149, v161
	s_waitcnt lgkmcnt(0)
	v_dot4c_i32_i8 v2, v150, v165
	v_dot4c_i32_i8 v2, v151, v162
	v_dot4c_i32_i8 v2, v152, v166
	v_dot4c_i32_i8 v2, v153, v163
	v_dot4c_i32_i8 v2, v154, v167
	v_dot4c_i32_i8 v2, v155, v164
	v_dot4c_i32_i8 v2, v156, v168
	v_cvt_f32_i32_e32 v2, v2
	v_fma_mix_f32 v2, v2, v3, v3 op_sel:[0,0,1] op_sel_hi:[0,1,1]
	v_pk_mul_f16 v3, v139, v30
	v_add_f32_e32 v79, v79, v2
	v_mov_b32_e32 v2, 0
	v_dot4c_i32_i8 v2, v140, v161
	v_dot4c_i32_i8 v2, v141, v165
	v_dot4c_i32_i8 v2, v142, v162
	v_dot4c_i32_i8 v2, v143, v166
	v_dot4c_i32_i8 v2, v145, v163
	v_dot4c_i32_i8 v2, v146, v167
	v_dot4c_i32_i8 v2, v147, v164
	v_dot4c_i32_i8 v2, v148, v168
	v_cvt_f32_i32_e32 v2, v2
	v_fma_mix_f32 v2, v2, v3, v3 op_sel:[0,0,1] op_sel_hi:[0,1,1]
	v_pk_mul_f16 v3, v129, v30
	v_add_f32_e32 v73, v73, v2
	v_mov_b32_e32 v2, 0
	v_dot4c_i32_i8 v2, v130, v161
	;; [unrolled: 13-line block ×3, first 2 shown]
	v_dot4c_i32_i8 v2, v158, v165
	v_dot4c_i32_i8 v2, v157, v162
	;; [unrolled: 1-line block ×7, first 2 shown]
	v_cvt_f32_i32_e32 v2, v2
	v_fma_mix_f32 v2, v2, v3, v3 op_sel:[0,0,1] op_sel_hi:[0,1,1]
	v_add_f32_e32 v65, v65, v2
	ds_read_b128 v[161:164], v123 offset:2048
	ds_read_b128 v[165:168], v123 offset:2064
	ds_read2_b32 v[2:3], v122 offset0:64 offset1:96
	s_waitcnt lgkmcnt(2)
	v_dot4c_i32_i8 v5, v149, v161
	s_waitcnt lgkmcnt(0)
	v_pk_mul_f16 v9, v144, v2
	v_dot4c_i32_i8 v5, v150, v165
	v_dot4c_i32_i8 v5, v151, v162
	;; [unrolled: 1-line block ×7, first 2 shown]
	v_cvt_f32_i32_e32 v5, v5
	v_fma_mix_f32 v5, v5, v9, v9 op_sel:[0,0,1] op_sel_hi:[0,1,1]
	v_pk_mul_f16 v9, v139, v2
	v_add_f32_e32 v57, v57, v5
	v_mov_b32_e32 v5, 0
	v_dot4c_i32_i8 v5, v140, v161
	v_dot4c_i32_i8 v5, v141, v165
	;; [unrolled: 1-line block ×8, first 2 shown]
	v_cvt_f32_i32_e32 v5, v5
	v_fma_mix_f32 v5, v5, v9, v9 op_sel:[0,0,1] op_sel_hi:[0,1,1]
	v_pk_mul_f16 v9, v129, v2
	v_pk_mul_f16 v2, v138, v2
	v_add_f32_e32 v56, v56, v5
	v_mov_b32_e32 v5, 0
	v_dot4c_i32_i8 v5, v130, v161
	v_dot4c_i32_i8 v5, v131, v165
	;; [unrolled: 1-line block ×8, first 2 shown]
	v_cvt_f32_i32_e32 v5, v5
	v_fma_mix_f32 v5, v5, v9, v9 op_sel:[0,0,1] op_sel_hi:[0,1,1]
	v_add_f32_e32 v54, v54, v5
	v_mov_b32_e32 v5, 0
	v_dot4c_i32_i8 v5, v159, v161
	v_dot4c_i32_i8 v5, v158, v165
	;; [unrolled: 1-line block ×8, first 2 shown]
	ds_read_b128 v[161:164], v123 offset:3072
	ds_read_b128 v[165:168], v123 offset:3088
	v_cvt_f32_i32_e32 v5, v5
	v_fma_mix_f32 v2, v5, v2, v2 op_sel:[0,0,1] op_sel_hi:[0,1,1]
	v_pk_mul_f16 v5, v144, v3
	v_add_f32_e32 v53, v53, v2
	v_mov_b32_e32 v2, 0
	s_waitcnt lgkmcnt(1)
	v_dot4c_i32_i8 v2, v149, v161
	s_waitcnt lgkmcnt(0)
	v_dot4c_i32_i8 v2, v150, v165
	v_dot4c_i32_i8 v2, v151, v162
	;; [unrolled: 1-line block ×7, first 2 shown]
	v_cvt_f32_i32_e32 v2, v2
	v_fma_mix_f32 v2, v2, v5, v5 op_sel:[0,0,1] op_sel_hi:[0,1,1]
	v_pk_mul_f16 v5, v139, v3
	v_add_f32_e32 v52, v52, v2
	v_mov_b32_e32 v2, 0
	v_dot4c_i32_i8 v2, v140, v161
	v_dot4c_i32_i8 v2, v141, v165
	;; [unrolled: 1-line block ×8, first 2 shown]
	v_cvt_f32_i32_e32 v2, v2
	v_fma_mix_f32 v2, v2, v5, v5 op_sel:[0,0,1] op_sel_hi:[0,1,1]
	v_pk_mul_f16 v5, v129, v3
	v_pk_mul_f16 v3, v138, v3
	v_add_f32_e32 v50, v50, v2
	v_mov_b32_e32 v2, 0
	v_dot4c_i32_i8 v2, v130, v161
	v_dot4c_i32_i8 v2, v131, v165
	v_dot4c_i32_i8 v2, v132, v162
	v_dot4c_i32_i8 v2, v133, v166
	v_dot4c_i32_i8 v2, v134, v163
	v_dot4c_i32_i8 v2, v135, v167
	v_dot4c_i32_i8 v2, v136, v164
	v_dot4c_i32_i8 v2, v137, v168
	v_cvt_f32_i32_e32 v2, v2
	v_fma_mix_f32 v2, v2, v5, v5 op_sel:[0,0,1] op_sel_hi:[0,1,1]
	v_mov_b32_e32 v5, 0
	v_add_f32_e32 v48, v48, v2
	v_mov_b32_e32 v2, 0
	v_dot4c_i32_i8 v2, v159, v161
	v_dot4c_i32_i8 v2, v158, v165
	;; [unrolled: 1-line block ×8, first 2 shown]
	v_cvt_f32_i32_e32 v2, v2
	v_fma_mix_f32 v2, v2, v3, v3 op_sel:[0,0,1] op_sel_hi:[0,1,1]
	v_add_f32_e32 v47, v47, v2
	ds_read_b128 v[161:164], v123 offset:4096
	ds_read_b128 v[165:168], v123 offset:4112
	ds_read2_b32 v[2:3], v122 offset0:128 offset1:160
	s_waitcnt lgkmcnt(2)
	v_dot4c_i32_i8 v5, v149, v161
	s_waitcnt lgkmcnt(0)
	v_pk_mul_f16 v9, v144, v2
	v_dot4c_i32_i8 v5, v150, v165
	v_dot4c_i32_i8 v5, v151, v162
	;; [unrolled: 1-line block ×7, first 2 shown]
	v_cvt_f32_i32_e32 v5, v5
	v_fma_mix_f32 v5, v5, v9, v9 op_sel:[0,0,1] op_sel_hi:[0,1,1]
	v_pk_mul_f16 v9, v139, v2
	v_add_f32_e32 v46, v46, v5
	v_mov_b32_e32 v5, 0
	v_dot4c_i32_i8 v5, v140, v161
	v_dot4c_i32_i8 v5, v141, v165
	;; [unrolled: 1-line block ×8, first 2 shown]
	v_cvt_f32_i32_e32 v5, v5
	v_fma_mix_f32 v5, v5, v9, v9 op_sel:[0,0,1] op_sel_hi:[0,1,1]
	v_pk_mul_f16 v9, v129, v2
	v_pk_mul_f16 v2, v138, v2
	v_add_f32_e32 v45, v45, v5
	v_mov_b32_e32 v5, 0
	v_dot4c_i32_i8 v5, v130, v161
	v_dot4c_i32_i8 v5, v131, v165
	;; [unrolled: 1-line block ×8, first 2 shown]
	v_cvt_f32_i32_e32 v5, v5
	v_fma_mix_f32 v5, v5, v9, v9 op_sel:[0,0,1] op_sel_hi:[0,1,1]
	v_add_f32_e32 v44, v44, v5
	v_mov_b32_e32 v5, 0
	v_dot4c_i32_i8 v5, v159, v161
	v_dot4c_i32_i8 v5, v158, v165
	;; [unrolled: 1-line block ×8, first 2 shown]
	ds_read_b128 v[161:164], v123 offset:5120
	ds_read_b128 v[165:168], v123 offset:5136
	v_cvt_f32_i32_e32 v5, v5
	v_fma_mix_f32 v2, v5, v2, v2 op_sel:[0,0,1] op_sel_hi:[0,1,1]
	v_pk_mul_f16 v5, v144, v3
	v_add_f32_e32 v43, v43, v2
	v_mov_b32_e32 v2, 0
	s_waitcnt lgkmcnt(1)
	v_dot4c_i32_i8 v2, v149, v161
	s_waitcnt lgkmcnt(0)
	v_dot4c_i32_i8 v2, v150, v165
	v_dot4c_i32_i8 v2, v151, v162
	;; [unrolled: 1-line block ×7, first 2 shown]
	v_cvt_f32_i32_e32 v2, v2
	v_fma_mix_f32 v2, v2, v5, v5 op_sel:[0,0,1] op_sel_hi:[0,1,1]
	v_pk_mul_f16 v5, v139, v3
	v_add_f32_e32 v42, v42, v2
	v_mov_b32_e32 v2, 0
	v_dot4c_i32_i8 v2, v140, v161
	v_dot4c_i32_i8 v2, v141, v165
	;; [unrolled: 1-line block ×8, first 2 shown]
	v_cvt_f32_i32_e32 v2, v2
	v_fma_mix_f32 v2, v2, v5, v5 op_sel:[0,0,1] op_sel_hi:[0,1,1]
	v_pk_mul_f16 v5, v129, v3
	v_pk_mul_f16 v3, v138, v3
	v_add_f32_e32 v41, v41, v2
	v_mov_b32_e32 v2, 0
	v_dot4c_i32_i8 v2, v130, v161
	v_dot4c_i32_i8 v2, v131, v165
	v_dot4c_i32_i8 v2, v132, v162
	v_dot4c_i32_i8 v2, v133, v166
	v_dot4c_i32_i8 v2, v134, v163
	v_dot4c_i32_i8 v2, v135, v167
	v_dot4c_i32_i8 v2, v136, v164
	v_dot4c_i32_i8 v2, v137, v168
	v_cvt_f32_i32_e32 v2, v2
	v_fma_mix_f32 v2, v2, v5, v5 op_sel:[0,0,1] op_sel_hi:[0,1,1]
	v_mov_b32_e32 v5, 0
	v_add_f32_e32 v40, v40, v2
	v_mov_b32_e32 v2, 0
	v_dot4c_i32_i8 v2, v159, v161
	v_dot4c_i32_i8 v2, v158, v165
	;; [unrolled: 1-line block ×8, first 2 shown]
	v_cvt_f32_i32_e32 v2, v2
	v_fma_mix_f32 v2, v2, v3, v3 op_sel:[0,0,1] op_sel_hi:[0,1,1]
	v_add_f32_e32 v39, v39, v2
	ds_read_b128 v[161:164], v123 offset:6144
	ds_read_b128 v[165:168], v123 offset:6160
	ds_read2_b32 v[2:3], v122 offset0:192 offset1:224
	v_add_nc_u32_e32 v122, 4, v122
	s_waitcnt lgkmcnt(2)
	v_dot4c_i32_i8 v5, v149, v161
	s_waitcnt lgkmcnt(0)
	v_pk_mul_f16 v9, v144, v2
	v_dot4c_i32_i8 v5, v150, v165
	v_dot4c_i32_i8 v5, v151, v162
	;; [unrolled: 1-line block ×7, first 2 shown]
	v_cvt_f32_i32_e32 v5, v5
	v_fma_mix_f32 v5, v5, v9, v9 op_sel:[0,0,1] op_sel_hi:[0,1,1]
	v_pk_mul_f16 v9, v139, v2
	v_add_f32_e32 v38, v38, v5
	v_mov_b32_e32 v5, 0
	v_dot4c_i32_i8 v5, v140, v161
	v_dot4c_i32_i8 v5, v141, v165
	;; [unrolled: 1-line block ×8, first 2 shown]
	v_cvt_f32_i32_e32 v5, v5
	v_fma_mix_f32 v5, v5, v9, v9 op_sel:[0,0,1] op_sel_hi:[0,1,1]
	v_pk_mul_f16 v9, v129, v2
	v_pk_mul_f16 v2, v138, v2
	v_add_f32_e32 v37, v37, v5
	v_mov_b32_e32 v5, 0
	v_dot4c_i32_i8 v5, v130, v161
	v_dot4c_i32_i8 v5, v131, v165
	;; [unrolled: 1-line block ×8, first 2 shown]
	v_cvt_f32_i32_e32 v5, v5
	v_fma_mix_f32 v5, v5, v9, v9 op_sel:[0,0,1] op_sel_hi:[0,1,1]
	v_add_f32_e32 v36, v36, v5
	v_mov_b32_e32 v5, 0
	v_dot4c_i32_i8 v5, v159, v161
	v_dot4c_i32_i8 v5, v158, v165
	;; [unrolled: 1-line block ×8, first 2 shown]
	ds_read_b128 v[161:164], v123 offset:7168
	ds_read_b128 v[165:168], v123 offset:7184
	v_add_nc_u32_e32 v123, 32, v123
	v_cvt_f32_i32_e32 v5, v5
	v_fma_mix_f32 v2, v5, v2, v2 op_sel:[0,0,1] op_sel_hi:[0,1,1]
	v_pk_mul_f16 v5, v144, v3
	v_add_f32_e32 v35, v35, v2
	v_mov_b32_e32 v2, 0
	s_waitcnt lgkmcnt(1)
	v_dot4c_i32_i8 v2, v149, v161
	s_waitcnt lgkmcnt(0)
	v_dot4c_i32_i8 v2, v150, v165
	v_dot4c_i32_i8 v2, v151, v162
	;; [unrolled: 1-line block ×7, first 2 shown]
	v_cvt_f32_i32_e32 v2, v2
	v_fma_mix_f32 v2, v2, v5, v5 op_sel:[0,0,1] op_sel_hi:[0,1,1]
	v_pk_mul_f16 v5, v139, v3
	v_add_f32_e32 v34, v34, v2
	v_mov_b32_e32 v2, 0
	v_dot4c_i32_i8 v2, v140, v161
	v_dot4c_i32_i8 v2, v141, v165
	;; [unrolled: 1-line block ×8, first 2 shown]
	v_cvt_f32_i32_e32 v2, v2
	v_fma_mix_f32 v2, v2, v5, v5 op_sel:[0,0,1] op_sel_hi:[0,1,1]
	v_pk_mul_f16 v5, v129, v3
	v_pk_mul_f16 v3, v138, v3
	v_add_f32_e32 v33, v33, v2
	v_mov_b32_e32 v2, 0
	v_dot4c_i32_i8 v2, v130, v161
	v_dot4c_i32_i8 v2, v131, v165
	;; [unrolled: 1-line block ×8, first 2 shown]
	v_cvt_f32_i32_e32 v2, v2
	v_fma_mix_f32 v2, v2, v5, v5 op_sel:[0,0,1] op_sel_hi:[0,1,1]
	v_add_f32_e32 v32, v32, v2
	v_mov_b32_e32 v2, 0
	v_dot4c_i32_i8 v2, v159, v161
	v_dot4c_i32_i8 v2, v158, v165
	;; [unrolled: 1-line block ×8, first 2 shown]
	v_cvt_f32_i32_e32 v2, v2
	v_fma_mix_f32 v2, v2, v3, v3 op_sel:[0,0,1] op_sel_hi:[0,1,1]
	v_add_f32_e32 v31, v31, v2
	s_cbranch_scc1 .LBB160_11
; %bb.12:                               ;   in Loop: Header=BB160_6 Depth=1
	s_barrier
	buffer_gl0_inv
	s_branch .LBB160_5
.LBB160_13:
	v_mov_b32_e32 v2, v49
.LBB160_14:
	s_mov_b32 s0, exec_lo
	v_cmpx_gt_u32_e64 s10, v2
	s_cbranch_execz .LBB160_65
; %bb.15:
	v_add_nc_u32_e32 v0, s6, v0
	v_mul_lo_u32 v5, v2, s14
	v_cmp_gt_u32_e64 s0, s14, v0
	s_and_saveexec_b32 s1, s0
	s_cbranch_execz .LBB160_17
; %bb.16:
	v_add_nc_u32_e32 v2, v0, v5
	v_mov_b32_e32 v3, 0
	v_bfe_u32 v4, v51, 16, 1
	v_cmp_o_f32_e32 vcc_lo, v51, v51
	v_mov_b32_e32 v6, 0x7fc0
	v_lshlrev_b64 v[2:3], 1, v[2:3]
	v_add3_u32 v4, v51, v4, 0x7fff
	v_cndmask_b32_sdwa v4, v6, v4, vcc_lo dst_sel:DWORD dst_unused:UNUSED_PAD src0_sel:DWORD src1_sel:WORD_1
	s_waitcnt lgkmcnt(0)
	v_add_co_u32 v2, vcc_lo, s12, v2
	v_add_co_ci_u32_e64 v3, null, s13, v3, vcc_lo
	global_store_short v[2:3], v4, off
.LBB160_17:
	s_or_b32 exec_lo, exec_lo, s1
	v_add_nc_u32_e32 v2, 32, v0
	v_cmp_gt_u32_e64 s1, s14, v2
	s_and_saveexec_b32 s2, s1
	s_cbranch_execz .LBB160_19
; %bb.18:
	v_add_nc_u32_e32 v3, v2, v5
	v_mov_b32_e32 v4, 0
	v_bfe_u32 v6, v84, 16, 1
	v_cmp_o_f32_e32 vcc_lo, v84, v84
	v_mov_b32_e32 v7, 0x7fc0
	v_lshlrev_b64 v[3:4], 1, v[3:4]
	v_add3_u32 v6, v84, v6, 0x7fff
	v_cndmask_b32_sdwa v6, v7, v6, vcc_lo dst_sel:DWORD dst_unused:UNUSED_PAD src0_sel:DWORD src1_sel:WORD_1
	s_waitcnt lgkmcnt(0)
	v_add_co_u32 v3, vcc_lo, s12, v3
	v_add_co_ci_u32_e64 v4, null, s13, v4, vcc_lo
	global_store_short v[3:4], v6, off
.LBB160_19:
	s_or_b32 exec_lo, exec_lo, s2
	v_add_nc_u32_e32 v3, 64, v0
	;; [unrolled: 19-line block ×3, first 2 shown]
	v_cmp_gt_u32_e64 s3, s14, v4
	s_and_saveexec_b32 s4, s3
	s_cbranch_execz .LBB160_23
; %bb.22:
	v_add_nc_u32_e32 v5, v4, v5
	v_mov_b32_e32 v6, 0
	v_bfe_u32 v7, v82, 16, 1
	v_cmp_o_f32_e32 vcc_lo, v82, v82
	v_mov_b32_e32 v8, 0x7fc0
	v_lshlrev_b64 v[5:6], 1, v[5:6]
	v_add3_u32 v7, v82, v7, 0x7fff
	v_cndmask_b32_sdwa v7, v8, v7, vcc_lo dst_sel:DWORD dst_unused:UNUSED_PAD src0_sel:DWORD src1_sel:WORD_1
	s_waitcnt lgkmcnt(0)
	v_add_co_u32 v5, vcc_lo, s12, v5
	v_add_co_ci_u32_e64 v6, null, s13, v6, vcc_lo
	global_store_short v[5:6], v7, off
.LBB160_23:
	s_or_b32 exec_lo, exec_lo, s4
	v_add3_u32 v5, v1, s7, 8
	v_cmp_gt_u32_e32 vcc_lo, s10, v5
	s_and_b32 exec_lo, exec_lo, vcc_lo
	s_cbranch_execz .LBB160_65
; %bb.24:
	v_mul_lo_u32 v5, v5, s14
	s_and_saveexec_b32 s4, s0
	s_cbranch_execnz .LBB160_66
; %bb.25:
	s_or_b32 exec_lo, exec_lo, s4
	s_and_saveexec_b32 s4, s1
	s_cbranch_execnz .LBB160_67
.LBB160_26:
	s_or_b32 exec_lo, exec_lo, s4
	s_and_saveexec_b32 s4, s2
	s_cbranch_execnz .LBB160_68
.LBB160_27:
	s_or_b32 exec_lo, exec_lo, s4
	s_and_saveexec_b32 s4, s3
	s_cbranch_execz .LBB160_29
.LBB160_28:
	v_add_nc_u32_e32 v5, v5, v4
	v_mov_b32_e32 v6, 0
	v_bfe_u32 v7, v65, 16, 1
	v_cmp_o_f32_e32 vcc_lo, v65, v65
	v_mov_b32_e32 v8, 0x7fc0
	v_lshlrev_b64 v[5:6], 1, v[5:6]
	v_add3_u32 v7, v65, v7, 0x7fff
	v_cndmask_b32_sdwa v7, v8, v7, vcc_lo dst_sel:DWORD dst_unused:UNUSED_PAD src0_sel:DWORD src1_sel:WORD_1
	s_waitcnt lgkmcnt(0)
	v_add_co_u32 v5, vcc_lo, s12, v5
	v_add_co_ci_u32_e64 v6, null, s13, v6, vcc_lo
	global_store_short v[5:6], v7, off
.LBB160_29:
	s_or_b32 exec_lo, exec_lo, s4
	v_add3_u32 v5, v1, s7, 16
	v_cmp_gt_u32_e32 vcc_lo, s10, v5
	s_and_b32 exec_lo, exec_lo, vcc_lo
	s_cbranch_execz .LBB160_65
; %bb.30:
	v_mul_lo_u32 v5, v5, s14
	s_and_saveexec_b32 s4, s0
	s_cbranch_execnz .LBB160_69
; %bb.31:
	s_or_b32 exec_lo, exec_lo, s4
	s_and_saveexec_b32 s4, s1
	s_cbranch_execnz .LBB160_70
.LBB160_32:
	s_or_b32 exec_lo, exec_lo, s4
	s_and_saveexec_b32 s4, s2
	s_cbranch_execnz .LBB160_71
.LBB160_33:
	s_or_b32 exec_lo, exec_lo, s4
	s_and_saveexec_b32 s4, s3
	s_cbranch_execz .LBB160_35
.LBB160_34:
	v_add_nc_u32_e32 v5, v5, v4
	v_mov_b32_e32 v6, 0
	v_bfe_u32 v7, v53, 16, 1
	v_cmp_o_f32_e32 vcc_lo, v53, v53
	v_mov_b32_e32 v8, 0x7fc0
	v_lshlrev_b64 v[5:6], 1, v[5:6]
	v_add3_u32 v7, v53, v7, 0x7fff
	v_cndmask_b32_sdwa v7, v8, v7, vcc_lo dst_sel:DWORD dst_unused:UNUSED_PAD src0_sel:DWORD src1_sel:WORD_1
	s_waitcnt lgkmcnt(0)
	v_add_co_u32 v5, vcc_lo, s12, v5
	v_add_co_ci_u32_e64 v6, null, s13, v6, vcc_lo
	global_store_short v[5:6], v7, off
.LBB160_35:
	s_or_b32 exec_lo, exec_lo, s4
	v_add3_u32 v5, v1, s7, 24
	v_cmp_gt_u32_e32 vcc_lo, s10, v5
	s_and_b32 exec_lo, exec_lo, vcc_lo
	s_cbranch_execz .LBB160_65
; %bb.36:
	v_mul_lo_u32 v5, v5, s14
	s_and_saveexec_b32 s4, s0
	s_cbranch_execnz .LBB160_72
; %bb.37:
	s_or_b32 exec_lo, exec_lo, s4
	s_and_saveexec_b32 s4, s1
	s_cbranch_execnz .LBB160_73
.LBB160_38:
	s_or_b32 exec_lo, exec_lo, s4
	s_and_saveexec_b32 s4, s2
	s_cbranch_execnz .LBB160_74
.LBB160_39:
	s_or_b32 exec_lo, exec_lo, s4
	s_and_saveexec_b32 s4, s3
	s_cbranch_execz .LBB160_41
.LBB160_40:
	v_add_nc_u32_e32 v5, v5, v4
	v_mov_b32_e32 v6, 0
	v_bfe_u32 v7, v47, 16, 1
	v_cmp_o_f32_e32 vcc_lo, v47, v47
	v_mov_b32_e32 v8, 0x7fc0
	v_lshlrev_b64 v[5:6], 1, v[5:6]
	v_add3_u32 v7, v47, v7, 0x7fff
	v_cndmask_b32_sdwa v7, v8, v7, vcc_lo dst_sel:DWORD dst_unused:UNUSED_PAD src0_sel:DWORD src1_sel:WORD_1
	s_waitcnt lgkmcnt(0)
	v_add_co_u32 v5, vcc_lo, s12, v5
	v_add_co_ci_u32_e64 v6, null, s13, v6, vcc_lo
	global_store_short v[5:6], v7, off
.LBB160_41:
	s_or_b32 exec_lo, exec_lo, s4
	v_add3_u32 v5, v1, s7, 32
	v_cmp_gt_u32_e32 vcc_lo, s10, v5
	s_and_b32 exec_lo, exec_lo, vcc_lo
	s_cbranch_execz .LBB160_65
; %bb.42:
	v_mul_lo_u32 v5, v5, s14
	s_and_saveexec_b32 s4, s0
	s_cbranch_execnz .LBB160_75
; %bb.43:
	s_or_b32 exec_lo, exec_lo, s4
	s_and_saveexec_b32 s4, s1
	s_cbranch_execnz .LBB160_76
.LBB160_44:
	s_or_b32 exec_lo, exec_lo, s4
	s_and_saveexec_b32 s4, s2
	s_cbranch_execnz .LBB160_77
.LBB160_45:
	s_or_b32 exec_lo, exec_lo, s4
	s_and_saveexec_b32 s4, s3
	s_cbranch_execz .LBB160_47
.LBB160_46:
	v_add_nc_u32_e32 v5, v5, v4
	v_mov_b32_e32 v6, 0
	v_bfe_u32 v7, v43, 16, 1
	v_cmp_o_f32_e32 vcc_lo, v43, v43
	v_mov_b32_e32 v8, 0x7fc0
	v_lshlrev_b64 v[5:6], 1, v[5:6]
	v_add3_u32 v7, v43, v7, 0x7fff
	v_cndmask_b32_sdwa v7, v8, v7, vcc_lo dst_sel:DWORD dst_unused:UNUSED_PAD src0_sel:DWORD src1_sel:WORD_1
	s_waitcnt lgkmcnt(0)
	v_add_co_u32 v5, vcc_lo, s12, v5
	v_add_co_ci_u32_e64 v6, null, s13, v6, vcc_lo
	global_store_short v[5:6], v7, off
.LBB160_47:
	s_or_b32 exec_lo, exec_lo, s4
	v_add3_u32 v5, v1, s7, 40
	v_cmp_gt_u32_e32 vcc_lo, s10, v5
	s_and_b32 exec_lo, exec_lo, vcc_lo
	s_cbranch_execz .LBB160_65
; %bb.48:
	v_mul_lo_u32 v5, v5, s14
	s_and_saveexec_b32 s4, s0
	s_cbranch_execnz .LBB160_78
; %bb.49:
	s_or_b32 exec_lo, exec_lo, s4
	s_and_saveexec_b32 s4, s1
	s_cbranch_execnz .LBB160_79
.LBB160_50:
	s_or_b32 exec_lo, exec_lo, s4
	s_and_saveexec_b32 s4, s2
	s_cbranch_execnz .LBB160_80
.LBB160_51:
	s_or_b32 exec_lo, exec_lo, s4
	s_and_saveexec_b32 s4, s3
	s_cbranch_execz .LBB160_53
.LBB160_52:
	v_add_nc_u32_e32 v5, v5, v4
	v_mov_b32_e32 v6, 0
	v_bfe_u32 v7, v39, 16, 1
	v_cmp_o_f32_e32 vcc_lo, v39, v39
	v_mov_b32_e32 v8, 0x7fc0
	v_lshlrev_b64 v[5:6], 1, v[5:6]
	v_add3_u32 v7, v39, v7, 0x7fff
	v_cndmask_b32_sdwa v7, v8, v7, vcc_lo dst_sel:DWORD dst_unused:UNUSED_PAD src0_sel:DWORD src1_sel:WORD_1
	s_waitcnt lgkmcnt(0)
	v_add_co_u32 v5, vcc_lo, s12, v5
	v_add_co_ci_u32_e64 v6, null, s13, v6, vcc_lo
	global_store_short v[5:6], v7, off
.LBB160_53:
	s_or_b32 exec_lo, exec_lo, s4
	v_add3_u32 v5, v1, s7, 48
	v_cmp_gt_u32_e32 vcc_lo, s10, v5
	s_and_b32 exec_lo, exec_lo, vcc_lo
	s_cbranch_execz .LBB160_65
; %bb.54:
	v_mul_lo_u32 v5, v5, s14
	s_and_saveexec_b32 s4, s0
	s_cbranch_execnz .LBB160_81
; %bb.55:
	s_or_b32 exec_lo, exec_lo, s4
	s_and_saveexec_b32 s4, s1
	s_cbranch_execnz .LBB160_82
.LBB160_56:
	s_or_b32 exec_lo, exec_lo, s4
	s_and_saveexec_b32 s4, s2
	s_cbranch_execnz .LBB160_83
.LBB160_57:
	s_or_b32 exec_lo, exec_lo, s4
	s_and_saveexec_b32 s4, s3
	s_cbranch_execz .LBB160_59
.LBB160_58:
	v_add_nc_u32_e32 v5, v5, v4
	v_mov_b32_e32 v6, 0
	v_bfe_u32 v7, v35, 16, 1
	v_cmp_o_f32_e32 vcc_lo, v35, v35
	v_mov_b32_e32 v8, 0x7fc0
	v_lshlrev_b64 v[5:6], 1, v[5:6]
	v_add3_u32 v7, v35, v7, 0x7fff
	v_cndmask_b32_sdwa v7, v8, v7, vcc_lo dst_sel:DWORD dst_unused:UNUSED_PAD src0_sel:DWORD src1_sel:WORD_1
	s_waitcnt lgkmcnt(0)
	v_add_co_u32 v5, vcc_lo, s12, v5
	v_add_co_ci_u32_e64 v6, null, s13, v6, vcc_lo
	global_store_short v[5:6], v7, off
.LBB160_59:
	s_or_b32 exec_lo, exec_lo, s4
	v_add3_u32 v1, v1, s7, 56
	v_cmp_gt_u32_e32 vcc_lo, s10, v1
	s_and_b32 exec_lo, exec_lo, vcc_lo
	s_cbranch_execz .LBB160_65
; %bb.60:
	v_mul_lo_u32 v1, v1, s14
	s_and_saveexec_b32 s4, s0
	s_cbranch_execnz .LBB160_84
; %bb.61:
	s_or_b32 exec_lo, exec_lo, s4
	s_and_saveexec_b32 s0, s1
	s_cbranch_execnz .LBB160_85
.LBB160_62:
	s_or_b32 exec_lo, exec_lo, s0
	s_and_saveexec_b32 s0, s2
	s_cbranch_execnz .LBB160_86
.LBB160_63:
	s_or_b32 exec_lo, exec_lo, s0
	s_and_b32 exec_lo, exec_lo, s3
	s_cbranch_execz .LBB160_65
.LBB160_64:
	v_add_nc_u32_e32 v0, v1, v4
	v_mov_b32_e32 v1, 0
	v_bfe_u32 v2, v31, 16, 1
	v_cmp_o_f32_e32 vcc_lo, v31, v31
	v_mov_b32_e32 v3, 0x7fc0
	v_lshlrev_b64 v[0:1], 1, v[0:1]
	v_add3_u32 v2, v31, v2, 0x7fff
	v_cndmask_b32_sdwa v2, v3, v2, vcc_lo dst_sel:DWORD dst_unused:UNUSED_PAD src0_sel:DWORD src1_sel:WORD_1
	s_waitcnt lgkmcnt(0)
	v_add_co_u32 v0, vcc_lo, s12, v0
	v_add_co_ci_u32_e64 v1, null, s13, v1, vcc_lo
	global_store_short v[0:1], v2, off
.LBB160_65:
	s_endpgm
.LBB160_66:
	v_add_nc_u32_e32 v6, v5, v0
	v_mov_b32_e32 v7, 0
	v_bfe_u32 v8, v79, 16, 1
	v_cmp_o_f32_e32 vcc_lo, v79, v79
	v_mov_b32_e32 v9, 0x7fc0
	v_lshlrev_b64 v[6:7], 1, v[6:7]
	v_add3_u32 v8, v79, v8, 0x7fff
	v_cndmask_b32_sdwa v8, v9, v8, vcc_lo dst_sel:DWORD dst_unused:UNUSED_PAD src0_sel:DWORD src1_sel:WORD_1
	s_waitcnt lgkmcnt(0)
	v_add_co_u32 v6, vcc_lo, s12, v6
	v_add_co_ci_u32_e64 v7, null, s13, v7, vcc_lo
	global_store_short v[6:7], v8, off
	s_or_b32 exec_lo, exec_lo, s4
	s_and_saveexec_b32 s4, s1
	s_cbranch_execz .LBB160_26
.LBB160_67:
	v_add_nc_u32_e32 v6, v5, v2
	v_mov_b32_e32 v7, 0
	v_bfe_u32 v8, v73, 16, 1
	v_cmp_o_f32_e32 vcc_lo, v73, v73
	v_mov_b32_e32 v9, 0x7fc0
	v_lshlrev_b64 v[6:7], 1, v[6:7]
	v_add3_u32 v8, v73, v8, 0x7fff
	v_cndmask_b32_sdwa v8, v9, v8, vcc_lo dst_sel:DWORD dst_unused:UNUSED_PAD src0_sel:DWORD src1_sel:WORD_1
	s_waitcnt lgkmcnt(0)
	v_add_co_u32 v6, vcc_lo, s12, v6
	v_add_co_ci_u32_e64 v7, null, s13, v7, vcc_lo
	global_store_short v[6:7], v8, off
	s_or_b32 exec_lo, exec_lo, s4
	s_and_saveexec_b32 s4, s2
	s_cbranch_execz .LBB160_27
.LBB160_68:
	v_add_nc_u32_e32 v6, v5, v3
	v_mov_b32_e32 v7, 0
	v_bfe_u32 v8, v70, 16, 1
	v_cmp_o_f32_e32 vcc_lo, v70, v70
	v_mov_b32_e32 v9, 0x7fc0
	v_lshlrev_b64 v[6:7], 1, v[6:7]
	v_add3_u32 v8, v70, v8, 0x7fff
	v_cndmask_b32_sdwa v8, v9, v8, vcc_lo dst_sel:DWORD dst_unused:UNUSED_PAD src0_sel:DWORD src1_sel:WORD_1
	s_waitcnt lgkmcnt(0)
	v_add_co_u32 v6, vcc_lo, s12, v6
	v_add_co_ci_u32_e64 v7, null, s13, v7, vcc_lo
	global_store_short v[6:7], v8, off
	s_or_b32 exec_lo, exec_lo, s4
	s_and_saveexec_b32 s4, s3
	s_cbranch_execnz .LBB160_28
	s_branch .LBB160_29
.LBB160_69:
	v_add_nc_u32_e32 v6, v5, v0
	v_mov_b32_e32 v7, 0
	v_bfe_u32 v8, v57, 16, 1
	v_cmp_o_f32_e32 vcc_lo, v57, v57
	v_mov_b32_e32 v9, 0x7fc0
	v_lshlrev_b64 v[6:7], 1, v[6:7]
	v_add3_u32 v8, v57, v8, 0x7fff
	v_cndmask_b32_sdwa v8, v9, v8, vcc_lo dst_sel:DWORD dst_unused:UNUSED_PAD src0_sel:DWORD src1_sel:WORD_1
	s_waitcnt lgkmcnt(0)
	v_add_co_u32 v6, vcc_lo, s12, v6
	v_add_co_ci_u32_e64 v7, null, s13, v7, vcc_lo
	global_store_short v[6:7], v8, off
	s_or_b32 exec_lo, exec_lo, s4
	s_and_saveexec_b32 s4, s1
	s_cbranch_execz .LBB160_32
.LBB160_70:
	v_add_nc_u32_e32 v6, v5, v2
	v_mov_b32_e32 v7, 0
	v_bfe_u32 v8, v56, 16, 1
	v_cmp_o_f32_e32 vcc_lo, v56, v56
	v_mov_b32_e32 v9, 0x7fc0
	v_lshlrev_b64 v[6:7], 1, v[6:7]
	v_add3_u32 v8, v56, v8, 0x7fff
	v_cndmask_b32_sdwa v8, v9, v8, vcc_lo dst_sel:DWORD dst_unused:UNUSED_PAD src0_sel:DWORD src1_sel:WORD_1
	s_waitcnt lgkmcnt(0)
	v_add_co_u32 v6, vcc_lo, s12, v6
	v_add_co_ci_u32_e64 v7, null, s13, v7, vcc_lo
	global_store_short v[6:7], v8, off
	s_or_b32 exec_lo, exec_lo, s4
	s_and_saveexec_b32 s4, s2
	s_cbranch_execz .LBB160_33
.LBB160_71:
	v_add_nc_u32_e32 v6, v5, v3
	v_mov_b32_e32 v7, 0
	v_bfe_u32 v8, v54, 16, 1
	v_cmp_o_f32_e32 vcc_lo, v54, v54
	v_mov_b32_e32 v9, 0x7fc0
	v_lshlrev_b64 v[6:7], 1, v[6:7]
	v_add3_u32 v8, v54, v8, 0x7fff
	v_cndmask_b32_sdwa v8, v9, v8, vcc_lo dst_sel:DWORD dst_unused:UNUSED_PAD src0_sel:DWORD src1_sel:WORD_1
	s_waitcnt lgkmcnt(0)
	v_add_co_u32 v6, vcc_lo, s12, v6
	v_add_co_ci_u32_e64 v7, null, s13, v7, vcc_lo
	global_store_short v[6:7], v8, off
	s_or_b32 exec_lo, exec_lo, s4
	s_and_saveexec_b32 s4, s3
	s_cbranch_execnz .LBB160_34
	s_branch .LBB160_35
.LBB160_72:
	v_add_nc_u32_e32 v6, v5, v0
	v_mov_b32_e32 v7, 0
	v_bfe_u32 v8, v52, 16, 1
	v_cmp_o_f32_e32 vcc_lo, v52, v52
	v_mov_b32_e32 v9, 0x7fc0
	v_lshlrev_b64 v[6:7], 1, v[6:7]
	v_add3_u32 v8, v52, v8, 0x7fff
	v_cndmask_b32_sdwa v8, v9, v8, vcc_lo dst_sel:DWORD dst_unused:UNUSED_PAD src0_sel:DWORD src1_sel:WORD_1
	s_waitcnt lgkmcnt(0)
	v_add_co_u32 v6, vcc_lo, s12, v6
	v_add_co_ci_u32_e64 v7, null, s13, v7, vcc_lo
	global_store_short v[6:7], v8, off
	s_or_b32 exec_lo, exec_lo, s4
	s_and_saveexec_b32 s4, s1
	s_cbranch_execz .LBB160_38
.LBB160_73:
	v_add_nc_u32_e32 v6, v5, v2
	v_mov_b32_e32 v7, 0
	v_bfe_u32 v8, v50, 16, 1
	v_cmp_o_f32_e32 vcc_lo, v50, v50
	v_mov_b32_e32 v9, 0x7fc0
	v_lshlrev_b64 v[6:7], 1, v[6:7]
	v_add3_u32 v8, v50, v8, 0x7fff
	v_cndmask_b32_sdwa v8, v9, v8, vcc_lo dst_sel:DWORD dst_unused:UNUSED_PAD src0_sel:DWORD src1_sel:WORD_1
	s_waitcnt lgkmcnt(0)
	v_add_co_u32 v6, vcc_lo, s12, v6
	v_add_co_ci_u32_e64 v7, null, s13, v7, vcc_lo
	global_store_short v[6:7], v8, off
	s_or_b32 exec_lo, exec_lo, s4
	s_and_saveexec_b32 s4, s2
	s_cbranch_execz .LBB160_39
.LBB160_74:
	v_add_nc_u32_e32 v6, v5, v3
	v_mov_b32_e32 v7, 0
	v_bfe_u32 v8, v48, 16, 1
	v_cmp_o_f32_e32 vcc_lo, v48, v48
	v_mov_b32_e32 v9, 0x7fc0
	v_lshlrev_b64 v[6:7], 1, v[6:7]
	v_add3_u32 v8, v48, v8, 0x7fff
	v_cndmask_b32_sdwa v8, v9, v8, vcc_lo dst_sel:DWORD dst_unused:UNUSED_PAD src0_sel:DWORD src1_sel:WORD_1
	s_waitcnt lgkmcnt(0)
	v_add_co_u32 v6, vcc_lo, s12, v6
	v_add_co_ci_u32_e64 v7, null, s13, v7, vcc_lo
	global_store_short v[6:7], v8, off
	s_or_b32 exec_lo, exec_lo, s4
	s_and_saveexec_b32 s4, s3
	s_cbranch_execnz .LBB160_40
	s_branch .LBB160_41
.LBB160_75:
	v_add_nc_u32_e32 v6, v5, v0
	v_mov_b32_e32 v7, 0
	v_bfe_u32 v8, v46, 16, 1
	v_cmp_o_f32_e32 vcc_lo, v46, v46
	v_mov_b32_e32 v9, 0x7fc0
	v_lshlrev_b64 v[6:7], 1, v[6:7]
	v_add3_u32 v8, v46, v8, 0x7fff
	v_cndmask_b32_sdwa v8, v9, v8, vcc_lo dst_sel:DWORD dst_unused:UNUSED_PAD src0_sel:DWORD src1_sel:WORD_1
	s_waitcnt lgkmcnt(0)
	v_add_co_u32 v6, vcc_lo, s12, v6
	v_add_co_ci_u32_e64 v7, null, s13, v7, vcc_lo
	global_store_short v[6:7], v8, off
	s_or_b32 exec_lo, exec_lo, s4
	s_and_saveexec_b32 s4, s1
	s_cbranch_execz .LBB160_44
.LBB160_76:
	v_add_nc_u32_e32 v6, v5, v2
	v_mov_b32_e32 v7, 0
	v_bfe_u32 v8, v45, 16, 1
	v_cmp_o_f32_e32 vcc_lo, v45, v45
	v_mov_b32_e32 v9, 0x7fc0
	v_lshlrev_b64 v[6:7], 1, v[6:7]
	v_add3_u32 v8, v45, v8, 0x7fff
	v_cndmask_b32_sdwa v8, v9, v8, vcc_lo dst_sel:DWORD dst_unused:UNUSED_PAD src0_sel:DWORD src1_sel:WORD_1
	s_waitcnt lgkmcnt(0)
	v_add_co_u32 v6, vcc_lo, s12, v6
	v_add_co_ci_u32_e64 v7, null, s13, v7, vcc_lo
	global_store_short v[6:7], v8, off
	s_or_b32 exec_lo, exec_lo, s4
	s_and_saveexec_b32 s4, s2
	s_cbranch_execz .LBB160_45
.LBB160_77:
	v_add_nc_u32_e32 v6, v5, v3
	v_mov_b32_e32 v7, 0
	v_bfe_u32 v8, v44, 16, 1
	v_cmp_o_f32_e32 vcc_lo, v44, v44
	v_mov_b32_e32 v9, 0x7fc0
	v_lshlrev_b64 v[6:7], 1, v[6:7]
	v_add3_u32 v8, v44, v8, 0x7fff
	v_cndmask_b32_sdwa v8, v9, v8, vcc_lo dst_sel:DWORD dst_unused:UNUSED_PAD src0_sel:DWORD src1_sel:WORD_1
	s_waitcnt lgkmcnt(0)
	v_add_co_u32 v6, vcc_lo, s12, v6
	v_add_co_ci_u32_e64 v7, null, s13, v7, vcc_lo
	global_store_short v[6:7], v8, off
	s_or_b32 exec_lo, exec_lo, s4
	s_and_saveexec_b32 s4, s3
	s_cbranch_execnz .LBB160_46
	s_branch .LBB160_47
.LBB160_78:
	v_add_nc_u32_e32 v6, v5, v0
	v_mov_b32_e32 v7, 0
	v_bfe_u32 v8, v42, 16, 1
	v_cmp_o_f32_e32 vcc_lo, v42, v42
	v_mov_b32_e32 v9, 0x7fc0
	v_lshlrev_b64 v[6:7], 1, v[6:7]
	v_add3_u32 v8, v42, v8, 0x7fff
	v_cndmask_b32_sdwa v8, v9, v8, vcc_lo dst_sel:DWORD dst_unused:UNUSED_PAD src0_sel:DWORD src1_sel:WORD_1
	s_waitcnt lgkmcnt(0)
	v_add_co_u32 v6, vcc_lo, s12, v6
	v_add_co_ci_u32_e64 v7, null, s13, v7, vcc_lo
	global_store_short v[6:7], v8, off
	s_or_b32 exec_lo, exec_lo, s4
	s_and_saveexec_b32 s4, s1
	s_cbranch_execz .LBB160_50
.LBB160_79:
	v_add_nc_u32_e32 v6, v5, v2
	v_mov_b32_e32 v7, 0
	v_bfe_u32 v8, v41, 16, 1
	v_cmp_o_f32_e32 vcc_lo, v41, v41
	v_mov_b32_e32 v9, 0x7fc0
	v_lshlrev_b64 v[6:7], 1, v[6:7]
	v_add3_u32 v8, v41, v8, 0x7fff
	v_cndmask_b32_sdwa v8, v9, v8, vcc_lo dst_sel:DWORD dst_unused:UNUSED_PAD src0_sel:DWORD src1_sel:WORD_1
	s_waitcnt lgkmcnt(0)
	v_add_co_u32 v6, vcc_lo, s12, v6
	v_add_co_ci_u32_e64 v7, null, s13, v7, vcc_lo
	global_store_short v[6:7], v8, off
	s_or_b32 exec_lo, exec_lo, s4
	s_and_saveexec_b32 s4, s2
	s_cbranch_execz .LBB160_51
.LBB160_80:
	v_add_nc_u32_e32 v6, v5, v3
	v_mov_b32_e32 v7, 0
	v_bfe_u32 v8, v40, 16, 1
	v_cmp_o_f32_e32 vcc_lo, v40, v40
	v_mov_b32_e32 v9, 0x7fc0
	v_lshlrev_b64 v[6:7], 1, v[6:7]
	v_add3_u32 v8, v40, v8, 0x7fff
	v_cndmask_b32_sdwa v8, v9, v8, vcc_lo dst_sel:DWORD dst_unused:UNUSED_PAD src0_sel:DWORD src1_sel:WORD_1
	s_waitcnt lgkmcnt(0)
	v_add_co_u32 v6, vcc_lo, s12, v6
	v_add_co_ci_u32_e64 v7, null, s13, v7, vcc_lo
	global_store_short v[6:7], v8, off
	s_or_b32 exec_lo, exec_lo, s4
	s_and_saveexec_b32 s4, s3
	s_cbranch_execnz .LBB160_52
	s_branch .LBB160_53
.LBB160_81:
	v_add_nc_u32_e32 v6, v5, v0
	v_mov_b32_e32 v7, 0
	v_bfe_u32 v8, v38, 16, 1
	v_cmp_o_f32_e32 vcc_lo, v38, v38
	v_mov_b32_e32 v9, 0x7fc0
	v_lshlrev_b64 v[6:7], 1, v[6:7]
	v_add3_u32 v8, v38, v8, 0x7fff
	v_cndmask_b32_sdwa v8, v9, v8, vcc_lo dst_sel:DWORD dst_unused:UNUSED_PAD src0_sel:DWORD src1_sel:WORD_1
	s_waitcnt lgkmcnt(0)
	v_add_co_u32 v6, vcc_lo, s12, v6
	v_add_co_ci_u32_e64 v7, null, s13, v7, vcc_lo
	global_store_short v[6:7], v8, off
	s_or_b32 exec_lo, exec_lo, s4
	s_and_saveexec_b32 s4, s1
	s_cbranch_execz .LBB160_56
.LBB160_82:
	v_add_nc_u32_e32 v6, v5, v2
	v_mov_b32_e32 v7, 0
	v_bfe_u32 v8, v37, 16, 1
	v_cmp_o_f32_e32 vcc_lo, v37, v37
	v_mov_b32_e32 v9, 0x7fc0
	v_lshlrev_b64 v[6:7], 1, v[6:7]
	v_add3_u32 v8, v37, v8, 0x7fff
	v_cndmask_b32_sdwa v8, v9, v8, vcc_lo dst_sel:DWORD dst_unused:UNUSED_PAD src0_sel:DWORD src1_sel:WORD_1
	s_waitcnt lgkmcnt(0)
	v_add_co_u32 v6, vcc_lo, s12, v6
	v_add_co_ci_u32_e64 v7, null, s13, v7, vcc_lo
	global_store_short v[6:7], v8, off
	s_or_b32 exec_lo, exec_lo, s4
	s_and_saveexec_b32 s4, s2
	s_cbranch_execz .LBB160_57
.LBB160_83:
	v_add_nc_u32_e32 v6, v5, v3
	v_mov_b32_e32 v7, 0
	v_bfe_u32 v8, v36, 16, 1
	v_cmp_o_f32_e32 vcc_lo, v36, v36
	v_mov_b32_e32 v9, 0x7fc0
	v_lshlrev_b64 v[6:7], 1, v[6:7]
	v_add3_u32 v8, v36, v8, 0x7fff
	v_cndmask_b32_sdwa v8, v9, v8, vcc_lo dst_sel:DWORD dst_unused:UNUSED_PAD src0_sel:DWORD src1_sel:WORD_1
	s_waitcnt lgkmcnt(0)
	v_add_co_u32 v6, vcc_lo, s12, v6
	v_add_co_ci_u32_e64 v7, null, s13, v7, vcc_lo
	global_store_short v[6:7], v8, off
	s_or_b32 exec_lo, exec_lo, s4
	s_and_saveexec_b32 s4, s3
	s_cbranch_execnz .LBB160_58
	s_branch .LBB160_59
.LBB160_84:
	v_add_nc_u32_e32 v5, v1, v0
	v_mov_b32_e32 v6, 0
	v_bfe_u32 v7, v34, 16, 1
	v_cmp_o_f32_e32 vcc_lo, v34, v34
	v_mov_b32_e32 v0, 0x7fc0
	v_lshlrev_b64 v[5:6], 1, v[5:6]
	v_add3_u32 v7, v34, v7, 0x7fff
	v_cndmask_b32_sdwa v0, v0, v7, vcc_lo dst_sel:DWORD dst_unused:UNUSED_PAD src0_sel:DWORD src1_sel:WORD_1
	s_waitcnt lgkmcnt(0)
	v_add_co_u32 v5, vcc_lo, s12, v5
	v_add_co_ci_u32_e64 v6, null, s13, v6, vcc_lo
	global_store_short v[5:6], v0, off
	s_or_b32 exec_lo, exec_lo, s4
	s_and_saveexec_b32 s0, s1
	s_cbranch_execz .LBB160_62
.LBB160_85:
	v_add_nc_u32_e32 v5, v1, v2
	v_mov_b32_e32 v6, 0
	v_bfe_u32 v0, v33, 16, 1
	v_cmp_o_f32_e32 vcc_lo, v33, v33
	v_mov_b32_e32 v2, 0x7fc0
	v_lshlrev_b64 v[5:6], 1, v[5:6]
	v_add3_u32 v0, v33, v0, 0x7fff
	v_cndmask_b32_sdwa v0, v2, v0, vcc_lo dst_sel:DWORD dst_unused:UNUSED_PAD src0_sel:DWORD src1_sel:WORD_1
	s_waitcnt lgkmcnt(0)
	v_add_co_u32 v5, vcc_lo, s12, v5
	v_add_co_ci_u32_e64 v6, null, s13, v6, vcc_lo
	global_store_short v[5:6], v0, off
	s_or_b32 exec_lo, exec_lo, s0
	s_and_saveexec_b32 s0, s2
	s_cbranch_execz .LBB160_63
.LBB160_86:
	v_add_nc_u32_e32 v2, v1, v3
	v_mov_b32_e32 v3, 0
	v_bfe_u32 v0, v32, 16, 1
	v_cmp_o_f32_e32 vcc_lo, v32, v32
	v_mov_b32_e32 v5, 0x7fc0
	v_lshlrev_b64 v[2:3], 1, v[2:3]
	v_add3_u32 v0, v32, v0, 0x7fff
	v_cndmask_b32_sdwa v0, v5, v0, vcc_lo dst_sel:DWORD dst_unused:UNUSED_PAD src0_sel:DWORD src1_sel:WORD_1
	s_waitcnt lgkmcnt(0)
	v_add_co_u32 v2, vcc_lo, s12, v2
	v_add_co_ci_u32_e64 v3, null, s13, v3, vcc_lo
	global_store_short v[2:3], v0, off
	s_or_b32 exec_lo, exec_lo, s0
	s_and_b32 exec_lo, exec_lo, s3
	s_cbranch_execnz .LBB160_64
	s_branch .LBB160_65
	.section	.rodata,"a",@progbits
	.p2align	6, 0x0
	.amdhsa_kernel _ZL12mul_mat_q4_1IN3c108BFloat16ELb1EEvPKvS3_PT_iiiii
		.amdhsa_group_segment_fixed_size 30336
		.amdhsa_private_segment_fixed_size 0
		.amdhsa_kernarg_size 44
		.amdhsa_user_sgpr_count 6
		.amdhsa_user_sgpr_private_segment_buffer 1
		.amdhsa_user_sgpr_dispatch_ptr 0
		.amdhsa_user_sgpr_queue_ptr 0
		.amdhsa_user_sgpr_kernarg_segment_ptr 1
		.amdhsa_user_sgpr_dispatch_id 0
		.amdhsa_user_sgpr_flat_scratch_init 0
		.amdhsa_user_sgpr_private_segment_size 0
		.amdhsa_wavefront_size32 1
		.amdhsa_uses_dynamic_stack 0
		.amdhsa_system_sgpr_private_segment_wavefront_offset 0
		.amdhsa_system_sgpr_workgroup_id_x 1
		.amdhsa_system_sgpr_workgroup_id_y 1
		.amdhsa_system_sgpr_workgroup_id_z 0
		.amdhsa_system_sgpr_workgroup_info 0
		.amdhsa_system_vgpr_workitem_id 1
		.amdhsa_next_free_vgpr 169
		.amdhsa_next_free_sgpr 15
		.amdhsa_reserve_vcc 1
		.amdhsa_reserve_flat_scratch 0
		.amdhsa_float_round_mode_32 0
		.amdhsa_float_round_mode_16_64 0
		.amdhsa_float_denorm_mode_32 3
		.amdhsa_float_denorm_mode_16_64 3
		.amdhsa_dx10_clamp 1
		.amdhsa_ieee_mode 1
		.amdhsa_fp16_overflow 0
		.amdhsa_workgroup_processor_mode 1
		.amdhsa_memory_ordered 1
		.amdhsa_forward_progress 1
		.amdhsa_shared_vgpr_count 0
		.amdhsa_exception_fp_ieee_invalid_op 0
		.amdhsa_exception_fp_denorm_src 0
		.amdhsa_exception_fp_ieee_div_zero 0
		.amdhsa_exception_fp_ieee_overflow 0
		.amdhsa_exception_fp_ieee_underflow 0
		.amdhsa_exception_fp_ieee_inexact 0
		.amdhsa_exception_int_div_zero 0
	.end_amdhsa_kernel
	.section	.text._ZL12mul_mat_q4_1IN3c108BFloat16ELb1EEvPKvS3_PT_iiiii,"axG",@progbits,_ZL12mul_mat_q4_1IN3c108BFloat16ELb1EEvPKvS3_PT_iiiii,comdat
.Lfunc_end160:
	.size	_ZL12mul_mat_q4_1IN3c108BFloat16ELb1EEvPKvS3_PT_iiiii, .Lfunc_end160-_ZL12mul_mat_q4_1IN3c108BFloat16ELb1EEvPKvS3_PT_iiiii
                                        ; -- End function
	.set _ZL12mul_mat_q4_1IN3c108BFloat16ELb1EEvPKvS3_PT_iiiii.num_vgpr, 169
	.set _ZL12mul_mat_q4_1IN3c108BFloat16ELb1EEvPKvS3_PT_iiiii.num_agpr, 0
	.set _ZL12mul_mat_q4_1IN3c108BFloat16ELb1EEvPKvS3_PT_iiiii.numbered_sgpr, 15
	.set _ZL12mul_mat_q4_1IN3c108BFloat16ELb1EEvPKvS3_PT_iiiii.num_named_barrier, 0
	.set _ZL12mul_mat_q4_1IN3c108BFloat16ELb1EEvPKvS3_PT_iiiii.private_seg_size, 0
	.set _ZL12mul_mat_q4_1IN3c108BFloat16ELb1EEvPKvS3_PT_iiiii.uses_vcc, 1
	.set _ZL12mul_mat_q4_1IN3c108BFloat16ELb1EEvPKvS3_PT_iiiii.uses_flat_scratch, 0
	.set _ZL12mul_mat_q4_1IN3c108BFloat16ELb1EEvPKvS3_PT_iiiii.has_dyn_sized_stack, 0
	.set _ZL12mul_mat_q4_1IN3c108BFloat16ELb1EEvPKvS3_PT_iiiii.has_recursion, 0
	.set _ZL12mul_mat_q4_1IN3c108BFloat16ELb1EEvPKvS3_PT_iiiii.has_indirect_call, 0
	.section	.AMDGPU.csdata,"",@progbits
; Kernel info:
; codeLenInByte = 12276
; TotalNumSgprs: 17
; NumVgprs: 169
; ScratchSize: 0
; MemoryBound: 0
; FloatMode: 240
; IeeeMode: 1
; LDSByteSize: 30336 bytes/workgroup (compile time only)
; SGPRBlocks: 0
; VGPRBlocks: 21
; NumSGPRsForWavesPerEU: 17
; NumVGPRsForWavesPerEU: 169
; Occupancy: 5
; WaveLimiterHint : 0
; COMPUTE_PGM_RSRC2:SCRATCH_EN: 0
; COMPUTE_PGM_RSRC2:USER_SGPR: 6
; COMPUTE_PGM_RSRC2:TRAP_HANDLER: 0
; COMPUTE_PGM_RSRC2:TGID_X_EN: 1
; COMPUTE_PGM_RSRC2:TGID_Y_EN: 1
; COMPUTE_PGM_RSRC2:TGID_Z_EN: 0
; COMPUTE_PGM_RSRC2:TIDIG_COMP_CNT: 1
	.section	.text._ZL12mul_mat_q5_0IN3c108BFloat16ELb0EEvPKvS3_PT_iiiii,"axG",@progbits,_ZL12mul_mat_q5_0IN3c108BFloat16ELb0EEvPKvS3_PT_iiiii,comdat
	.globl	_ZL12mul_mat_q5_0IN3c108BFloat16ELb0EEvPKvS3_PT_iiiii ; -- Begin function _ZL12mul_mat_q5_0IN3c108BFloat16ELb0EEvPKvS3_PT_iiiii
	.p2align	8
	.type	_ZL12mul_mat_q5_0IN3c108BFloat16ELb0EEvPKvS3_PT_iiiii,@function
_ZL12mul_mat_q5_0IN3c108BFloat16ELb0EEvPKvS3_PT_iiiii: ; @_ZL12mul_mat_q5_0IN3c108BFloat16ELb0EEvPKvS3_PT_iiiii
; %bb.0:
	s_clause 0x1
	s_load_dword s14, s[4:5], 0x18
	s_load_dwordx4 s[8:11], s[4:5], 0x20
	s_lshl_b32 s7, s7, 6
	v_add_nc_u32_e32 v72, s7, v1
	s_waitcnt lgkmcnt(0)
	s_cmp_gt_i32 s14, 31
	s_cbranch_scc1 .LBB161_2
; %bb.1:
	v_add_nc_u32_e32 v2, s7, v1
	s_mov_b32 s0, 0
	s_branch .LBB161_3
.LBB161_2:
	s_mov_b32 s0, -1
                                        ; implicit-def: $vgpr2
.LBB161_3:
	s_load_dwordx2 s[12:13], s[4:5], 0x10
	v_mov_b32_e32 v51, 0
	v_mov_b32_e32 v55, 0
	;; [unrolled: 1-line block ×32, first 2 shown]
	s_andn2_b32 vcc_lo, exec_lo, s0
	s_lshl_b32 s6, s6, 7
	s_cbranch_vccnz .LBB161_14
; %bb.4:
	s_load_dwordx4 s[0:3], s[4:5], 0x0
	s_ashr_i32 s4, s14, 31
	s_ashr_i32 s5, s9, 31
	s_lshr_b32 s4, s4, 27
	s_lshr_b32 s5, s5, 27
	s_add_i32 s11, s14, s4
	s_add_i32 s5, s9, s5
	s_ashr_i32 s4, s11, 5
	v_lshlrev_b32_e32 v5, 3, v0
	s_mul_i32 s9, s4, s6
	s_ashr_i32 s14, s5, 5
	s_mul_i32 s5, s9, 22
	v_add_nc_u32_e32 v6, 8, v72
	v_add_nc_u32_e32 v7, 16, v72
	;; [unrolled: 1-line block ×6, first 2 shown]
	s_mul_hi_i32 s9, s9, 22
	v_mul_lo_u32 v83, s4, v1
	s_waitcnt lgkmcnt(0)
	s_add_u32 s5, s0, s5
	s_addc_u32 s9, s1, s9
	s_add_i32 s1, s8, -1
	v_cvt_f64_u32_e32 v[3:4], v72
	v_add_nc_u32_e32 v17, 56, v72
	v_mad_u32_u24 v91, 0x104, v1, v5
	v_cvt_f64_u32_e32 v[5:6], v6
	v_cvt_f64_u32_e32 v[7:8], v7
	;; [unrolled: 1-line block ×6, first 2 shown]
	v_cvt_f64_i32_e32 v[19:20], s1
	s_lshl_b32 s0, s4, 3
	v_cvt_f64_u32_e32 v[17:18], v17
	v_add_nc_u32_e32 v86, s0, v83
	v_lshrrev_b32_e32 v78, 2, v0
	v_lshrrev_b32_e32 v82, 3, v0
	v_and_b32_e32 v81, 7, v0
	v_and_b32_e32 v2, 3, v0
	v_add_nc_u32_e32 v87, s0, v86
	s_andn2_b32 s11, s11, 31
	v_lshl_add_u32 v21, v1, 2, v82
	v_lshlrev_b32_e32 v22, 2, v81
	v_lshlrev_b32_e32 v89, 2, v2
	v_add_nc_u32_e32 v90, s0, v87
	v_lshlrev_b32_e32 v125, 7, v1
	v_mul_lo_u32 v114, s4, v21
	v_and_b32_e32 v23, 0x7fc, v21
	v_lshlrev_b32_e32 v24, 5, v21
	v_add_nc_u32_e32 v92, s0, v90
	v_add_nc_u32_e32 v25, 32, v21
	;; [unrolled: 1-line block ×4, first 2 shown]
	v_min_f64 v[3:4], v[3:4], v[19:20]
	v_min_f64 v[5:6], v[5:6], v[19:20]
	;; [unrolled: 1-line block ×7, first 2 shown]
	v_add_nc_u32_e32 v93, s0, v92
	v_min_f64 v[17:18], v[17:18], v[19:20]
	v_lshl_add_u32 v20, v1, 3, v78
	v_and_b32_e32 v19, 0xffc, v21
	v_and_b32_e32 v27, 0xffc, v25
	v_add_nc_u32_e32 v96, s0, v93
	v_and_b32_e32 v28, 0xffc, v26
	v_add_nc_u32_e32 v119, s11, v114
	v_add3_u32 v23, v23, v22, 0xa200
	v_add3_u32 v27, v27, v22, 0xa200
	v_add_nc_u32_e32 v101, s0, v96
	v_lshlrev_b32_e32 v25, 5, v25
	v_add_nc_u32_e32 v121, s11, v119
	v_add3_u32 v28, v28, v22, 0xa200
	v_lshlrev_b32_e32 v26, 5, v26
	v_add_nc_u32_e32 v105, s0, v101
	v_cvt_i32_f64_e32 v3, v[3:4]
	v_cvt_i32_f64_e32 v4, v[5:6]
	;; [unrolled: 1-line block ×7, first 2 shown]
	v_add_nc_u32_e32 v110, s0, v105
	v_cvt_i32_f64_e32 v16, v[17:18]
	v_and_b32_e32 v7, 63, v20
	v_add3_u32 v5, v19, v22, 0xa200
	v_and_b32_e32 v15, 31, v0
	v_add_nc_u32_e32 v115, s0, v110
	v_lshlrev_b32_e32 v11, 2, v0
	v_or_b32_e32 v13, s7, v7
	v_lshl_or_b32 v7, v7, 4, v89
	v_lshl_or_b32 v124, v15, 2, 0x8200
	v_add_nc_u32_e32 v116, s0, v115
	v_lshlrev_b32_e32 v15, 5, v0
	v_min_i32_e32 v13, s1, v13
	v_and_b32_e32 v17, 0xfc, v0
	v_and_b32_e32 v11, 28, v11
	v_add_nc_u32_e32 v117, s0, v116
	v_lshlrev_b32_e32 v9, 5, v21
	v_mad_u64_u32 v[18:19], null, v13, s14, v[2:3]
	v_add_nc_u32_e32 v13, 64, v0
	v_mul_lo_u32 v132, s14, v12
	v_mul_lo_u32 v133, s14, v14
	v_add_nc_u32_e32 v12, 0x60, v0
	v_add_nc_u32_e32 v14, 32, v0
	;; [unrolled: 1-line block ×3, first 2 shown]
	v_mul_lo_u32 v134, s14, v16
	v_and_b32_e32 v13, 0x1fc, v13
	v_and_b32_e32 v12, 0x1fc, v12
	;; [unrolled: 1-line block ×3, first 2 shown]
	v_add_nc_u32_e32 v120, s0, v118
	v_add_nc_u32_e32 v126, 0xb280, v7
	v_mul_lo_u32 v127, s14, v3
	v_mul_lo_u32 v128, s14, v4
	v_add_nc_u32_e32 v2, 0x400, v125
	v_mul_lo_u32 v129, s14, v6
	v_add_nc_u32_e32 v3, 0x800, v125
	;; [unrolled: 2-line block ×4, first 2 shown]
	v_add_nc_u32_e32 v7, 0x1400, v125
	v_add_nc_u32_e32 v8, 0x1800, v125
	;; [unrolled: 1-line block ×3, first 2 shown]
	v_lshrrev_b32_e32 v136, 3, v14
	v_add_nc_u32_e32 v12, v15, v12
	v_add_nc_u32_e32 v13, v15, v13
	;; [unrolled: 1-line block ×5, first 2 shown]
	v_add_co_u32 v19, s0, s2, v11
	v_add_co_ci_u32_e64 v20, null, s3, 0, s0
	s_movk_i32 s0, 0x80
	v_mov_b32_e32 v74, 0
	v_add_nc_u32_e32 v94, 0x820, v91
	v_add_nc_u32_e32 v95, 0x1040, v91
	;; [unrolled: 1-line block ×16, first 2 shown]
	v_mul_u32_u24_e32 v135, 0x104, v0
	v_add_nc_u32_e32 v137, 0xae00, v12
	v_add_nc_u32_e32 v138, 0xaa00, v13
	;; [unrolled: 1-line block ×4, first 2 shown]
	v_lshl_add_u32 v141, v1, 4, 0xb280
	v_add_nc_u32_e32 v142, 0x8200, v125
	v_add_nc_u32_e32 v143, 0xae10, v12
	;; [unrolled: 1-line block ×5, first 2 shown]
	v_mad_u32_u24 v147, 0x104, v0, s0
	v_add_nc_u32_e32 v148, v23, v24
	v_add_nc_u32_e32 v149, v27, v25
	;; [unrolled: 1-line block ×11, first 2 shown]
	v_mov_b32_e32 v84, 0
	v_mov_b32_e32 v76, 0
	v_mov_b32_e32 v70, 0
	v_mov_b32_e32 v66, 0
	v_mov_b32_e32 v62, 0
	v_mov_b32_e32 v58, 0
	v_mov_b32_e32 v54, 0
	v_mov_b32_e32 v98, 0
	v_mov_b32_e32 v80, 0
	v_mov_b32_e32 v75, 0
	v_mov_b32_e32 v69, 0
	v_mov_b32_e32 v65, 0
	v_mov_b32_e32 v61, 0
	v_mov_b32_e32 v57, 0
	v_mov_b32_e32 v53, 0
	v_mov_b32_e32 v88, 0
	v_mov_b32_e32 v79, 0
	v_mov_b32_e32 v73, 0
	v_mov_b32_e32 v68, 0
	v_mov_b32_e32 v64, 0
	v_mov_b32_e32 v60, 0
	v_mov_b32_e32 v56, 0
	v_mov_b32_e32 v52, 0
	v_mov_b32_e32 v85, 0
	v_mov_b32_e32 v77, 0
	v_mov_b32_e32 v71, 0
	v_mov_b32_e32 v67, 0
	v_mov_b32_e32 v63, 0
	v_mov_b32_e32 v59, 0
	v_mov_b32_e32 v55, 0
	v_mov_b32_e32 v51, 0
	s_add_i32 s11, s4, 3
	s_mov_b32 s14, 0
	s_branch .LBB161_6
.LBB161_5:                              ;   in Loop: Header=BB161_6 Depth=1
	s_add_i32 s14, s14, 8
	s_add_i32 s11, s11, -8
	s_cmp_ge_i32 s14, s4
	s_cbranch_scc1 .LBB161_13
.LBB161_6:                              ; =>This Loop Header: Depth=1
                                        ;     Child Loop BB161_8 Depth 2
                                        ;     Child Loop BB161_11 Depth 2
	s_mul_i32 s0, s14, 22
	s_mul_hi_u32 s1, s14, 22
	s_add_u32 s0, s5, s0
	s_addc_u32 s1, s9, s1
	s_cmp_gt_u32 s11, 3
	v_mad_u64_u32 v[2:3], null, v78, 22, s[0:1]
	v_mad_u64_u32 v[4:5], null, v83, 22, v[2:3]
	;; [unrolled: 1-line block ×5, first 2 shown]
	v_add_co_u32 v8, vcc_lo, v4, v89
	v_add_co_ci_u32_e64 v9, null, 0, v5, vcc_lo
	v_add_co_u32 v10, vcc_lo, v6, v89
	v_add_co_ci_u32_e64 v11, null, 0, v7, vcc_lo
	;; [unrolled: 2-line block ×4, first 2 shown]
	s_clause 0x7
	global_load_dword v12, v[8:9], off offset:6
	global_load_dword v10, v[10:11], off offset:6
	global_load_dword v8, v[21:22], off offset:6
	global_load_dword v9, v[23:24], off offset:6
	global_load_dword v11, v[15:16], off offset:2
	global_load_dword v13, v[13:14], off offset:2
	global_load_dword v14, v[6:7], off offset:2
	global_load_dword v15, v[4:5], off offset:2
	v_mad_u64_u32 v[16:17], null, v92, 22, v[2:3]
	v_mad_u64_u32 v[21:22], null, v93, 22, v[2:3]
	;; [unrolled: 1-line block ×4, first 2 shown]
	v_add_co_u32 v27, vcc_lo, v16, v89
	v_add_co_ci_u32_e64 v28, null, 0, v17, vcc_lo
	v_add_co_u32 v29, vcc_lo, v21, v89
	v_add_co_ci_u32_e64 v30, null, 0, v22, vcc_lo
	s_clause 0x5
	global_load_dword v5, v[25:26], off offset:2
	global_load_dword v7, v[23:24], off offset:2
	;; [unrolled: 1-line block ×6, first 2 shown]
	v_add_co_u32 v16, vcc_lo, v23, v89
	v_add_co_ci_u32_e64 v17, null, 0, v24, vcc_lo
	v_add_co_u32 v21, vcc_lo, v25, v89
	v_add_co_ci_u32_e64 v22, null, 0, v26, vcc_lo
	s_clause 0x1
	global_load_dword v6, v[16:17], off offset:6
	global_load_dword v4, v[21:22], off offset:6
	v_mad_u64_u32 v[21:22], null, v105, 22, v[2:3]
	v_mad_u64_u32 v[23:24], null, v110, 22, v[2:3]
	;; [unrolled: 1-line block ×8, first 2 shown]
	v_add_co_u32 v2, vcc_lo, v21, v89
	v_add_co_ci_u32_e64 v3, null, 0, v22, vcc_lo
	v_add_co_u32 v16, vcc_lo, v23, v89
	v_add_co_ci_u32_e64 v17, null, 0, v24, vcc_lo
	;; [unrolled: 2-line block ×4, first 2 shown]
	s_clause 0x7
	global_load_dword v47, v[2:3], off offset:6
	global_load_dword v48, v[16:17], off offset:6
	global_load_dword v16, v[37:38], off offset:6
	global_load_dword v2, v[39:40], off offset:6
	global_load_dword v3, v[27:28], off offset:2
	global_load_dword v17, v[25:26], off offset:2
	global_load_dword v23, v[23:24], off offset:2
	global_load_dword v21, v[21:22], off offset:2
	v_add_co_u32 v41, vcc_lo, v29, v89
	v_add_co_ci_u32_e64 v42, null, 0, v30, vcc_lo
	s_waitcnt vmcnt(23)
	v_and_b32_e32 v22, 0xf0f0f0f, v12
	v_lshrrev_b32_e32 v12, 4, v12
	s_waitcnt vmcnt(22)
	v_and_b32_e32 v24, 0xf0f0f0f, v10
	v_lshrrev_b32_e32 v10, 4, v10
	s_waitcnt vmcnt(19)
	v_ashrrev_i32_e32 v11, v89, v11
	s_waitcnt vmcnt(18)
	v_ashrrev_i32_e32 v13, v89, v13
	;; [unrolled: 2-line block ×4, first 2 shown]
	v_and_b32_e32 v25, 0xf0f0f0f, v8
	v_lshrrev_b32_e32 v8, 4, v8
	v_lshlrev_b32_e32 v167, 4, v13
	v_lshlrev_b32_e32 v160, 4, v14
	v_lshrrev_b32_e32 v49, 12, v15
	v_lshrrev_b32_e32 v50, 5, v15
	v_lshlrev_b32_e32 v159, 2, v15
	v_lshlrev_b32_e32 v161, 11, v14
	;; [unrolled: 1-line block ×4, first 2 shown]
	v_lshrrev_b32_e32 v164, 12, v14
	v_lshrrev_b32_e32 v165, 5, v14
	v_lshlrev_b32_e32 v166, 2, v14
	s_waitcnt vmcnt(13)
	v_ashrrev_i32_e32 v38, v89, v43
	s_waitcnt vmcnt(12)
	v_ashrrev_i32_e32 v27, v89, v44
	s_waitcnt vmcnt(11)
	v_and_b32_e32 v28, 0xf0f0f0f, v45
	v_lshrrev_b32_e32 v37, 4, v45
	s_waitcnt vmcnt(10)
	v_and_b32_e32 v39, 0xf0f0f0f, v46
	v_lshrrev_b32_e32 v40, 4, v46
	v_lshlrev_b32_e32 v43, 4, v15
	v_lshlrev_b32_e32 v44, 11, v15
	;; [unrolled: 1-line block ×9, first 2 shown]
	v_lshrrev_b32_e32 v171, 12, v13
	v_lshrrev_b32_e32 v172, 5, v13
	v_lshlrev_b32_e32 v173, 2, v13
	v_lshlrev_b32_e32 v13, 9, v13
	;; [unrolled: 1-line block ×4, first 2 shown]
	v_and_b32_e32 v12, 0xf0f0f0f, v12
	v_and_b32_e32 v43, 16, v43
	;; [unrolled: 1-line block ×19, first 2 shown]
	v_lshrrev_b32_e32 v9, 4, v9
	v_and_b32_e32 v8, 0xf0f0f0f, v8
	v_lshlrev_b32_e32 v176, 18, v11
	v_lshlrev_b32_e32 v177, 25, v11
	v_lshrrev_b32_e32 v178, 12, v11
	v_lshrrev_b32_e32 v179, 5, v11
	v_lshlrev_b32_e32 v180, 2, v11
	v_lshlrev_b32_e32 v11, 9, v11
	v_and_b32_e32 v171, 16, v171
	v_and_b32_e32 v172, 0x1000, v172
	;; [unrolled: 1-line block ×6, first 2 shown]
	v_lshlrev_b32_e32 v181, 4, v27
	v_lshlrev_b32_e32 v182, 11, v27
	v_or3_b32 v43, v43, v22, v44
	v_or3_b32 v22, v22, v45, v46
	;; [unrolled: 1-line block ×3, first 2 shown]
	v_and_b32_e32 v162, 0x100000, v162
	v_and_b32_e32 v163, 0x10000000, v163
	v_or3_b32 v12, v12, v159, v15
	v_or3_b32 v15, v160, v24, v161
	v_and_b32_e32 v169, 0x100000, v169
	v_and_b32_e32 v170, 0x10000000, v170
	v_or3_b32 v45, v164, v10, v165
	v_or3_b32 v10, v10, v166, v14
	;; [unrolled: 1-line block ×3, first 2 shown]
	v_and_b32_e32 v9, 0xf0f0f0f, v9
	v_and_b32_e32 v176, 0x100000, v176
	;; [unrolled: 1-line block ×7, first 2 shown]
	v_or3_b32 v46, v171, v8, v172
	v_or3_b32 v8, v8, v173, v13
	v_or3_b32 v13, v174, v26, v175
	v_lshlrev_b32_e32 v183, 18, v27
	v_lshlrev_b32_e32 v184, 25, v27
	v_and_b32_e32 v181, 16, v181
	v_and_b32_e32 v182, 0x1000, v182
	v_lshrrev_b32_e32 v22, 16, v22
	v_and_b32_e32 v160, 0x1f00, v43
	v_lshlrev_b16 v43, 8, v43
	v_and_b32_e32 v161, 0x1f00, v44
	v_lshlrev_b16 v44, 8, v44
	v_or3_b32 v24, v24, v162, v163
	v_and_b32_e32 v162, 0x1f00, v15
	v_lshlrev_b16 v15, 8, v15
	v_or3_b32 v25, v25, v169, v170
	;; [unrolled: 3-line block ×3, first 2 shown]
	v_or3_b32 v49, v178, v9, v179
	v_or3_b32 v9, v9, v180, v11
	v_and_b32_e32 v166, 0x1f00, v13
	v_lshlrev_b16 v13, 8, v13
	v_and_b32_e32 v183, 0x100000, v183
	v_and_b32_e32 v184, 0x10000000, v184
	v_or3_b32 v11, v181, v28, v182
	v_lshrrev_b32_e32 v12, 16, v12
	v_add_nc_u16 v160, 0xf000, v160
	v_add_nc_u16 v43, 0xf000, v43
	v_and_b32_e32 v171, 0x1f00, v22
	v_lshlrev_b16 v22, 8, v22
	v_add_nc_u16 v44, 0xf000, v44
	v_lshrrev_b32_e32 v24, 16, v24
	v_lshrrev_b32_e32 v10, 16, v10
	v_add_nc_u16 v15, 0xf000, v15
	v_and_b32_e32 v163, 0x1f00, v45
	v_lshlrev_b16 v45, 8, v45
	v_lshrrev_b32_e32 v25, 16, v25
	v_lshrrev_b32_e32 v8, 16, v8
	v_add_nc_u16 v14, 0xf000, v14
	v_and_b32_e32 v165, 0x1f00, v46
	v_lshlrev_b16 v46, 8, v46
	v_lshrrev_b32_e32 v26, 16, v26
	v_lshrrev_b32_e32 v9, 16, v9
	v_add_nc_u16 v13, 0xf000, v13
	v_or3_b32 v28, v28, v183, v184
	v_and_b32_e32 v168, 0x1f00, v11
	v_lshlrev_b16 v11, 8, v11
	v_and_b32_e32 v172, 0x1f00, v12
	v_lshlrev_b16 v12, 8, v12
	v_perm_b32 v43, v43, v160, 0xc0c0105
	v_add_nc_u16 v160, 0xf000, v171
	v_add_nc_u16 v22, 0xf000, v22
	v_or_b32_sdwa v44, v161, v44 dst_sel:DWORD dst_unused:UNUSED_PAD src0_sel:DWORD src1_sel:BYTE_1
	v_and_b32_e32 v173, 0x1f00, v24
	v_lshlrev_b16 v24, 8, v24
	v_and_b32_e32 v174, 0x1f00, v10
	v_lshlrev_b16 v10, 8, v10
	v_or_b32_sdwa v15, v162, v15 dst_sel:DWORD dst_unused:UNUSED_PAD src0_sel:DWORD src1_sel:BYTE_1
	v_add_nc_u16 v163, 0xf000, v163
	v_add_nc_u16 v45, 0xf000, v45
	v_and_b32_e32 v175, 0x1f00, v25
	v_lshlrev_b16 v25, 8, v25
	v_and_b32_e32 v176, 0x1f00, v8
	v_lshlrev_b16 v8, 8, v8
	v_or_b32_sdwa v14, v164, v14 dst_sel:DWORD dst_unused:UNUSED_PAD src0_sel:DWORD src1_sel:BYTE_1
	v_and_b32_e32 v167, 0x1f00, v49
	v_lshlrev_b16 v49, 8, v49
	v_add_nc_u16 v165, 0xf000, v165
	v_add_nc_u16 v46, 0xf000, v46
	v_and_b32_e32 v177, 0x1f00, v26
	v_lshlrev_b16 v26, 8, v26
	v_and_b32_e32 v178, 0x1f00, v9
	v_lshlrev_b16 v9, 8, v9
	v_or_b32_sdwa v13, v166, v13 dst_sel:DWORD dst_unused:UNUSED_PAD src0_sel:DWORD src1_sel:BYTE_1
	v_lshrrev_b32_e32 v28, 16, v28
	v_add_nc_u16 v11, 0xf000, v11
	v_add_nc_u16 v171, 0xf000, v172
	;; [unrolled: 1-line block ×3, first 2 shown]
	v_perm_b32 v22, v22, v160, 0xc0c0105
	v_add_nc_u16 v44, 0xf000, v44
	v_add_nc_u16 v161, 0xf000, v173
	;; [unrolled: 1-line block ×6, first 2 shown]
	v_perm_b32 v45, v45, v163, 0xc0c0105
	v_add_nc_u16 v163, 0xf000, v175
	v_add_nc_u16 v25, 0xf000, v25
	;; [unrolled: 1-line block ×7, first 2 shown]
	v_perm_b32 v46, v46, v165, 0xc0c0105
	v_add_nc_u16 v165, 0xf000, v177
	v_add_nc_u16 v26, 0xf000, v26
	;; [unrolled: 1-line block ×5, first 2 shown]
	v_and_b32_e32 v179, 0x1f00, v28
	v_lshlrev_b16 v28, 8, v28
	v_or_b32_sdwa v11, v168, v11 dst_sel:DWORD dst_unused:UNUSED_PAD src0_sel:DWORD src1_sel:BYTE_1
	v_perm_b32 v12, v12, v171, 0xc0c0105
	v_lshl_or_b32 v22, v22, 16, v43
	v_and_b32_e32 v43, 0xffff, v44
	v_perm_b32 v24, v24, v161, 0xc0c0105
	v_perm_b32 v10, v10, v162, 0xc0c0105
	v_and_b32_e32 v15, 0xffff, v15
	v_lshrrev_b32_e32 v185, 12, v27
	v_lshrrev_b32_e32 v186, 5, v27
	v_lshlrev_b32_e32 v187, 2, v27
	v_lshlrev_b32_e32 v27, 9, v27
	v_perm_b32 v25, v25, v163, 0xc0c0105
	v_perm_b32 v8, v8, v164, 0xc0c0105
	v_and_b32_e32 v14, 0xffff, v14
	v_perm_b32 v49, v49, v167, 0xc0c0105
	v_perm_b32 v26, v26, v165, 0xc0c0105
	v_perm_b32 v9, v9, v166, 0xc0c0105
	v_and_b32_e32 v13, 0xffff, v13
	v_add_nc_u16 v167, 0xf000, v179
	v_add_nc_u16 v28, 0xf000, v28
	;; [unrolled: 1-line block ×3, first 2 shown]
	v_lshl_or_b32 v12, v12, 16, v43
	v_lshl_or_b32 v10, v10, 16, v45
	;; [unrolled: 1-line block ×3, first 2 shown]
	v_and_b32_e32 v37, 0xf0f0f0f, v37
	v_and_b32_e32 v187, 0x100000, v187
	;; [unrolled: 1-line block ×3, first 2 shown]
	v_lshl_or_b32 v8, v8, 16, v46
	v_lshl_or_b32 v14, v25, 16, v14
	;; [unrolled: 1-line block ×4, first 2 shown]
	v_perm_b32 v28, v28, v167, 0xc0c0105
	v_and_b32_e32 v11, 0xffff, v11
	ds_write2_b32 v91, v22, v12 offset1:1
	ds_write2_b32 v94, v15, v10 offset1:1
	;; [unrolled: 1-line block ×4, first 2 shown]
	v_add_co_u32 v8, vcc_lo, v31, v89
	v_and_b32_e32 v185, 16, v185
	v_and_b32_e32 v186, 0x1000, v186
	v_or3_b32 v27, v37, v187, v27
	v_add_co_ci_u32_e64 v9, null, 0, v32, vcc_lo
	v_add_co_u32 v10, vcc_lo, v33, v89
	v_lshl_or_b32 v24, v28, 16, v11
	v_add_co_ci_u32_e64 v11, null, 0, v34, vcc_lo
	v_add_co_u32 v12, vcc_lo, v35, v89
	v_add_co_ci_u32_e64 v13, null, 0, v36, vcc_lo
	v_lshlrev_b32_e32 v188, 4, v38
	v_lshlrev_b32_e32 v189, 11, v38
	v_or3_b32 v50, v185, v37, v186
	v_lshrrev_b32_e32 v27, 16, v27
	s_clause 0x7
	global_load_dword v15, v[41:42], off offset:6
	global_load_dword v22, v[8:9], off offset:6
	;; [unrolled: 1-line block ×8, first 2 shown]
	v_lshlrev_b32_e32 v190, 18, v38
	v_lshlrev_b32_e32 v191, 25, v38
	v_and_b32_e32 v188, 16, v188
	v_and_b32_e32 v189, 0x1000, v189
	;; [unrolled: 1-line block ×3, first 2 shown]
	v_lshlrev_b16 v50, 8, v50
	v_and_b32_e32 v180, 0x1f00, v27
	v_lshlrev_b16 v27, 8, v27
	v_lshrrev_b32_e32 v192, 12, v38
	v_lshrrev_b32_e32 v193, 5, v38
	v_lshlrev_b32_e32 v194, 2, v38
	v_lshlrev_b32_e32 v38, 9, v38
	v_and_b32_e32 v190, 0x100000, v190
	v_and_b32_e32 v191, 0x10000000, v191
	v_or3_b32 v37, v188, v39, v189
	v_add_nc_u16 v169, 0xf000, v169
	v_add_nc_u16 v50, 0xf000, v50
	;; [unrolled: 1-line block ×4, first 2 shown]
	v_and_b32_e32 v40, 0xf0f0f0f, v40
	v_and_b32_e32 v194, 0x100000, v194
	;; [unrolled: 1-line block ×3, first 2 shown]
	v_or3_b32 v39, v39, v190, v191
	v_and_b32_e32 v170, 0x1f00, v37
	v_lshlrev_b16 v37, 8, v37
	v_perm_b32 v50, v50, v169, 0xc0c0105
	v_perm_b32 v27, v27, v168, 0xc0c0105
	v_and_b32_e32 v192, 16, v192
	v_and_b32_e32 v193, 0x1000, v193
	v_lshrrev_b32_e32 v39, 16, v39
	v_add_nc_u16 v37, 0xf000, v37
	v_lshl_or_b32 v27, v27, 16, v50
	v_or3_b32 v14, v40, v194, v38
	v_ashrrev_i32_e32 v7, v89, v7
	v_or3_b32 v159, v192, v40, v193
	v_and_b32_e32 v181, 0x1f00, v39
	v_lshlrev_b16 v39, 8, v39
	v_or_b32_sdwa v37, v170, v37 dst_sel:DWORD dst_unused:UNUSED_PAD src0_sel:DWORD src1_sel:BYTE_1
	ds_write2_b32 v99, v24, v27 offset1:1
	v_lshrrev_b32_e32 v12, 16, v14
	v_lshlrev_b32_e32 v27, 4, v7
	v_lshlrev_b32_e32 v30, 18, v7
	;; [unrolled: 1-line block ×4, first 2 shown]
	v_add_nc_u16 v169, 0xf000, v181
	v_add_nc_u16 v39, 0xf000, v39
	;; [unrolled: 1-line block ×3, first 2 shown]
	v_and_b32_e32 v10, 0x1f00, v159
	v_lshlrev_b16 v14, 8, v159
	v_and_b32_e32 v24, 0x1f00, v12
	v_lshlrev_b16 v12, 8, v12
	s_waitcnt vmcnt(17)
	v_and_b32_e32 v33, 0xf0f0f0f, v6
	v_and_b32_e32 v27, 16, v27
	;; [unrolled: 1-line block ×5, first 2 shown]
	v_perm_b32 v11, v39, v169, 0xc0c0105
	v_and_b32_e32 v13, 0xffff, v37
	v_add_nc_u16 v10, 0xf000, v10
	v_add_nc_u16 v14, 0xf000, v14
	;; [unrolled: 1-line block ×4, first 2 shown]
	v_or3_b32 v30, v33, v30, v31
	v_or3_b32 v27, v27, v33, v32
	v_lshl_or_b32 v11, v11, 16, v13
	v_perm_b32 v10, v14, v10, 0xc0c0105
	v_perm_b32 v12, v12, v24, 0xc0c0105
	v_lshrrev_b32_e32 v13, 16, v30
	v_and_b32_e32 v14, 0x1f00, v27
	v_lshlrev_b16 v24, 8, v27
	v_lshrrev_b32_e32 v6, 4, v6
	v_lshrrev_b32_e32 v27, 12, v7
	;; [unrolled: 1-line block ×3, first 2 shown]
	v_lshlrev_b32_e32 v31, 2, v7
	v_lshlrev_b32_e32 v7, 9, v7
	v_and_b32_e32 v6, 0xf0f0f0f, v6
	v_and_b32_e32 v27, 16, v27
	;; [unrolled: 1-line block ×5, first 2 shown]
	v_add_nc_u16 v14, 0xf000, v14
	v_add_nc_u16 v24, 0xf000, v24
	v_or3_b32 v27, v27, v6, v30
	v_lshl_or_b32 v10, v12, 16, v10
	v_or3_b32 v6, v6, v31, v7
	v_and_b32_e32 v7, 0x1f00, v13
	v_perm_b32 v12, v24, v14, 0xc0c0105
	v_lshlrev_b16 v14, 8, v27
	v_lshlrev_b16 v13, 8, v13
	v_lshrrev_b32_e32 v6, 16, v6
	v_and_b32_e32 v24, 0x1f00, v27
	v_add_nc_u16 v7, 0xf000, v7
	v_add_nc_u16 v14, 0xf000, v14
	v_add_nc_u16 v13, 0xf000, v13
	v_and_b32_e32 v27, 0x1f00, v6
	v_ashrrev_i32_e32 v5, v89, v5
	v_lshlrev_b16 v6, 8, v6
	v_or_b32_sdwa v14, v24, v14 dst_sel:DWORD dst_unused:UNUSED_PAD src0_sel:DWORD src1_sel:BYTE_1
	v_perm_b32 v7, v13, v7, 0xc0c0105
	v_add_nc_u16 v13, 0xf000, v27
	v_lshlrev_b32_e32 v24, 4, v5
	v_add_nc_u16 v6, 0xf000, v6
	v_add_nc_u16 v14, 0xf000, v14
	v_lshlrev_b32_e32 v27, 11, v5
	v_lshlrev_b32_e32 v31, 18, v5
	;; [unrolled: 1-line block ×3, first 2 shown]
	s_waitcnt vmcnt(16)
	v_and_b32_e32 v30, 0xf0f0f0f, v4
	v_and_b32_e32 v24, 16, v24
	v_and_b32_e32 v27, 0x1000, v27
	v_perm_b32 v6, v6, v13, 0xc0c0105
	v_and_b32_e32 v13, 0xffff, v14
	v_and_b32_e32 v14, 0x100000, v31
	v_and_b32_e32 v31, 0x10000000, v32
	v_or3_b32 v24, v24, v30, v27
	ds_write2_b32 v100, v11, v10 offset1:1
	v_lshl_or_b32 v7, v7, 16, v12
	v_lshl_or_b32 v6, v6, 16, v13
	v_or3_b32 v10, v30, v14, v31
	v_lshrrev_b32_e32 v4, 4, v4
	v_lshlrev_b32_e32 v12, 2, v5
	v_lshlrev_b32_e32 v13, 9, v5
	v_and_b32_e32 v11, 0x1f00, v24
	v_lshrrev_b32_e32 v10, 16, v10
	v_and_b32_e32 v4, 0xf0f0f0f, v4
	v_and_b32_e32 v12, 0x100000, v12
	;; [unrolled: 1-line block ×3, first 2 shown]
	v_lshlrev_b16 v14, 8, v24
	v_lshrrev_b32_e32 v24, 12, v5
	v_lshrrev_b32_e32 v5, 5, v5
	v_add_nc_u16 v11, 0xf000, v11
	v_and_b32_e32 v27, 0x1f00, v10
	v_or3_b32 v12, v4, v12, v13
	v_lshlrev_b16 v10, 8, v10
	v_and_b32_e32 v13, 16, v24
	v_and_b32_e32 v5, 0x1000, v5
	v_add_nc_u16 v14, 0xf000, v14
	v_add_nc_u16 v24, 0xf000, v27
	;; [unrolled: 1-line block ×3, first 2 shown]
	ds_write2_b32 v102, v7, v6 offset1:1
	v_or3_b32 v4, v13, v4, v5
	v_perm_b32 v6, v14, v11, 0xc0c0105
	s_waitcnt vmcnt(8)
	v_ashrrev_i32_e32 v11, v89, v21
	v_perm_b32 v7, v10, v24, 0xc0c0105
	v_and_b32_e32 v27, 0xf0f0f0f, v47
	v_lshlrev_b16 v10, 8, v4
	v_and_b32_e32 v4, 0x1f00, v4
	v_lshlrev_b32_e32 v13, 4, v11
	v_lshlrev_b32_e32 v14, 18, v11
	;; [unrolled: 1-line block ×4, first 2 shown]
	v_add_nc_u16 v10, 0xf000, v10
	v_and_b32_e32 v13, 16, v13
	v_and_b32_e32 v14, 0x100000, v14
	;; [unrolled: 1-line block ×4, first 2 shown]
	v_lshrrev_b32_e32 v12, 16, v12
	v_or_b32_sdwa v4, v4, v10 dst_sel:DWORD dst_unused:UNUSED_PAD src0_sel:DWORD src1_sel:BYTE_1
	v_lshl_or_b32 v30, v7, 16, v6
	v_or3_b32 v6, v27, v14, v21
	v_or3_b32 v7, v13, v27, v24
	v_lshrrev_b32_e32 v10, 4, v47
	v_lshlrev_b32_e32 v13, 2, v11
	v_lshlrev_b32_e32 v14, 9, v11
	v_lshrrev_b32_e32 v21, 12, v11
	v_lshrrev_b32_e32 v11, 5, v11
	v_and_b32_e32 v5, 0x1f00, v12
	v_lshlrev_b16 v12, 8, v12
	v_and_b32_e32 v10, 0xf0f0f0f, v10
	v_and_b32_e32 v13, 0x100000, v13
	;; [unrolled: 1-line block ×5, first 2 shown]
	v_add_nc_u16 v5, 0xf000, v5
	v_add_nc_u16 v12, 0xf000, v12
	v_or3_b32 v13, v10, v13, v14
	v_lshrrev_b32_e32 v6, 16, v6
	v_or3_b32 v10, v21, v10, v11
	v_ashrrev_i32_e32 v21, v89, v23
	v_perm_b32 v5, v12, v5, 0xc0c0105
	v_and_b32_e32 v12, 0x1f00, v7
	v_lshlrev_b16 v7, 8, v7
	v_lshrrev_b32_e32 v11, 16, v13
	v_lshlrev_b16 v13, 8, v10
	v_and_b32_e32 v14, 0x1f00, v6
	v_add_nc_u16 v12, 0xf000, v12
	v_add_nc_u16 v7, 0xf000, v7
	v_and_b32_e32 v10, 0x1f00, v10
	v_add_nc_u16 v13, 0xf000, v13
	v_lshlrev_b16 v6, 8, v6
	v_lshlrev_b32_e32 v27, 18, v21
	v_perm_b32 v7, v7, v12, 0xc0c0105
	v_add_nc_u16 v12, 0xf000, v14
	v_and_b32_e32 v14, 0x1f00, v11
	v_lshlrev_b16 v11, 8, v11
	v_or_b32_sdwa v10, v10, v13 dst_sel:DWORD dst_unused:UNUSED_PAD src0_sel:DWORD src1_sel:BYTE_1
	v_lshlrev_b32_e32 v31, 25, v21
	v_add_nc_u16 v4, 0xf000, v4
	v_add_nc_u16 v14, 0xf000, v14
	v_lshlrev_b32_e32 v23, 4, v21
	v_lshlrev_b32_e32 v13, 11, v21
	v_add_nc_u16 v11, 0xf000, v11
	v_add_nc_u16 v10, 0xf000, v10
	v_add_nc_u16 v6, 0xf000, v6
	v_and_b32_e32 v24, 0xf0f0f0f, v48
	v_and_b32_e32 v27, 0x100000, v27
	;; [unrolled: 1-line block ×6, first 2 shown]
	v_perm_b32 v11, v11, v14, 0xc0c0105
	v_and_b32_e32 v10, 0xffff, v10
	v_perm_b32 v6, v6, v12, 0xc0c0105
	v_or3_b32 v12, v24, v27, v31
	v_or3_b32 v13, v23, v24, v13
	v_lshl_or_b32 v23, v5, 16, v4
	v_lshl_or_b32 v27, v11, 16, v10
	v_lshrrev_b32_e32 v4, 4, v48
	v_lshlrev_b32_e32 v5, 2, v21
	v_lshlrev_b32_e32 v10, 9, v21
	v_lshl_or_b32 v24, v6, 16, v7
	v_lshrrev_b32_e32 v6, 16, v12
	v_lshrrev_b32_e32 v11, 12, v21
	;; [unrolled: 1-line block ×3, first 2 shown]
	v_and_b32_e32 v14, 0x1f00, v13
	v_lshlrev_b16 v7, 8, v13
	v_and_b32_e32 v13, 0xf0f0f0f, v4
	v_and_b32_e32 v21, 0x100000, v5
	v_and_b32_e32 v10, 0x10000000, v10
	v_mad_u64_u32 v[4:5], null, v81, 22, s[0:1]
	v_and_b32_e32 v11, 16, v11
	v_and_b32_e32 v12, 0x1000, v12
	v_or3_b32 v10, v13, v21, v10
	v_add_nc_u16 v21, 0xf000, v7
	v_and_b32_e32 v31, 0x1f00, v6
	v_lshlrev_b16 v32, 8, v6
	v_or3_b32 v33, v11, v13, v12
	v_mad_u64_u32 v[6:7], null, v114, 22, v[4:5]
	v_mad_u64_u32 v[12:13], null, v121, 22, v[4:5]
	v_lshrrev_b32_e32 v34, 16, v10
	v_mad_u64_u32 v[10:11], null, v119, 22, v[4:5]
	v_mad_u64_u32 v[4:5], null, v123, 22, v[4:5]
	s_clause 0x3
	global_load_ushort v6, v[6:7], off
	global_load_ushort v7, v[10:11], off
	;; [unrolled: 1-line block ×4, first 2 shown]
	v_lshlrev_b16 v35, 8, v33
	v_and_b32_e32 v33, 0x1f00, v33
	v_add_nc_u16 v14, 0xf000, v14
	v_and_b32_e32 v36, 0x1f00, v34
	v_add_nc_u16 v5, 0xf000, v31
	v_add_nc_u16 v10, 0xf000, v35
	v_lshlrev_b16 v12, 8, v34
	v_add_nc_u16 v13, 0xf000, v32
	v_ashrrev_i32_e32 v17, v89, v17
	v_add_nc_u16 v31, 0xf000, v36
	v_or_b32_sdwa v10, v33, v10 dst_sel:DWORD dst_unused:UNUSED_PAD src0_sel:DWORD src1_sel:BYTE_1
	v_add_nc_u16 v12, 0xf000, v12
	v_perm_b32 v14, v21, v14, 0xc0c0105
	v_perm_b32 v5, v13, v5, 0xc0c0105
	v_lshlrev_b32_e32 v13, 4, v17
	v_add_nc_u16 v10, 0xf000, v10
	v_lshlrev_b32_e32 v21, 11, v17
	v_perm_b32 v12, v12, v31, 0xc0c0105
	v_and_b32_e32 v31, 0xf0f0f0f, v16
	v_and_b32_e32 v13, 16, v13
	;; [unrolled: 1-line block ×3, first 2 shown]
	v_lshlrev_b32_e32 v32, 18, v17
	v_lshlrev_b32_e32 v33, 25, v17
	v_and_b32_e32 v21, 0x1000, v21
	v_lshl_or_b32 v5, v5, 16, v14
	v_lshl_or_b32 v10, v12, 16, v10
	v_and_b32_e32 v12, 0x100000, v32
	v_and_b32_e32 v14, 0x10000000, v33
	v_or3_b32 v13, v13, v31, v21
	ds_write2_b32 v103, v30, v23 offset1:1
	ds_write2_b32 v104, v24, v27 offset1:1
	;; [unrolled: 1-line block ×3, first 2 shown]
	v_lshrrev_b32_e32 v21, 12, v17
	v_ashrrev_i32_e32 v3, v89, v3
	v_or3_b32 v5, v31, v12, v14
	v_and_b32_e32 v10, 0x1f00, v13
	v_lshlrev_b16 v12, 8, v13
	v_lshrrev_b32_e32 v13, 4, v16
	v_lshlrev_b32_e32 v14, 2, v17
	v_lshlrev_b32_e32 v16, 9, v17
	v_lshrrev_b32_e32 v17, 5, v17
	v_and_b32_e32 v21, 16, v21
	v_and_b32_e32 v13, 0xf0f0f0f, v13
	v_and_b32_e32 v14, 0x100000, v14
	v_and_b32_e32 v16, 0x10000000, v16
	v_and_b32_e32 v17, 0x1000, v17
	v_lshrrev_b32_e32 v5, 16, v5
	v_add_nc_u16 v10, 0xf000, v10
	v_add_nc_u16 v12, 0xf000, v12
	v_or3_b32 v14, v13, v14, v16
	v_or3_b32 v13, v21, v13, v17
	v_and_b32_e32 v16, 0x1f00, v5
	v_lshlrev_b16 v5, 8, v5
	v_perm_b32 v10, v12, v10, 0xc0c0105
	v_lshrrev_b32_e32 v14, 16, v14
	v_lshlrev_b16 v12, 8, v13
	v_add_nc_u16 v16, 0xf000, v16
	v_add_nc_u16 v5, 0xf000, v5
	v_and_b32_e32 v13, 0x1f00, v13
	v_and_b32_e32 v17, 0x1f00, v14
	v_add_nc_u16 v12, 0xf000, v12
	v_lshlrev_b32_e32 v21, 25, v3
	v_perm_b32 v5, v5, v16, 0xc0c0105
	v_lshlrev_b32_e32 v23, 11, v3
	v_add_nc_u16 v16, 0xf000, v17
	v_or_b32_sdwa v12, v13, v12 dst_sel:DWORD dst_unused:UNUSED_PAD src0_sel:DWORD src1_sel:BYTE_1
	v_lshlrev_b32_e32 v13, 4, v3
	v_lshlrev_b32_e32 v17, 18, v3
	v_lshlrev_b16 v14, 8, v14
	v_and_b32_e32 v24, 0xf0f0f0f, v2
	v_and_b32_e32 v21, 0x10000000, v21
	;; [unrolled: 1-line block ×5, first 2 shown]
	v_add_nc_u16 v14, 0xf000, v14
	v_lshl_or_b32 v5, v5, 16, v10
	v_lshrrev_b32_e32 v2, 4, v2
	v_or3_b32 v10, v24, v17, v21
	v_or3_b32 v13, v13, v24, v23
	v_lshlrev_b32_e32 v17, 2, v3
	v_lshlrev_b32_e32 v21, 9, v3
	v_lshrrev_b32_e32 v23, 12, v3
	v_lshrrev_b32_e32 v3, 5, v3
	v_perm_b32 v14, v14, v16, 0xc0c0105
	v_and_b32_e32 v16, 0x1f00, v13
	v_and_b32_e32 v2, 0xf0f0f0f, v2
	;; [unrolled: 1-line block ×4, first 2 shown]
	v_lshlrev_b16 v13, 8, v13
	v_and_b32_e32 v23, 16, v23
	v_and_b32_e32 v3, 0x1000, v3
	v_add_nc_u16 v12, 0xf000, v12
	v_lshrrev_b32_e32 v10, 16, v10
	v_add_nc_u16 v16, 0xf000, v16
	v_or3_b32 v17, v2, v17, v21
	v_add_nc_u16 v13, 0xf000, v13
	v_or3_b32 v2, v23, v2, v3
	v_and_b32_e32 v12, 0xffff, v12
	v_and_b32_e32 v21, 0x1f00, v10
	v_lshlrev_b16 v10, 8, v10
	v_perm_b32 v13, v13, v16, 0xc0c0105
	v_lshlrev_b16 v16, 8, v2
	v_lshl_or_b32 v3, v14, 16, v12
	v_lshrrev_b32_e32 v12, 16, v17
	v_add_nc_u16 v14, 0xf000, v21
	v_and_b32_e32 v2, 0x1f00, v2
	v_add_nc_u16 v16, 0xf000, v16
	s_waitcnt vmcnt(4)
	v_ashrrev_i32_e32 v21, v89, v29
	v_and_b32_e32 v17, 0x1f00, v12
	v_lshlrev_b16 v12, 8, v12
	v_add_nc_u16 v10, 0xf000, v10
	v_or_b32_sdwa v2, v2, v16 dst_sel:DWORD dst_unused:UNUSED_PAD src0_sel:DWORD src1_sel:BYTE_1
	v_lshlrev_b32_e32 v16, 4, v21
	v_lshlrev_b32_e32 v23, 11, v21
	;; [unrolled: 1-line block ×4, first 2 shown]
	v_add_nc_u16 v17, 0xf000, v17
	v_add_nc_u16 v12, 0xf000, v12
	v_and_b32_e32 v24, 0xf0f0f0f, v15
	v_and_b32_e32 v16, 16, v16
	v_and_b32_e32 v23, 0x1000, v23
	v_add_nc_u16 v2, 0xf000, v2
	v_and_b32_e32 v27, 0x100000, v27
	v_and_b32_e32 v29, 0x10000000, v29
	v_perm_b32 v10, v10, v14, 0xc0c0105
	v_or3_b32 v14, v16, v24, v23
	v_perm_b32 v12, v12, v17, 0xc0c0105
	v_and_b32_e32 v2, 0xffff, v2
	v_or3_b32 v16, v24, v27, v29
	ds_write2_b32 v107, v5, v3 offset1:1
	v_and_b32_e32 v3, 0x1f00, v14
	v_lshl_or_b32 v5, v10, 16, v13
	v_lshl_or_b32 v2, v12, 16, v2
	v_lshrrev_b32_e32 v10, 16, v16
	v_lshrrev_b32_e32 v12, 4, v15
	v_lshlrev_b16 v13, 8, v14
	v_lshlrev_b32_e32 v14, 2, v21
	v_lshlrev_b32_e32 v15, 9, v21
	v_lshrrev_b32_e32 v16, 12, v21
	v_lshrrev_b32_e32 v17, 5, v21
	v_and_b32_e32 v12, 0xf0f0f0f, v12
	v_and_b32_e32 v14, 0x100000, v14
	;; [unrolled: 1-line block ×5, first 2 shown]
	v_add_nc_u16 v3, 0xf000, v3
	v_and_b32_e32 v21, 0x1f00, v10
	v_lshlrev_b16 v10, 8, v10
	v_or3_b32 v14, v12, v14, v15
	v_add_nc_u16 v13, 0xf000, v13
	v_or3_b32 v12, v16, v12, v17
	v_add_nc_u16 v15, 0xf000, v21
	v_add_nc_u16 v10, 0xf000, v10
	v_lshrrev_b32_e32 v14, 16, v14
	ds_write2_b32 v108, v5, v2 offset1:1
	v_perm_b32 v2, v13, v3, 0xc0c0105
	v_lshlrev_b16 v3, 8, v12
	v_perm_b32 v5, v10, v15, 0xc0c0105
	v_and_b32_e32 v10, 0x1f00, v14
	v_ashrrev_i32_e32 v13, v89, v28
	v_and_b32_e32 v12, 0x1f00, v12
	v_add_nc_u16 v3, 0xf000, v3
	v_lshl_or_b32 v2, v5, 16, v2
	v_add_nc_u16 v5, 0xf000, v10
	v_lshlrev_b32_e32 v10, 4, v13
	v_lshlrev_b16 v14, 8, v14
	v_or_b32_sdwa v3, v12, v3 dst_sel:DWORD dst_unused:UNUSED_PAD src0_sel:DWORD src1_sel:BYTE_1
	v_lshlrev_b32_e32 v12, 11, v13
	v_lshlrev_b32_e32 v16, 18, v13
	;; [unrolled: 1-line block ×3, first 2 shown]
	v_and_b32_e32 v15, 0xf0f0f0f, v22
	v_and_b32_e32 v10, 16, v10
	v_and_b32_e32 v12, 0x1000, v12
	v_add_nc_u16 v14, 0xf000, v14
	v_and_b32_e32 v16, 0x100000, v16
	v_and_b32_e32 v17, 0x10000000, v17
	v_add_nc_u16 v3, 0xf000, v3
	v_or3_b32 v10, v10, v15, v12
	v_perm_b32 v5, v14, v5, 0xc0c0105
	v_lshrrev_b32_e32 v12, 4, v22
	v_or3_b32 v14, v15, v16, v17
	v_lshrrev_b32_e32 v16, 12, v13
	v_lshrrev_b32_e32 v17, 5, v13
	v_lshlrev_b32_e32 v21, 2, v13
	v_and_b32_e32 v12, 0xf0f0f0f, v12
	v_lshlrev_b32_e32 v13, 9, v13
	v_and_b32_e32 v16, 16, v16
	v_and_b32_e32 v17, 0x1000, v17
	;; [unrolled: 1-line block ×4, first 2 shown]
	v_lshlrev_b16 v10, 8, v10
	v_and_b32_e32 v21, 0x100000, v21
	v_and_b32_e32 v13, 0x10000000, v13
	v_or3_b32 v16, v16, v12, v17
	v_add_nc_u16 v15, 0xf000, v15
	v_add_nc_u16 v10, 0xf000, v10
	v_lshrrev_b32_e32 v14, 16, v14
	v_or3_b32 v12, v12, v21, v13
	v_lshl_or_b32 v3, v5, 16, v3
	v_lshlrev_b16 v5, 8, v16
	v_perm_b32 v10, v10, v15, 0xc0c0105
	v_and_b32_e32 v13, 0x1f00, v14
	v_lshrrev_b32_e32 v12, 16, v12
	v_and_b32_e32 v15, 0x1f00, v16
	v_add_nc_u16 v5, 0xf000, v5
	v_lshlrev_b16 v14, 8, v14
	v_add_nc_u16 v13, 0xf000, v13
	v_and_b32_e32 v16, 0x1f00, v12
	v_lshlrev_b16 v12, 8, v12
	v_or_b32_sdwa v5, v15, v5 dst_sel:DWORD dst_unused:UNUSED_PAD src0_sel:DWORD src1_sel:BYTE_1
	v_add_nc_u16 v14, 0xf000, v14
	v_ashrrev_i32_e32 v15, v89, v26
	v_add_nc_u16 v16, 0xf000, v16
	v_add_nc_u16 v12, 0xf000, v12
	;; [unrolled: 1-line block ×3, first 2 shown]
	v_perm_b32 v13, v14, v13, 0xc0c0105
	v_lshlrev_b32_e32 v14, 4, v15
	v_lshlrev_b32_e32 v17, 11, v15
	v_perm_b32 v12, v12, v16, 0xc0c0105
	v_and_b32_e32 v5, 0xffff, v5
	v_and_b32_e32 v16, 0xf0f0f0f, v25
	;; [unrolled: 1-line block ×4, first 2 shown]
	v_lshlrev_b32_e32 v21, 25, v15
	v_lshl_or_b32 v10, v13, 16, v10
	v_lshlrev_b32_e32 v13, 18, v15
	v_lshl_or_b32 v5, v12, 16, v5
	v_or3_b32 v12, v14, v16, v17
	v_lshrrev_b32_e32 v14, 4, v25
	v_and_b32_e32 v17, 0x10000000, v21
	v_lshlrev_b32_e32 v21, 2, v15
	v_lshlrev_b32_e32 v22, 9, v15
	v_and_b32_e32 v13, 0x100000, v13
	v_and_b32_e32 v14, 0xf0f0f0f, v14
	v_lshrrev_b32_e32 v23, 12, v15
	v_lshrrev_b32_e32 v15, 5, v15
	v_and_b32_e32 v21, 0x100000, v21
	v_and_b32_e32 v22, 0x10000000, v22
	v_or3_b32 v13, v16, v13, v17
	v_and_b32_e32 v16, 16, v23
	v_and_b32_e32 v15, 0x1000, v15
	;; [unrolled: 1-line block ×3, first 2 shown]
	v_or3_b32 v21, v14, v21, v22
	v_lshrrev_b32_e32 v13, 16, v13
	v_lshlrev_b16 v12, 8, v12
	v_or3_b32 v14, v16, v14, v15
	v_add_nc_u16 v15, 0xf000, v17
	v_lshrrev_b32_e32 v16, 16, v21
	v_and_b32_e32 v17, 0x1f00, v13
	v_lshlrev_b16 v13, 8, v13
	v_lshlrev_b16 v21, 8, v14
	v_add_nc_u16 v12, 0xf000, v12
	v_and_b32_e32 v22, 0x1f00, v16
	v_lshlrev_b16 v16, 8, v16
	v_and_b32_e32 v14, 0x1f00, v14
	v_add_nc_u16 v21, 0xf000, v21
	v_add_nc_u16 v17, 0xf000, v17
	;; [unrolled: 1-line block ×5, first 2 shown]
	v_ashrrev_i32_e32 v9, v89, v9
	v_or_b32_sdwa v14, v14, v21 dst_sel:DWORD dst_unused:UNUSED_PAD src0_sel:DWORD src1_sel:BYTE_1
	v_perm_b32 v12, v12, v15, 0xc0c0105
	v_perm_b32 v13, v13, v17, 0xc0c0105
	;; [unrolled: 1-line block ×3, first 2 shown]
	v_lshlrev_b32_e32 v16, 4, v9
	v_lshlrev_b32_e32 v17, 11, v9
	v_and_b32_e32 v21, 0xf0f0f0f, v8
	v_lshlrev_b32_e32 v22, 18, v9
	v_lshlrev_b32_e32 v23, 25, v9
	v_lshrrev_b32_e32 v8, 4, v8
	v_lshrrev_b32_e32 v24, 12, v9
	;; [unrolled: 1-line block ×3, first 2 shown]
	v_and_b32_e32 v16, 16, v16
	v_and_b32_e32 v17, 0x1000, v17
	;; [unrolled: 1-line block ×5, first 2 shown]
	v_lshlrev_b32_e32 v26, 2, v9
	v_lshlrev_b32_e32 v9, 9, v9
	v_and_b32_e32 v24, 16, v24
	v_and_b32_e32 v25, 0x1000, v25
	v_or3_b32 v16, v16, v21, v17
	v_and_b32_e32 v17, 0x100000, v26
	v_and_b32_e32 v9, 0x10000000, v9
	v_or3_b32 v21, v21, v22, v23
	v_or3_b32 v22, v24, v8, v25
	v_and_b32_e32 v23, 0x1f00, v16
	v_lshlrev_b16 v16, 8, v16
	v_or3_b32 v8, v8, v17, v9
	v_lshrrev_b32_e32 v9, 16, v21
	v_lshlrev_b16 v17, 8, v22
	v_and_b32_e32 v22, 0x1f00, v22
	v_add_nc_u16 v21, 0xf000, v23
	v_lshrrev_b32_e32 v8, 16, v8
	v_and_b32_e32 v23, 0x1f00, v9
	v_add_nc_u16 v17, 0xf000, v17
	v_lshlrev_b16 v9, 8, v9
	v_add_nc_u16 v16, 0xf000, v16
	v_and_b32_e32 v24, 0x1f00, v8
	v_lshlrev_b16 v8, 8, v8
	v_or_b32_sdwa v17, v22, v17 dst_sel:DWORD dst_unused:UNUSED_PAD src0_sel:DWORD src1_sel:BYTE_1
	v_add_nc_u16 v22, 0xf000, v23
	v_add_nc_u16 v9, 0xf000, v9
	;; [unrolled: 1-line block ×6, first 2 shown]
	v_perm_b32 v16, v16, v21, 0xc0c0105
	v_perm_b32 v9, v9, v22, 0xc0c0105
	;; [unrolled: 1-line block ×3, first 2 shown]
	v_and_b32_e32 v17, 0xffff, v17
	v_and_b32_e32 v14, 0xffff, v14
	ds_write2_b32 v109, v2, v3 offset1:1
	v_lshl_or_b32 v2, v9, 16, v16
	v_lshl_or_b32 v12, v13, 16, v12
	v_lshl_or_b32 v3, v8, 16, v17
	v_lshl_or_b32 v13, v15, 16, v14
	ds_write2_b32 v111, v10, v5 offset1:1
	ds_write2_b32 v112, v12, v13 offset1:1
	s_waitcnt vmcnt(3)
	v_cvt_f32_f16_e32 v5, v6
	ds_write2_b32 v113, v2, v3 offset1:1
	s_waitcnt vmcnt(1)
	v_cvt_f32_f16_e32 v2, v11
	v_cvt_f32_f16_e32 v6, v7
	s_waitcnt vmcnt(0)
	v_cvt_f32_f16_e32 v3, v4
	ds_write_b32 v148, v5
	ds_write_b32 v149, v6
	;; [unrolled: 1-line block ×4, first 2 shown]
	s_cbranch_scc0 .LBB161_5
; %bb.7:                                ;   in Loop: Header=BB161_6 Depth=1
	v_add_nc_u32_e32 v14, s14, v82
	v_add_nc_u32_e32 v159, s14, v18
	;; [unrolled: 1-line block ×3, first 2 shown]
	v_mov_b32_e32 v161, v142
	v_mov_b32_e32 v162, v135
	v_add_nc_u32_e32 v2, v14, v127
	v_add_nc_u32_e32 v4, v14, v128
	;; [unrolled: 1-line block ×5, first 2 shown]
	v_mad_u64_u32 v[12:13], null, v159, 36, s[2:3]
	v_mad_i64_i32 v[2:3], null, v2, 36, v[19:20]
	v_add_nc_u32_e32 v15, v14, v132
	v_mad_i64_i32 v[4:5], null, v4, 36, v[19:20]
	v_add_nc_u32_e32 v16, v14, v133
	;; [unrolled: 2-line block ×3, first 2 shown]
	v_mad_i64_i32 v[8:9], null, v8, 36, v[19:20]
	v_mad_i64_i32 v[10:11], null, v10, 36, v[19:20]
	;; [unrolled: 1-line block ×5, first 2 shown]
	s_clause 0x8
	global_load_dword v12, v[12:13], off
	global_load_dword v2, v[2:3], off offset:4
	global_load_dword v3, v[4:5], off offset:4
	;; [unrolled: 1-line block ×8, first 2 shown]
	v_mov_b32_e32 v163, v141
	v_mov_b32_e32 v164, v140
	;; [unrolled: 1-line block ×5, first 2 shown]
	s_mov_b32 s0, -4
	s_waitcnt vmcnt(8)
	v_cvt_f32_f16_e32 v10, v12
	s_waitcnt vmcnt(7)
	ds_write_b32 v160, v2
	s_waitcnt vmcnt(6)
	ds_write_b32 v152, v3
	;; [unrolled: 2-line block ×8, first 2 shown]
	ds_write_b32 v126, v10
	s_waitcnt lgkmcnt(0)
	s_barrier
	buffer_gl0_inv
.LBB161_8:                              ;   Parent Loop BB161_6 Depth=1
                                        ; =>  This Inner Loop Header: Depth=2
	v_add_nc_u32_e32 v10, 0x2080, v162
	ds_read_b128 v[6:9], v161
	ds_read2_b32 v[21:22], v162 offset1:1
	ds_read_b128 v[2:5], v161 offset:16
	v_mov_b32_e32 v169, 0
	v_mov_b32_e32 v168, 0
	ds_read2_b32 v[23:24], v10 offset1:1
	v_add_nc_u32_e32 v10, 0x4100, v162
	v_mov_b32_e32 v170, 0
	v_mov_b32_e32 v171, 0
	;; [unrolled: 1-line block ×3, first 2 shown]
	ds_read2_b32 v[31:32], v162 offset0:2 offset1:3
	ds_read2_b32 v[25:26], v10 offset1:1
	v_add_nc_u32_e32 v10, 0x6180, v162
	v_mov_b32_e32 v173, 0
	v_mov_b32_e32 v174, 0
	ds_read2_b32 v[41:42], v162 offset0:4 offset1:5
	v_mov_b32_e32 v175, 0
	ds_read2_b32 v[33:34], v10 offset1:1
	v_mov_b32_e32 v176, 0
	v_mov_b32_e32 v198, 0
	;; [unrolled: 1-line block ×3, first 2 shown]
	s_waitcnt lgkmcnt(6)
	v_dot4c_i32_i8 v169, v21, v6
	s_add_i32 s0, s0, 4
	ds_read_b128 v[13:16], v161 offset:2048
	s_cmp_lt_u32 s0, 12
	s_waitcnt lgkmcnt(5)
	v_dot4c_i32_i8 v168, v23, v6
	v_dot4c_i32_i8 v169, v22, v2
	ds_read_b128 v[177:180], v161 offset:3072
	ds_read_b128 v[182:185], v161 offset:4112
	;; [unrolled: 1-line block ×3, first 2 shown]
	v_dot4c_i32_i8 v168, v24, v2
	s_waitcnt lgkmcnt(6)
	v_dot4c_i32_i8 v170, v25, v6
	v_dot4c_i32_i8 v169, v31, v7
	ds_read_b128 v[190:193], v161 offset:6160
	ds_read_b128 v[194:197], v161 offset:7184
	v_dot4c_i32_i8 v170, v26, v2
	s_waitcnt lgkmcnt(6)
	v_dot4c_i32_i8 v171, v33, v6
	v_dot4c_i32_i8 v169, v32, v3
	;; [unrolled: 1-line block ×3, first 2 shown]
	v_add_nc_u32_e32 v2, 0x2088, v162
	v_dot4c_i32_i8 v169, v41, v8
	s_waitcnt lgkmcnt(5)
	v_dot4c_i32_i8 v175, v33, v13
	s_waitcnt lgkmcnt(4)
	v_dot4c_i32_i8 v176, v33, v177
	ds_read2_b32 v[35:36], v2 offset1:1
	v_add_nc_u32_e32 v2, 0x4108, v162
	v_dot4c_i32_i8 v169, v42, v4
	ds_read2_b32 v[39:40], v2 offset1:1
	v_add_nc_u32_e32 v2, 0x6188, v162
	ds_read2_b32 v[43:44], v2 offset1:1
	v_add_nc_u32_e32 v2, 0x2090, v162
	;; [unrolled: 2-line block ×3, first 2 shown]
	s_waitcnt lgkmcnt(3)
	v_dot4c_i32_i8 v168, v35, v7
	ds_read2_b32 v[47:48], v2 offset1:1
	v_add_nc_u32_e32 v2, 0x6190, v162
	s_waitcnt lgkmcnt(3)
	v_dot4c_i32_i8 v170, v39, v7
	v_dot4c_i32_i8 v168, v36, v3
	ds_read2_b32 v[49:50], v2 offset1:1
	v_dot4c_i32_i8 v170, v40, v3
	s_waitcnt lgkmcnt(3)
	v_dot4c_i32_i8 v171, v43, v7
	v_dot4c_i32_i8 v171, v44, v3
	s_waitcnt lgkmcnt(2)
	v_dot4c_i32_i8 v168, v45, v8
	ds_read2_b32 v[2:3], v162 offset0:6 offset1:7
	v_dot4c_i32_i8 v168, v46, v4
	s_waitcnt lgkmcnt(2)
	v_dot4c_i32_i8 v170, v47, v8
	v_dot4c_i32_i8 v170, v48, v4
	s_waitcnt lgkmcnt(1)
	v_dot4c_i32_i8 v171, v49, v8
	v_dot4c_i32_i8 v171, v50, v4
	v_add_nc_u32_e32 v4, 0x2098, v162
	ds_read2_b32 v[27:28], v4 offset1:1
	v_add_nc_u32_e32 v4, 0x4118, v162
	s_waitcnt lgkmcnt(1)
	v_dot4c_i32_i8 v169, v2, v9
	ds_read2_b32 v[29:30], v4 offset1:1
	v_add_nc_u32_e32 v4, 0x6198, v162
	v_dot4c_i32_i8 v169, v3, v5
	v_add_nc_u32_e32 v162, 32, v162
	ds_read2_b32 v[37:38], v4 offset1:1
	v_mov_b32_e32 v4, 0
	s_waitcnt lgkmcnt(2)
	v_dot4c_i32_i8 v168, v27, v9
	v_dot4c_i32_i8 v168, v28, v5
	s_waitcnt lgkmcnt(1)
	v_dot4c_i32_i8 v170, v29, v9
	v_dot4c_i32_i8 v170, v30, v5
	s_waitcnt lgkmcnt(0)
	v_dot4c_i32_i8 v171, v37, v9
	ds_read_b128 v[9:12], v161 offset:1024
	v_dot4c_i32_i8 v171, v38, v5
	s_waitcnt lgkmcnt(0)
	v_dot4c_i32_i8 v4, v21, v9
	v_dot4c_i32_i8 v172, v23, v9
	;; [unrolled: 1-line block ×4, first 2 shown]
	ds_read_b128 v[6:9], v161 offset:1040
	s_waitcnt lgkmcnt(0)
	v_dot4c_i32_i8 v4, v22, v6
	v_dot4c_i32_i8 v172, v24, v6
	v_dot4c_i32_i8 v173, v26, v6
	v_dot4c_i32_i8 v174, v34, v6
	v_mov_b32_e32 v6, 0
	v_dot4c_i32_i8 v4, v31, v10
	v_dot4c_i32_i8 v172, v35, v10
	v_dot4c_i32_i8 v173, v39, v10
	v_dot4c_i32_i8 v174, v43, v10
	v_dot4c_i32_i8 v6, v21, v13
	v_dot4c_i32_i8 v4, v32, v7
	v_dot4c_i32_i8 v172, v36, v7
	v_dot4c_i32_i8 v173, v40, v7
	v_dot4c_i32_i8 v174, v44, v7
	v_mov_b32_e32 v7, 0
	v_dot4c_i32_i8 v4, v41, v11
	v_dot4c_i32_i8 v172, v45, v11
	v_dot4c_i32_i8 v173, v47, v11
	v_dot4c_i32_i8 v174, v49, v11
	v_dot4c_i32_i8 v7, v23, v13
	;; [unrolled: 10-line block ×3, first 2 shown]
	ds_read_b128 v[10:13], v161 offset:2064
	v_dot4c_i32_i8 v4, v3, v9
	v_dot4c_i32_i8 v172, v28, v9
	;; [unrolled: 1-line block ×4, first 2 shown]
	v_cvt_f32_i32_e32 v4, v4
	s_waitcnt lgkmcnt(0)
	v_dot4c_i32_i8 v6, v22, v10
	v_dot4c_i32_i8 v7, v24, v10
	;; [unrolled: 1-line block ×4, first 2 shown]
	v_mov_b32_e32 v10, 0
	v_dot4c_i32_i8 v6, v31, v14
	v_dot4c_i32_i8 v7, v35, v14
	;; [unrolled: 1-line block ×9, first 2 shown]
	v_mov_b32_e32 v11, 0
	v_dot4c_i32_i8 v6, v41, v15
	v_dot4c_i32_i8 v7, v45, v15
	v_dot4c_i32_i8 v8, v47, v15
	v_dot4c_i32_i8 v175, v49, v15
	v_dot4c_i32_i8 v11, v23, v177
	v_dot4c_i32_i8 v6, v42, v12
	v_dot4c_i32_i8 v7, v46, v12
	v_dot4c_i32_i8 v8, v48, v12
	v_dot4c_i32_i8 v175, v50, v12
	v_mov_b32_e32 v12, 0
	v_dot4c_i32_i8 v6, v2, v16
	v_dot4c_i32_i8 v7, v27, v16
	;; [unrolled: 1-line block ×4, first 2 shown]
	ds_read_b128 v[14:17], v161 offset:3088
	v_dot4c_i32_i8 v12, v25, v177
	v_mov_b32_e32 v177, 0
	v_dot4c_i32_i8 v6, v3, v13
	v_dot4c_i32_i8 v7, v28, v13
	;; [unrolled: 1-line block ×4, first 2 shown]
	s_waitcnt lgkmcnt(0)
	v_dot4c_i32_i8 v10, v22, v14
	v_dot4c_i32_i8 v11, v24, v14
	v_dot4c_i32_i8 v12, v26, v14
	v_dot4c_i32_i8 v176, v34, v14
	v_mov_b32_e32 v14, 0
	v_dot4c_i32_i8 v10, v31, v178
	v_dot4c_i32_i8 v11, v35, v178
	v_dot4c_i32_i8 v12, v39, v178
	v_dot4c_i32_i8 v176, v43, v178
	v_dot4c_i32_i8 v10, v32, v15
	v_dot4c_i32_i8 v11, v36, v15
	v_dot4c_i32_i8 v12, v40, v15
	v_dot4c_i32_i8 v176, v44, v15
	v_mov_b32_e32 v15, 0
	v_dot4c_i32_i8 v10, v41, v179
	v_dot4c_i32_i8 v11, v45, v179
	v_dot4c_i32_i8 v12, v47, v179
	v_dot4c_i32_i8 v176, v49, v179
	v_dot4c_i32_i8 v10, v42, v16
	v_dot4c_i32_i8 v11, v46, v16
	v_dot4c_i32_i8 v12, v48, v16
	v_dot4c_i32_i8 v176, v50, v16
	v_mov_b32_e32 v16, 0
	v_dot4c_i32_i8 v10, v2, v180
	v_dot4c_i32_i8 v11, v27, v180
	v_dot4c_i32_i8 v12, v29, v180
	v_dot4c_i32_i8 v176, v37, v180
	ds_read_b128 v[178:181], v161 offset:4096
	v_dot4c_i32_i8 v10, v3, v17
	v_dot4c_i32_i8 v11, v28, v17
	v_dot4c_i32_i8 v12, v30, v17
	v_dot4c_i32_i8 v176, v38, v17
	s_waitcnt lgkmcnt(0)
	v_dot4c_i32_i8 v14, v21, v178
	v_dot4c_i32_i8 v15, v23, v178
	v_dot4c_i32_i8 v16, v25, v178
	v_dot4c_i32_i8 v177, v33, v178
	v_dot4c_i32_i8 v14, v22, v182
	v_dot4c_i32_i8 v15, v24, v182
	v_dot4c_i32_i8 v16, v26, v182
	v_dot4c_i32_i8 v177, v34, v182
	v_mov_b32_e32 v182, 0
	v_dot4c_i32_i8 v14, v31, v179
	v_dot4c_i32_i8 v15, v35, v179
	v_dot4c_i32_i8 v16, v39, v179
	v_dot4c_i32_i8 v177, v43, v179
	v_dot4c_i32_i8 v14, v32, v183
	v_dot4c_i32_i8 v15, v36, v183
	v_dot4c_i32_i8 v16, v40, v183
	v_dot4c_i32_i8 v177, v44, v183
	v_mov_b32_e32 v183, 0
	v_dot4c_i32_i8 v14, v41, v180
	v_dot4c_i32_i8 v15, v45, v180
	v_dot4c_i32_i8 v16, v47, v180
	v_dot4c_i32_i8 v177, v49, v180
	v_dot4c_i32_i8 v14, v42, v184
	v_dot4c_i32_i8 v15, v46, v184
	v_dot4c_i32_i8 v16, v48, v184
	v_dot4c_i32_i8 v177, v50, v184
	v_mov_b32_e32 v184, 0
	v_dot4c_i32_i8 v14, v2, v181
	v_dot4c_i32_i8 v15, v27, v181
	v_dot4c_i32_i8 v16, v29, v181
	v_dot4c_i32_i8 v177, v37, v181
	ds_read_b128 v[178:181], v161 offset:5120
	v_dot4c_i32_i8 v14, v3, v185
	v_dot4c_i32_i8 v15, v28, v185
	v_dot4c_i32_i8 v16, v30, v185
	v_dot4c_i32_i8 v177, v38, v185
	s_waitcnt lgkmcnt(0)
	v_dot4c_i32_i8 v182, v21, v178
	v_dot4c_i32_i8 v183, v23, v178
	v_dot4c_i32_i8 v184, v25, v178
	v_dot4c_i32_i8 v198, v33, v178
	;; [unrolled: 37-line block ×3, first 2 shown]
	v_dot4c_i32_i8 v186, v22, v190
	v_dot4c_i32_i8 v187, v24, v190
	;; [unrolled: 1-line block ×4, first 2 shown]
	v_mov_b32_e32 v190, 0
	v_dot4c_i32_i8 v186, v31, v179
	v_dot4c_i32_i8 v187, v35, v179
	;; [unrolled: 1-line block ×20, first 2 shown]
	ds_read_b128 v[178:181], v161 offset:7168
	v_dot4c_i32_i8 v186, v3, v193
	v_dot4c_i32_i8 v187, v28, v193
	;; [unrolled: 1-line block ×4, first 2 shown]
	v_add_nc_u32_e32 v161, 32, v161
	s_waitcnt lgkmcnt(0)
	v_dot4c_i32_i8 v190, v21, v178
	v_mov_b32_e32 v21, 0
	v_dot4c_i32_i8 v190, v22, v194
	v_mov_b32_e32 v22, 0
	;; [unrolled: 2-line block ×3, first 2 shown]
	v_dot4c_i32_i8 v190, v31, v179
	v_dot4c_i32_i8 v22, v25, v178
	;; [unrolled: 1-line block ×21, first 2 shown]
	ds_read_b32 v5, v164
	ds_read_b32 v9, v165
	;; [unrolled: 1-line block ×4, first 2 shown]
	ds_read2_b32 v[2:3], v163 offset1:32
	v_dot4c_i32_i8 v22, v48, v196
	v_dot4c_i32_i8 v21, v27, v181
	;; [unrolled: 1-line block ×3, first 2 shown]
	v_add_nc_u32_e32 v167, 4, v167
	v_add_nc_u32_e32 v166, 4, v166
	v_dot4c_i32_i8 v22, v29, v181
	v_dot4c_i32_i8 v21, v28, v197
	;; [unrolled: 1-line block ×3, first 2 shown]
	v_add_nc_u32_e32 v165, 4, v165
	v_add_nc_u32_e32 v164, 4, v164
	v_dot4c_i32_i8 v22, v30, v197
	v_dot4c_i32_i8 v23, v38, v197
	s_waitcnt lgkmcnt(0)
	v_mul_f32_e32 v24, v2, v5
	v_mul_f32_e32 v25, v2, v9
	;; [unrolled: 1-line block ×8, first 2 shown]
	ds_read2_b32 v[2:3], v163 offset0:64 offset1:96
	v_fmac_f32_e32 v84, v28, v4
	v_cvt_f32_i32_e32 v4, v6
	v_cvt_f32_i32_e32 v6, v188
	s_waitcnt lgkmcnt(0)
	v_mul_f32_e32 v32, v5, v2
	v_mul_f32_e32 v33, v9, v2
	;; [unrolled: 1-line block ×8, first 2 shown]
	ds_read2_b32 v[2:3], v163 offset0:128 offset1:160
	v_fmac_f32_e32 v76, v32, v4
	v_cvt_f32_i32_e32 v4, v10
	v_cvt_f32_i32_e32 v10, v22
	v_fmac_f32_e32 v70, v36, v4
	v_cvt_f32_i32_e32 v4, v14
	s_waitcnt lgkmcnt(0)
	v_mul_f32_e32 v40, v5, v2
	v_mul_f32_e32 v41, v9, v2
	;; [unrolled: 1-line block ×8, first 2 shown]
	ds_read2_b32 v[2:3], v163 offset0:192 offset1:224
	v_fmac_f32_e32 v66, v40, v4
	v_cvt_f32_i32_e32 v4, v182
	v_add_nc_u32_e32 v163, 4, v163
	v_fmac_f32_e32 v62, v44, v4
	v_cvt_f32_i32_e32 v4, v186
	s_waitcnt lgkmcnt(0)
	v_mul_f32_e32 v48, v5, v2
	v_mul_f32_e32 v5, v5, v3
	;; [unrolled: 1-line block ×5, first 2 shown]
	v_fmac_f32_e32 v58, v48, v4
	v_cvt_f32_i32_e32 v4, v190
	v_mul_f32_e32 v13, v13, v3
	v_mul_f32_e32 v2, v17, v2
	v_mul_f32_e32 v3, v17, v3
	v_cvt_f32_i32_e32 v17, v169
	v_fmac_f32_e32 v54, v5, v4
	v_cvt_f32_i32_e32 v4, v168
	v_cvt_f32_i32_e32 v5, v187
	v_fmac_f32_e32 v56, v50, v6
	v_fmac_f32_e32 v74, v24, v17
	;; [unrolled: 1-line block ×4, first 2 shown]
	v_cvt_f32_i32_e32 v4, v170
	v_fmac_f32_e32 v57, v49, v5
	v_fmac_f32_e32 v88, v26, v4
	v_cvt_f32_i32_e32 v4, v171
	v_fmac_f32_e32 v85, v27, v4
	v_cvt_f32_i32_e32 v4, v172
	v_fmac_f32_e32 v80, v29, v4
	v_cvt_f32_i32_e32 v4, v173
	v_fmac_f32_e32 v79, v30, v4
	v_cvt_f32_i32_e32 v4, v174
	v_fmac_f32_e32 v77, v31, v4
	v_cvt_f32_i32_e32 v4, v7
	v_cvt_f32_i32_e32 v7, v199
	v_fmac_f32_e32 v75, v33, v4
	v_cvt_f32_i32_e32 v4, v8
	v_cvt_f32_i32_e32 v8, v21
	v_fmac_f32_e32 v55, v2, v7
	v_fmac_f32_e32 v73, v34, v4
	v_cvt_f32_i32_e32 v4, v175
	v_fmac_f32_e32 v53, v9, v8
	v_fmac_f32_e32 v71, v35, v4
	v_cvt_f32_i32_e32 v4, v11
	v_cvt_f32_i32_e32 v11, v23
	v_fmac_f32_e32 v69, v37, v4
	v_cvt_f32_i32_e32 v4, v12
	v_fmac_f32_e32 v51, v3, v11
	v_fmac_f32_e32 v68, v38, v4
	v_cvt_f32_i32_e32 v4, v176
	v_fmac_f32_e32 v67, v39, v4
	v_cvt_f32_i32_e32 v4, v15
	;; [unrolled: 2-line block ×7, first 2 shown]
	v_fmac_f32_e32 v59, v47, v4
	s_cbranch_scc1 .LBB161_8
; %bb.9:                                ;   in Loop: Header=BB161_6 Depth=1
	s_and_b32 s0, s11, -4
	s_cmp_eq_u32 s0, 4
	s_barrier
	buffer_gl0_inv
	s_cbranch_scc1 .LBB161_5
; %bb.10:                               ;   in Loop: Header=BB161_6 Depth=1
	v_add_nc_u32_e32 v14, s14, v136
	v_add_nc_u32_e32 v12, 4, v159
	v_mov_b32_e32 v159, v141
	v_mov_b32_e32 v161, v142
	;; [unrolled: 1-line block ×3, first 2 shown]
	v_add_nc_u32_e32 v2, v14, v127
	v_add_nc_u32_e32 v4, v14, v128
	;; [unrolled: 1-line block ×5, first 2 shown]
	v_mad_u64_u32 v[12:13], null, v12, 36, s[2:3]
	v_mad_i64_i32 v[2:3], null, v2, 36, v[19:20]
	v_add_nc_u32_e32 v15, v14, v132
	v_mad_i64_i32 v[4:5], null, v4, 36, v[19:20]
	v_add_nc_u32_e32 v16, v14, v133
	;; [unrolled: 2-line block ×3, first 2 shown]
	v_mad_i64_i32 v[8:9], null, v8, 36, v[19:20]
	v_mad_i64_i32 v[10:11], null, v10, 36, v[19:20]
	;; [unrolled: 1-line block ×5, first 2 shown]
	s_clause 0x8
	global_load_dword v12, v[12:13], off
	global_load_dword v2, v[2:3], off offset:4
	global_load_dword v3, v[4:5], off offset:4
	;; [unrolled: 1-line block ×8, first 2 shown]
	v_mov_b32_e32 v163, v146
	v_mov_b32_e32 v164, v145
	;; [unrolled: 1-line block ×4, first 2 shown]
	s_mov_b32 s0, 12
	s_waitcnt vmcnt(8)
	v_cvt_f32_f16_e32 v10, v12
	s_waitcnt vmcnt(7)
	ds_write_b32 v160, v2
	s_waitcnt vmcnt(6)
	ds_write_b32 v152, v3
	;; [unrolled: 2-line block ×8, first 2 shown]
	ds_write_b32 v126, v10
	s_waitcnt lgkmcnt(0)
	s_barrier
	buffer_gl0_inv
.LBB161_11:                             ;   Parent Loop BB161_6 Depth=1
                                        ; =>  This Inner Loop Header: Depth=2
	v_add_nc_u32_e32 v10, 0x2080, v162
	ds_read_b128 v[6:9], v161
	ds_read2_b32 v[21:22], v162 offset1:1
	ds_read_b128 v[2:5], v161 offset:16
	v_mov_b32_e32 v167, 0
	v_mov_b32_e32 v160, 0
	ds_read2_b32 v[23:24], v10 offset1:1
	v_add_nc_u32_e32 v10, 0x4100, v162
	v_mov_b32_e32 v168, 0
	v_mov_b32_e32 v169, 0
	;; [unrolled: 1-line block ×3, first 2 shown]
	ds_read2_b32 v[31:32], v162 offset0:2 offset1:3
	ds_read2_b32 v[25:26], v10 offset1:1
	v_add_nc_u32_e32 v10, 0x6180, v162
	v_mov_b32_e32 v171, 0
	v_mov_b32_e32 v172, 0
	ds_read2_b32 v[41:42], v162 offset0:4 offset1:5
	v_mov_b32_e32 v173, 0
	ds_read2_b32 v[33:34], v10 offset1:1
	v_mov_b32_e32 v174, 0
	v_mov_b32_e32 v196, 0
	;; [unrolled: 1-line block ×3, first 2 shown]
	s_waitcnt lgkmcnt(6)
	v_dot4c_i32_i8 v167, v21, v6
	s_add_i32 s0, s0, 4
	ds_read_b128 v[13:16], v161 offset:2048
	s_cmp_lt_u32 s0, 28
	s_waitcnt lgkmcnt(5)
	v_dot4c_i32_i8 v160, v23, v6
	v_dot4c_i32_i8 v167, v22, v2
	ds_read_b128 v[175:178], v161 offset:3072
	ds_read_b128 v[180:183], v161 offset:4112
	;; [unrolled: 1-line block ×3, first 2 shown]
	v_dot4c_i32_i8 v160, v24, v2
	s_waitcnt lgkmcnt(6)
	v_dot4c_i32_i8 v168, v25, v6
	v_dot4c_i32_i8 v167, v31, v7
	ds_read_b128 v[188:191], v161 offset:6160
	ds_read_b128 v[192:195], v161 offset:7184
	v_dot4c_i32_i8 v168, v26, v2
	s_waitcnt lgkmcnt(6)
	v_dot4c_i32_i8 v169, v33, v6
	v_dot4c_i32_i8 v167, v32, v3
	;; [unrolled: 1-line block ×3, first 2 shown]
	v_add_nc_u32_e32 v2, 0x2088, v162
	v_dot4c_i32_i8 v167, v41, v8
	s_waitcnt lgkmcnt(5)
	v_dot4c_i32_i8 v173, v33, v13
	s_waitcnt lgkmcnt(4)
	v_dot4c_i32_i8 v174, v33, v175
	ds_read2_b32 v[35:36], v2 offset1:1
	v_add_nc_u32_e32 v2, 0x4108, v162
	v_dot4c_i32_i8 v167, v42, v4
	ds_read2_b32 v[39:40], v2 offset1:1
	v_add_nc_u32_e32 v2, 0x6188, v162
	ds_read2_b32 v[43:44], v2 offset1:1
	v_add_nc_u32_e32 v2, 0x2090, v162
	;; [unrolled: 2-line block ×3, first 2 shown]
	s_waitcnt lgkmcnt(3)
	v_dot4c_i32_i8 v160, v35, v7
	ds_read2_b32 v[47:48], v2 offset1:1
	v_add_nc_u32_e32 v2, 0x6190, v162
	s_waitcnt lgkmcnt(3)
	v_dot4c_i32_i8 v168, v39, v7
	v_dot4c_i32_i8 v160, v36, v3
	ds_read2_b32 v[49:50], v2 offset1:1
	v_dot4c_i32_i8 v168, v40, v3
	s_waitcnt lgkmcnt(3)
	v_dot4c_i32_i8 v169, v43, v7
	v_dot4c_i32_i8 v169, v44, v3
	s_waitcnt lgkmcnt(2)
	v_dot4c_i32_i8 v160, v45, v8
	ds_read2_b32 v[2:3], v162 offset0:6 offset1:7
	v_dot4c_i32_i8 v160, v46, v4
	s_waitcnt lgkmcnt(2)
	v_dot4c_i32_i8 v168, v47, v8
	v_dot4c_i32_i8 v168, v48, v4
	s_waitcnt lgkmcnt(1)
	v_dot4c_i32_i8 v169, v49, v8
	v_dot4c_i32_i8 v169, v50, v4
	v_add_nc_u32_e32 v4, 0x2098, v162
	ds_read2_b32 v[27:28], v4 offset1:1
	v_add_nc_u32_e32 v4, 0x4118, v162
	s_waitcnt lgkmcnt(1)
	v_dot4c_i32_i8 v167, v2, v9
	ds_read2_b32 v[29:30], v4 offset1:1
	v_add_nc_u32_e32 v4, 0x6198, v162
	v_dot4c_i32_i8 v167, v3, v5
	v_add_nc_u32_e32 v162, 32, v162
	ds_read2_b32 v[37:38], v4 offset1:1
	v_mov_b32_e32 v4, 0
	s_waitcnt lgkmcnt(2)
	v_dot4c_i32_i8 v160, v27, v9
	v_dot4c_i32_i8 v160, v28, v5
	s_waitcnt lgkmcnt(1)
	v_dot4c_i32_i8 v168, v29, v9
	v_dot4c_i32_i8 v168, v30, v5
	s_waitcnt lgkmcnt(0)
	v_dot4c_i32_i8 v169, v37, v9
	ds_read_b128 v[9:12], v161 offset:1024
	v_dot4c_i32_i8 v169, v38, v5
	s_waitcnt lgkmcnt(0)
	v_dot4c_i32_i8 v4, v21, v9
	v_dot4c_i32_i8 v170, v23, v9
	;; [unrolled: 1-line block ×4, first 2 shown]
	ds_read_b128 v[6:9], v161 offset:1040
	s_waitcnt lgkmcnt(0)
	v_dot4c_i32_i8 v4, v22, v6
	v_dot4c_i32_i8 v170, v24, v6
	v_dot4c_i32_i8 v171, v26, v6
	v_dot4c_i32_i8 v172, v34, v6
	v_mov_b32_e32 v6, 0
	v_dot4c_i32_i8 v4, v31, v10
	v_dot4c_i32_i8 v170, v35, v10
	v_dot4c_i32_i8 v171, v39, v10
	v_dot4c_i32_i8 v172, v43, v10
	v_dot4c_i32_i8 v6, v21, v13
	v_dot4c_i32_i8 v4, v32, v7
	v_dot4c_i32_i8 v170, v36, v7
	v_dot4c_i32_i8 v171, v40, v7
	v_dot4c_i32_i8 v172, v44, v7
	v_mov_b32_e32 v7, 0
	v_dot4c_i32_i8 v4, v41, v11
	v_dot4c_i32_i8 v170, v45, v11
	v_dot4c_i32_i8 v171, v47, v11
	v_dot4c_i32_i8 v172, v49, v11
	v_dot4c_i32_i8 v7, v23, v13
	;; [unrolled: 10-line block ×3, first 2 shown]
	ds_read_b128 v[10:13], v161 offset:2064
	v_dot4c_i32_i8 v4, v3, v9
	v_dot4c_i32_i8 v170, v28, v9
	;; [unrolled: 1-line block ×4, first 2 shown]
	v_cvt_f32_i32_e32 v4, v4
	s_waitcnt lgkmcnt(0)
	v_dot4c_i32_i8 v6, v22, v10
	v_dot4c_i32_i8 v7, v24, v10
	;; [unrolled: 1-line block ×4, first 2 shown]
	v_mov_b32_e32 v10, 0
	v_dot4c_i32_i8 v6, v31, v14
	v_dot4c_i32_i8 v7, v35, v14
	;; [unrolled: 1-line block ×9, first 2 shown]
	v_mov_b32_e32 v11, 0
	v_dot4c_i32_i8 v6, v41, v15
	v_dot4c_i32_i8 v7, v45, v15
	;; [unrolled: 1-line block ×9, first 2 shown]
	v_mov_b32_e32 v12, 0
	v_dot4c_i32_i8 v6, v2, v16
	v_dot4c_i32_i8 v7, v27, v16
	v_dot4c_i32_i8 v8, v29, v16
	v_dot4c_i32_i8 v173, v37, v16
	ds_read_b128 v[14:17], v161 offset:3088
	v_dot4c_i32_i8 v12, v25, v175
	v_mov_b32_e32 v175, 0
	v_dot4c_i32_i8 v6, v3, v13
	v_dot4c_i32_i8 v7, v28, v13
	;; [unrolled: 1-line block ×4, first 2 shown]
	s_waitcnt lgkmcnt(0)
	v_dot4c_i32_i8 v10, v22, v14
	v_dot4c_i32_i8 v11, v24, v14
	v_dot4c_i32_i8 v12, v26, v14
	v_dot4c_i32_i8 v174, v34, v14
	v_mov_b32_e32 v14, 0
	v_dot4c_i32_i8 v10, v31, v176
	v_dot4c_i32_i8 v11, v35, v176
	v_dot4c_i32_i8 v12, v39, v176
	v_dot4c_i32_i8 v174, v43, v176
	v_dot4c_i32_i8 v10, v32, v15
	v_dot4c_i32_i8 v11, v36, v15
	v_dot4c_i32_i8 v12, v40, v15
	v_dot4c_i32_i8 v174, v44, v15
	v_mov_b32_e32 v15, 0
	v_dot4c_i32_i8 v10, v41, v177
	v_dot4c_i32_i8 v11, v45, v177
	v_dot4c_i32_i8 v12, v47, v177
	v_dot4c_i32_i8 v174, v49, v177
	v_dot4c_i32_i8 v10, v42, v16
	v_dot4c_i32_i8 v11, v46, v16
	v_dot4c_i32_i8 v12, v48, v16
	v_dot4c_i32_i8 v174, v50, v16
	v_mov_b32_e32 v16, 0
	v_dot4c_i32_i8 v10, v2, v178
	v_dot4c_i32_i8 v11, v27, v178
	v_dot4c_i32_i8 v12, v29, v178
	v_dot4c_i32_i8 v174, v37, v178
	ds_read_b128 v[176:179], v161 offset:4096
	v_dot4c_i32_i8 v10, v3, v17
	v_dot4c_i32_i8 v11, v28, v17
	v_dot4c_i32_i8 v12, v30, v17
	v_dot4c_i32_i8 v174, v38, v17
	s_waitcnt lgkmcnt(0)
	v_dot4c_i32_i8 v14, v21, v176
	v_dot4c_i32_i8 v15, v23, v176
	v_dot4c_i32_i8 v16, v25, v176
	v_dot4c_i32_i8 v175, v33, v176
	v_dot4c_i32_i8 v14, v22, v180
	v_dot4c_i32_i8 v15, v24, v180
	v_dot4c_i32_i8 v16, v26, v180
	v_dot4c_i32_i8 v175, v34, v180
	v_mov_b32_e32 v180, 0
	v_dot4c_i32_i8 v14, v31, v177
	v_dot4c_i32_i8 v15, v35, v177
	v_dot4c_i32_i8 v16, v39, v177
	v_dot4c_i32_i8 v175, v43, v177
	v_dot4c_i32_i8 v14, v32, v181
	v_dot4c_i32_i8 v15, v36, v181
	v_dot4c_i32_i8 v16, v40, v181
	v_dot4c_i32_i8 v175, v44, v181
	v_mov_b32_e32 v181, 0
	v_dot4c_i32_i8 v14, v41, v178
	v_dot4c_i32_i8 v15, v45, v178
	v_dot4c_i32_i8 v16, v47, v178
	v_dot4c_i32_i8 v175, v49, v178
	v_dot4c_i32_i8 v14, v42, v182
	v_dot4c_i32_i8 v15, v46, v182
	v_dot4c_i32_i8 v16, v48, v182
	v_dot4c_i32_i8 v175, v50, v182
	v_mov_b32_e32 v182, 0
	v_dot4c_i32_i8 v14, v2, v179
	v_dot4c_i32_i8 v15, v27, v179
	v_dot4c_i32_i8 v16, v29, v179
	v_dot4c_i32_i8 v175, v37, v179
	ds_read_b128 v[176:179], v161 offset:5120
	v_dot4c_i32_i8 v14, v3, v183
	v_dot4c_i32_i8 v15, v28, v183
	v_dot4c_i32_i8 v16, v30, v183
	v_dot4c_i32_i8 v175, v38, v183
	s_waitcnt lgkmcnt(0)
	v_dot4c_i32_i8 v180, v21, v176
	v_dot4c_i32_i8 v181, v23, v176
	v_dot4c_i32_i8 v182, v25, v176
	v_dot4c_i32_i8 v196, v33, v176
	;; [unrolled: 37-line block ×3, first 2 shown]
	v_dot4c_i32_i8 v184, v22, v188
	v_dot4c_i32_i8 v185, v24, v188
	v_dot4c_i32_i8 v186, v26, v188
	v_dot4c_i32_i8 v197, v34, v188
	v_mov_b32_e32 v188, 0
	v_dot4c_i32_i8 v184, v31, v177
	v_dot4c_i32_i8 v185, v35, v177
	;; [unrolled: 1-line block ×20, first 2 shown]
	ds_read_b128 v[176:179], v161 offset:7168
	v_dot4c_i32_i8 v184, v3, v191
	v_dot4c_i32_i8 v185, v28, v191
	;; [unrolled: 1-line block ×4, first 2 shown]
	v_add_nc_u32_e32 v161, 32, v161
	s_waitcnt lgkmcnt(0)
	v_dot4c_i32_i8 v188, v21, v176
	v_mov_b32_e32 v21, 0
	v_dot4c_i32_i8 v188, v22, v192
	v_mov_b32_e32 v22, 0
	;; [unrolled: 2-line block ×3, first 2 shown]
	v_dot4c_i32_i8 v188, v31, v177
	v_dot4c_i32_i8 v22, v25, v176
	;; [unrolled: 1-line block ×21, first 2 shown]
	ds_read_b32 v5, v163
	ds_read_b32 v9, v164
	;; [unrolled: 1-line block ×4, first 2 shown]
	ds_read2_b32 v[2:3], v159 offset1:32
	v_dot4c_i32_i8 v22, v48, v194
	v_dot4c_i32_i8 v21, v27, v179
	;; [unrolled: 1-line block ×3, first 2 shown]
	v_add_nc_u32_e32 v166, 4, v166
	v_add_nc_u32_e32 v165, 4, v165
	v_dot4c_i32_i8 v22, v29, v179
	v_dot4c_i32_i8 v21, v28, v195
	;; [unrolled: 1-line block ×3, first 2 shown]
	v_add_nc_u32_e32 v164, 4, v164
	v_add_nc_u32_e32 v163, 4, v163
	v_dot4c_i32_i8 v22, v30, v195
	v_dot4c_i32_i8 v23, v38, v195
	s_waitcnt lgkmcnt(0)
	v_mul_f32_e32 v24, v2, v5
	v_mul_f32_e32 v25, v2, v9
	;; [unrolled: 1-line block ×8, first 2 shown]
	ds_read2_b32 v[2:3], v159 offset0:64 offset1:96
	v_fmac_f32_e32 v84, v28, v4
	v_cvt_f32_i32_e32 v4, v6
	v_cvt_f32_i32_e32 v6, v186
	s_waitcnt lgkmcnt(0)
	v_mul_f32_e32 v32, v5, v2
	v_mul_f32_e32 v33, v9, v2
	;; [unrolled: 1-line block ×8, first 2 shown]
	ds_read2_b32 v[2:3], v159 offset0:128 offset1:160
	v_fmac_f32_e32 v76, v32, v4
	v_cvt_f32_i32_e32 v4, v10
	v_cvt_f32_i32_e32 v10, v22
	v_fmac_f32_e32 v70, v36, v4
	v_cvt_f32_i32_e32 v4, v14
	s_waitcnt lgkmcnt(0)
	v_mul_f32_e32 v40, v5, v2
	v_mul_f32_e32 v41, v9, v2
	;; [unrolled: 1-line block ×8, first 2 shown]
	ds_read2_b32 v[2:3], v159 offset0:192 offset1:224
	v_fmac_f32_e32 v66, v40, v4
	v_cvt_f32_i32_e32 v4, v180
	v_add_nc_u32_e32 v159, 4, v159
	v_fmac_f32_e32 v62, v44, v4
	v_cvt_f32_i32_e32 v4, v184
	s_waitcnt lgkmcnt(0)
	v_mul_f32_e32 v48, v5, v2
	v_mul_f32_e32 v5, v5, v3
	;; [unrolled: 1-line block ×5, first 2 shown]
	v_fmac_f32_e32 v58, v48, v4
	v_cvt_f32_i32_e32 v4, v188
	v_mul_f32_e32 v13, v13, v3
	v_mul_f32_e32 v2, v17, v2
	v_mul_f32_e32 v3, v17, v3
	v_cvt_f32_i32_e32 v17, v167
	v_fmac_f32_e32 v54, v5, v4
	v_cvt_f32_i32_e32 v4, v160
	v_cvt_f32_i32_e32 v5, v185
	v_fmac_f32_e32 v56, v50, v6
	v_fmac_f32_e32 v74, v24, v17
	v_fmac_f32_e32 v52, v13, v10
	v_fmac_f32_e32 v98, v25, v4
	v_cvt_f32_i32_e32 v4, v168
	v_fmac_f32_e32 v57, v49, v5
	v_fmac_f32_e32 v88, v26, v4
	v_cvt_f32_i32_e32 v4, v169
	v_fmac_f32_e32 v85, v27, v4
	v_cvt_f32_i32_e32 v4, v170
	;; [unrolled: 2-line block ×5, first 2 shown]
	v_cvt_f32_i32_e32 v7, v197
	v_fmac_f32_e32 v75, v33, v4
	v_cvt_f32_i32_e32 v4, v8
	v_cvt_f32_i32_e32 v8, v21
	v_fmac_f32_e32 v55, v2, v7
	v_fmac_f32_e32 v73, v34, v4
	v_cvt_f32_i32_e32 v4, v173
	v_fmac_f32_e32 v53, v9, v8
	v_fmac_f32_e32 v71, v35, v4
	v_cvt_f32_i32_e32 v4, v11
	v_cvt_f32_i32_e32 v11, v23
	v_fmac_f32_e32 v69, v37, v4
	v_cvt_f32_i32_e32 v4, v12
	v_fmac_f32_e32 v51, v3, v11
	v_fmac_f32_e32 v68, v38, v4
	v_cvt_f32_i32_e32 v4, v174
	v_fmac_f32_e32 v67, v39, v4
	v_cvt_f32_i32_e32 v4, v15
	;; [unrolled: 2-line block ×7, first 2 shown]
	v_fmac_f32_e32 v59, v47, v4
	s_cbranch_scc1 .LBB161_11
; %bb.12:                               ;   in Loop: Header=BB161_6 Depth=1
	s_barrier
	buffer_gl0_inv
	s_branch .LBB161_5
.LBB161_13:
	v_mov_b32_e32 v2, v72
.LBB161_14:
	s_mov_b32 s0, exec_lo
	v_cmpx_gt_u32_e64 s8, v2
	s_cbranch_execz .LBB161_65
; %bb.15:
	v_add_nc_u32_e32 v0, s6, v0
	v_mul_lo_u32 v5, v2, s10
	v_cmp_gt_u32_e64 s0, s10, v0
	s_and_saveexec_b32 s1, s0
	s_cbranch_execz .LBB161_17
; %bb.16:
	v_add_nc_u32_e32 v2, v0, v5
	v_mov_b32_e32 v3, 0
	v_bfe_u32 v4, v74, 16, 1
	v_cmp_o_f32_e32 vcc_lo, v74, v74
	v_mov_b32_e32 v6, 0x7fc0
	v_lshlrev_b64 v[2:3], 1, v[2:3]
	v_add3_u32 v4, v74, v4, 0x7fff
	v_cndmask_b32_sdwa v4, v6, v4, vcc_lo dst_sel:DWORD dst_unused:UNUSED_PAD src0_sel:DWORD src1_sel:WORD_1
	s_waitcnt lgkmcnt(0)
	v_add_co_u32 v2, vcc_lo, s12, v2
	v_add_co_ci_u32_e64 v3, null, s13, v3, vcc_lo
	global_store_short v[2:3], v4, off
.LBB161_17:
	s_or_b32 exec_lo, exec_lo, s1
	v_add_nc_u32_e32 v2, 32, v0
	v_cmp_gt_u32_e64 s1, s10, v2
	s_and_saveexec_b32 s2, s1
	s_cbranch_execz .LBB161_19
; %bb.18:
	v_add_nc_u32_e32 v3, v2, v5
	v_mov_b32_e32 v4, 0
	v_bfe_u32 v6, v98, 16, 1
	v_cmp_o_f32_e32 vcc_lo, v98, v98
	v_mov_b32_e32 v7, 0x7fc0
	v_lshlrev_b64 v[3:4], 1, v[3:4]
	v_add3_u32 v6, v98, v6, 0x7fff
	v_cndmask_b32_sdwa v6, v7, v6, vcc_lo dst_sel:DWORD dst_unused:UNUSED_PAD src0_sel:DWORD src1_sel:WORD_1
	s_waitcnt lgkmcnt(0)
	v_add_co_u32 v3, vcc_lo, s12, v3
	v_add_co_ci_u32_e64 v4, null, s13, v4, vcc_lo
	global_store_short v[3:4], v6, off
.LBB161_19:
	s_or_b32 exec_lo, exec_lo, s2
	v_add_nc_u32_e32 v3, 64, v0
	;; [unrolled: 19-line block ×3, first 2 shown]
	v_cmp_gt_u32_e64 s3, s10, v4
	s_and_saveexec_b32 s4, s3
	s_cbranch_execz .LBB161_23
; %bb.22:
	v_add_nc_u32_e32 v5, v4, v5
	v_mov_b32_e32 v6, 0
	v_bfe_u32 v7, v85, 16, 1
	v_cmp_o_f32_e32 vcc_lo, v85, v85
	v_mov_b32_e32 v8, 0x7fc0
	v_lshlrev_b64 v[5:6], 1, v[5:6]
	v_add3_u32 v7, v85, v7, 0x7fff
	v_cndmask_b32_sdwa v7, v8, v7, vcc_lo dst_sel:DWORD dst_unused:UNUSED_PAD src0_sel:DWORD src1_sel:WORD_1
	s_waitcnt lgkmcnt(0)
	v_add_co_u32 v5, vcc_lo, s12, v5
	v_add_co_ci_u32_e64 v6, null, s13, v6, vcc_lo
	global_store_short v[5:6], v7, off
.LBB161_23:
	s_or_b32 exec_lo, exec_lo, s4
	v_add3_u32 v5, v1, s7, 8
	v_cmp_gt_u32_e32 vcc_lo, s8, v5
	s_and_b32 exec_lo, exec_lo, vcc_lo
	s_cbranch_execz .LBB161_65
; %bb.24:
	v_mul_lo_u32 v5, v5, s10
	s_and_saveexec_b32 s4, s0
	s_cbranch_execnz .LBB161_66
; %bb.25:
	s_or_b32 exec_lo, exec_lo, s4
	s_and_saveexec_b32 s4, s1
	s_cbranch_execnz .LBB161_67
.LBB161_26:
	s_or_b32 exec_lo, exec_lo, s4
	s_and_saveexec_b32 s4, s2
	s_cbranch_execnz .LBB161_68
.LBB161_27:
	s_or_b32 exec_lo, exec_lo, s4
	s_and_saveexec_b32 s4, s3
	s_cbranch_execz .LBB161_29
.LBB161_28:
	v_add_nc_u32_e32 v5, v5, v4
	v_mov_b32_e32 v6, 0
	v_bfe_u32 v7, v77, 16, 1
	v_cmp_o_f32_e32 vcc_lo, v77, v77
	v_mov_b32_e32 v8, 0x7fc0
	v_lshlrev_b64 v[5:6], 1, v[5:6]
	v_add3_u32 v7, v77, v7, 0x7fff
	v_cndmask_b32_sdwa v7, v8, v7, vcc_lo dst_sel:DWORD dst_unused:UNUSED_PAD src0_sel:DWORD src1_sel:WORD_1
	s_waitcnt lgkmcnt(0)
	v_add_co_u32 v5, vcc_lo, s12, v5
	v_add_co_ci_u32_e64 v6, null, s13, v6, vcc_lo
	global_store_short v[5:6], v7, off
.LBB161_29:
	s_or_b32 exec_lo, exec_lo, s4
	v_add3_u32 v5, v1, s7, 16
	v_cmp_gt_u32_e32 vcc_lo, s8, v5
	s_and_b32 exec_lo, exec_lo, vcc_lo
	s_cbranch_execz .LBB161_65
; %bb.30:
	v_mul_lo_u32 v5, v5, s10
	s_and_saveexec_b32 s4, s0
	s_cbranch_execnz .LBB161_69
; %bb.31:
	s_or_b32 exec_lo, exec_lo, s4
	s_and_saveexec_b32 s4, s1
	s_cbranch_execnz .LBB161_70
.LBB161_32:
	s_or_b32 exec_lo, exec_lo, s4
	s_and_saveexec_b32 s4, s2
	s_cbranch_execnz .LBB161_71
.LBB161_33:
	s_or_b32 exec_lo, exec_lo, s4
	s_and_saveexec_b32 s4, s3
	s_cbranch_execz .LBB161_35
.LBB161_34:
	v_add_nc_u32_e32 v5, v5, v4
	v_mov_b32_e32 v6, 0
	v_bfe_u32 v7, v71, 16, 1
	v_cmp_o_f32_e32 vcc_lo, v71, v71
	v_mov_b32_e32 v8, 0x7fc0
	v_lshlrev_b64 v[5:6], 1, v[5:6]
	v_add3_u32 v7, v71, v7, 0x7fff
	v_cndmask_b32_sdwa v7, v8, v7, vcc_lo dst_sel:DWORD dst_unused:UNUSED_PAD src0_sel:DWORD src1_sel:WORD_1
	s_waitcnt lgkmcnt(0)
	v_add_co_u32 v5, vcc_lo, s12, v5
	v_add_co_ci_u32_e64 v6, null, s13, v6, vcc_lo
	global_store_short v[5:6], v7, off
.LBB161_35:
	s_or_b32 exec_lo, exec_lo, s4
	v_add3_u32 v5, v1, s7, 24
	v_cmp_gt_u32_e32 vcc_lo, s8, v5
	s_and_b32 exec_lo, exec_lo, vcc_lo
	s_cbranch_execz .LBB161_65
; %bb.36:
	v_mul_lo_u32 v5, v5, s10
	s_and_saveexec_b32 s4, s0
	s_cbranch_execnz .LBB161_72
; %bb.37:
	s_or_b32 exec_lo, exec_lo, s4
	s_and_saveexec_b32 s4, s1
	s_cbranch_execnz .LBB161_73
.LBB161_38:
	s_or_b32 exec_lo, exec_lo, s4
	s_and_saveexec_b32 s4, s2
	s_cbranch_execnz .LBB161_74
.LBB161_39:
	s_or_b32 exec_lo, exec_lo, s4
	s_and_saveexec_b32 s4, s3
	s_cbranch_execz .LBB161_41
.LBB161_40:
	v_add_nc_u32_e32 v5, v5, v4
	v_mov_b32_e32 v6, 0
	v_bfe_u32 v7, v67, 16, 1
	v_cmp_o_f32_e32 vcc_lo, v67, v67
	v_mov_b32_e32 v8, 0x7fc0
	v_lshlrev_b64 v[5:6], 1, v[5:6]
	v_add3_u32 v7, v67, v7, 0x7fff
	v_cndmask_b32_sdwa v7, v8, v7, vcc_lo dst_sel:DWORD dst_unused:UNUSED_PAD src0_sel:DWORD src1_sel:WORD_1
	s_waitcnt lgkmcnt(0)
	v_add_co_u32 v5, vcc_lo, s12, v5
	v_add_co_ci_u32_e64 v6, null, s13, v6, vcc_lo
	global_store_short v[5:6], v7, off
.LBB161_41:
	s_or_b32 exec_lo, exec_lo, s4
	v_add3_u32 v5, v1, s7, 32
	v_cmp_gt_u32_e32 vcc_lo, s8, v5
	s_and_b32 exec_lo, exec_lo, vcc_lo
	s_cbranch_execz .LBB161_65
; %bb.42:
	v_mul_lo_u32 v5, v5, s10
	s_and_saveexec_b32 s4, s0
	s_cbranch_execnz .LBB161_75
; %bb.43:
	s_or_b32 exec_lo, exec_lo, s4
	s_and_saveexec_b32 s4, s1
	s_cbranch_execnz .LBB161_76
.LBB161_44:
	s_or_b32 exec_lo, exec_lo, s4
	s_and_saveexec_b32 s4, s2
	s_cbranch_execnz .LBB161_77
.LBB161_45:
	s_or_b32 exec_lo, exec_lo, s4
	s_and_saveexec_b32 s4, s3
	s_cbranch_execz .LBB161_47
.LBB161_46:
	v_add_nc_u32_e32 v5, v5, v4
	v_mov_b32_e32 v6, 0
	v_bfe_u32 v7, v63, 16, 1
	v_cmp_o_f32_e32 vcc_lo, v63, v63
	v_mov_b32_e32 v8, 0x7fc0
	v_lshlrev_b64 v[5:6], 1, v[5:6]
	v_add3_u32 v7, v63, v7, 0x7fff
	v_cndmask_b32_sdwa v7, v8, v7, vcc_lo dst_sel:DWORD dst_unused:UNUSED_PAD src0_sel:DWORD src1_sel:WORD_1
	s_waitcnt lgkmcnt(0)
	v_add_co_u32 v5, vcc_lo, s12, v5
	v_add_co_ci_u32_e64 v6, null, s13, v6, vcc_lo
	global_store_short v[5:6], v7, off
.LBB161_47:
	s_or_b32 exec_lo, exec_lo, s4
	v_add3_u32 v5, v1, s7, 40
	v_cmp_gt_u32_e32 vcc_lo, s8, v5
	s_and_b32 exec_lo, exec_lo, vcc_lo
	s_cbranch_execz .LBB161_65
; %bb.48:
	v_mul_lo_u32 v5, v5, s10
	s_and_saveexec_b32 s4, s0
	s_cbranch_execnz .LBB161_78
; %bb.49:
	s_or_b32 exec_lo, exec_lo, s4
	s_and_saveexec_b32 s4, s1
	s_cbranch_execnz .LBB161_79
.LBB161_50:
	s_or_b32 exec_lo, exec_lo, s4
	s_and_saveexec_b32 s4, s2
	s_cbranch_execnz .LBB161_80
.LBB161_51:
	s_or_b32 exec_lo, exec_lo, s4
	s_and_saveexec_b32 s4, s3
	s_cbranch_execz .LBB161_53
.LBB161_52:
	v_add_nc_u32_e32 v5, v5, v4
	v_mov_b32_e32 v6, 0
	v_bfe_u32 v7, v59, 16, 1
	v_cmp_o_f32_e32 vcc_lo, v59, v59
	v_mov_b32_e32 v8, 0x7fc0
	v_lshlrev_b64 v[5:6], 1, v[5:6]
	v_add3_u32 v7, v59, v7, 0x7fff
	v_cndmask_b32_sdwa v7, v8, v7, vcc_lo dst_sel:DWORD dst_unused:UNUSED_PAD src0_sel:DWORD src1_sel:WORD_1
	s_waitcnt lgkmcnt(0)
	v_add_co_u32 v5, vcc_lo, s12, v5
	v_add_co_ci_u32_e64 v6, null, s13, v6, vcc_lo
	global_store_short v[5:6], v7, off
.LBB161_53:
	s_or_b32 exec_lo, exec_lo, s4
	v_add3_u32 v5, v1, s7, 48
	v_cmp_gt_u32_e32 vcc_lo, s8, v5
	s_and_b32 exec_lo, exec_lo, vcc_lo
	s_cbranch_execz .LBB161_65
; %bb.54:
	v_mul_lo_u32 v5, v5, s10
	s_and_saveexec_b32 s4, s0
	s_cbranch_execnz .LBB161_81
; %bb.55:
	s_or_b32 exec_lo, exec_lo, s4
	s_and_saveexec_b32 s4, s1
	s_cbranch_execnz .LBB161_82
.LBB161_56:
	s_or_b32 exec_lo, exec_lo, s4
	s_and_saveexec_b32 s4, s2
	s_cbranch_execnz .LBB161_83
.LBB161_57:
	s_or_b32 exec_lo, exec_lo, s4
	s_and_saveexec_b32 s4, s3
	s_cbranch_execz .LBB161_59
.LBB161_58:
	v_add_nc_u32_e32 v5, v5, v4
	v_mov_b32_e32 v6, 0
	v_bfe_u32 v7, v55, 16, 1
	v_cmp_o_f32_e32 vcc_lo, v55, v55
	v_mov_b32_e32 v8, 0x7fc0
	v_lshlrev_b64 v[5:6], 1, v[5:6]
	v_add3_u32 v7, v55, v7, 0x7fff
	v_cndmask_b32_sdwa v7, v8, v7, vcc_lo dst_sel:DWORD dst_unused:UNUSED_PAD src0_sel:DWORD src1_sel:WORD_1
	s_waitcnt lgkmcnt(0)
	v_add_co_u32 v5, vcc_lo, s12, v5
	v_add_co_ci_u32_e64 v6, null, s13, v6, vcc_lo
	global_store_short v[5:6], v7, off
.LBB161_59:
	s_or_b32 exec_lo, exec_lo, s4
	v_add3_u32 v1, v1, s7, 56
	v_cmp_gt_u32_e32 vcc_lo, s8, v1
	s_and_b32 exec_lo, exec_lo, vcc_lo
	s_cbranch_execz .LBB161_65
; %bb.60:
	v_mul_lo_u32 v1, v1, s10
	s_and_saveexec_b32 s4, s0
	s_cbranch_execnz .LBB161_84
; %bb.61:
	s_or_b32 exec_lo, exec_lo, s4
	s_and_saveexec_b32 s0, s1
	s_cbranch_execnz .LBB161_85
.LBB161_62:
	s_or_b32 exec_lo, exec_lo, s0
	s_and_saveexec_b32 s0, s2
	s_cbranch_execnz .LBB161_86
.LBB161_63:
	s_or_b32 exec_lo, exec_lo, s0
	s_and_b32 exec_lo, exec_lo, s3
	s_cbranch_execz .LBB161_65
.LBB161_64:
	v_add_nc_u32_e32 v0, v1, v4
	v_mov_b32_e32 v1, 0
	v_bfe_u32 v2, v51, 16, 1
	v_cmp_o_f32_e32 vcc_lo, v51, v51
	v_mov_b32_e32 v3, 0x7fc0
	v_lshlrev_b64 v[0:1], 1, v[0:1]
	v_add3_u32 v2, v51, v2, 0x7fff
	v_cndmask_b32_sdwa v2, v3, v2, vcc_lo dst_sel:DWORD dst_unused:UNUSED_PAD src0_sel:DWORD src1_sel:WORD_1
	s_waitcnt lgkmcnt(0)
	v_add_co_u32 v0, vcc_lo, s12, v0
	v_add_co_ci_u32_e64 v1, null, s13, v1, vcc_lo
	global_store_short v[0:1], v2, off
.LBB161_65:
	s_endpgm
.LBB161_66:
	v_add_nc_u32_e32 v6, v5, v0
	v_mov_b32_e32 v7, 0
	v_bfe_u32 v8, v84, 16, 1
	v_cmp_o_f32_e32 vcc_lo, v84, v84
	v_mov_b32_e32 v9, 0x7fc0
	v_lshlrev_b64 v[6:7], 1, v[6:7]
	v_add3_u32 v8, v84, v8, 0x7fff
	v_cndmask_b32_sdwa v8, v9, v8, vcc_lo dst_sel:DWORD dst_unused:UNUSED_PAD src0_sel:DWORD src1_sel:WORD_1
	s_waitcnt lgkmcnt(0)
	v_add_co_u32 v6, vcc_lo, s12, v6
	v_add_co_ci_u32_e64 v7, null, s13, v7, vcc_lo
	global_store_short v[6:7], v8, off
	s_or_b32 exec_lo, exec_lo, s4
	s_and_saveexec_b32 s4, s1
	s_cbranch_execz .LBB161_26
.LBB161_67:
	v_add_nc_u32_e32 v6, v5, v2
	v_mov_b32_e32 v7, 0
	v_bfe_u32 v8, v80, 16, 1
	v_cmp_o_f32_e32 vcc_lo, v80, v80
	v_mov_b32_e32 v9, 0x7fc0
	v_lshlrev_b64 v[6:7], 1, v[6:7]
	v_add3_u32 v8, v80, v8, 0x7fff
	v_cndmask_b32_sdwa v8, v9, v8, vcc_lo dst_sel:DWORD dst_unused:UNUSED_PAD src0_sel:DWORD src1_sel:WORD_1
	s_waitcnt lgkmcnt(0)
	v_add_co_u32 v6, vcc_lo, s12, v6
	v_add_co_ci_u32_e64 v7, null, s13, v7, vcc_lo
	global_store_short v[6:7], v8, off
	s_or_b32 exec_lo, exec_lo, s4
	s_and_saveexec_b32 s4, s2
	s_cbranch_execz .LBB161_27
.LBB161_68:
	v_add_nc_u32_e32 v6, v5, v3
	v_mov_b32_e32 v7, 0
	v_bfe_u32 v8, v79, 16, 1
	v_cmp_o_f32_e32 vcc_lo, v79, v79
	v_mov_b32_e32 v9, 0x7fc0
	v_lshlrev_b64 v[6:7], 1, v[6:7]
	v_add3_u32 v8, v79, v8, 0x7fff
	v_cndmask_b32_sdwa v8, v9, v8, vcc_lo dst_sel:DWORD dst_unused:UNUSED_PAD src0_sel:DWORD src1_sel:WORD_1
	s_waitcnt lgkmcnt(0)
	v_add_co_u32 v6, vcc_lo, s12, v6
	v_add_co_ci_u32_e64 v7, null, s13, v7, vcc_lo
	global_store_short v[6:7], v8, off
	s_or_b32 exec_lo, exec_lo, s4
	s_and_saveexec_b32 s4, s3
	s_cbranch_execnz .LBB161_28
	s_branch .LBB161_29
.LBB161_69:
	v_add_nc_u32_e32 v6, v5, v0
	v_mov_b32_e32 v7, 0
	v_bfe_u32 v8, v76, 16, 1
	v_cmp_o_f32_e32 vcc_lo, v76, v76
	v_mov_b32_e32 v9, 0x7fc0
	v_lshlrev_b64 v[6:7], 1, v[6:7]
	v_add3_u32 v8, v76, v8, 0x7fff
	v_cndmask_b32_sdwa v8, v9, v8, vcc_lo dst_sel:DWORD dst_unused:UNUSED_PAD src0_sel:DWORD src1_sel:WORD_1
	s_waitcnt lgkmcnt(0)
	v_add_co_u32 v6, vcc_lo, s12, v6
	v_add_co_ci_u32_e64 v7, null, s13, v7, vcc_lo
	global_store_short v[6:7], v8, off
	s_or_b32 exec_lo, exec_lo, s4
	s_and_saveexec_b32 s4, s1
	s_cbranch_execz .LBB161_32
.LBB161_70:
	v_add_nc_u32_e32 v6, v5, v2
	v_mov_b32_e32 v7, 0
	v_bfe_u32 v8, v75, 16, 1
	v_cmp_o_f32_e32 vcc_lo, v75, v75
	v_mov_b32_e32 v9, 0x7fc0
	v_lshlrev_b64 v[6:7], 1, v[6:7]
	v_add3_u32 v8, v75, v8, 0x7fff
	v_cndmask_b32_sdwa v8, v9, v8, vcc_lo dst_sel:DWORD dst_unused:UNUSED_PAD src0_sel:DWORD src1_sel:WORD_1
	s_waitcnt lgkmcnt(0)
	v_add_co_u32 v6, vcc_lo, s12, v6
	v_add_co_ci_u32_e64 v7, null, s13, v7, vcc_lo
	global_store_short v[6:7], v8, off
	s_or_b32 exec_lo, exec_lo, s4
	s_and_saveexec_b32 s4, s2
	s_cbranch_execz .LBB161_33
.LBB161_71:
	v_add_nc_u32_e32 v6, v5, v3
	v_mov_b32_e32 v7, 0
	v_bfe_u32 v8, v73, 16, 1
	v_cmp_o_f32_e32 vcc_lo, v73, v73
	v_mov_b32_e32 v9, 0x7fc0
	v_lshlrev_b64 v[6:7], 1, v[6:7]
	v_add3_u32 v8, v73, v8, 0x7fff
	v_cndmask_b32_sdwa v8, v9, v8, vcc_lo dst_sel:DWORD dst_unused:UNUSED_PAD src0_sel:DWORD src1_sel:WORD_1
	s_waitcnt lgkmcnt(0)
	v_add_co_u32 v6, vcc_lo, s12, v6
	v_add_co_ci_u32_e64 v7, null, s13, v7, vcc_lo
	global_store_short v[6:7], v8, off
	s_or_b32 exec_lo, exec_lo, s4
	s_and_saveexec_b32 s4, s3
	s_cbranch_execnz .LBB161_34
	s_branch .LBB161_35
.LBB161_72:
	v_add_nc_u32_e32 v6, v5, v0
	v_mov_b32_e32 v7, 0
	v_bfe_u32 v8, v70, 16, 1
	v_cmp_o_f32_e32 vcc_lo, v70, v70
	v_mov_b32_e32 v9, 0x7fc0
	v_lshlrev_b64 v[6:7], 1, v[6:7]
	v_add3_u32 v8, v70, v8, 0x7fff
	v_cndmask_b32_sdwa v8, v9, v8, vcc_lo dst_sel:DWORD dst_unused:UNUSED_PAD src0_sel:DWORD src1_sel:WORD_1
	s_waitcnt lgkmcnt(0)
	v_add_co_u32 v6, vcc_lo, s12, v6
	v_add_co_ci_u32_e64 v7, null, s13, v7, vcc_lo
	global_store_short v[6:7], v8, off
	s_or_b32 exec_lo, exec_lo, s4
	s_and_saveexec_b32 s4, s1
	s_cbranch_execz .LBB161_38
.LBB161_73:
	v_add_nc_u32_e32 v6, v5, v2
	v_mov_b32_e32 v7, 0
	v_bfe_u32 v8, v69, 16, 1
	v_cmp_o_f32_e32 vcc_lo, v69, v69
	v_mov_b32_e32 v9, 0x7fc0
	v_lshlrev_b64 v[6:7], 1, v[6:7]
	v_add3_u32 v8, v69, v8, 0x7fff
	v_cndmask_b32_sdwa v8, v9, v8, vcc_lo dst_sel:DWORD dst_unused:UNUSED_PAD src0_sel:DWORD src1_sel:WORD_1
	s_waitcnt lgkmcnt(0)
	v_add_co_u32 v6, vcc_lo, s12, v6
	v_add_co_ci_u32_e64 v7, null, s13, v7, vcc_lo
	global_store_short v[6:7], v8, off
	s_or_b32 exec_lo, exec_lo, s4
	s_and_saveexec_b32 s4, s2
	s_cbranch_execz .LBB161_39
.LBB161_74:
	v_add_nc_u32_e32 v6, v5, v3
	v_mov_b32_e32 v7, 0
	v_bfe_u32 v8, v68, 16, 1
	v_cmp_o_f32_e32 vcc_lo, v68, v68
	v_mov_b32_e32 v9, 0x7fc0
	v_lshlrev_b64 v[6:7], 1, v[6:7]
	v_add3_u32 v8, v68, v8, 0x7fff
	v_cndmask_b32_sdwa v8, v9, v8, vcc_lo dst_sel:DWORD dst_unused:UNUSED_PAD src0_sel:DWORD src1_sel:WORD_1
	s_waitcnt lgkmcnt(0)
	v_add_co_u32 v6, vcc_lo, s12, v6
	v_add_co_ci_u32_e64 v7, null, s13, v7, vcc_lo
	global_store_short v[6:7], v8, off
	s_or_b32 exec_lo, exec_lo, s4
	s_and_saveexec_b32 s4, s3
	s_cbranch_execnz .LBB161_40
	s_branch .LBB161_41
.LBB161_75:
	v_add_nc_u32_e32 v6, v5, v0
	v_mov_b32_e32 v7, 0
	v_bfe_u32 v8, v66, 16, 1
	v_cmp_o_f32_e32 vcc_lo, v66, v66
	v_mov_b32_e32 v9, 0x7fc0
	v_lshlrev_b64 v[6:7], 1, v[6:7]
	v_add3_u32 v8, v66, v8, 0x7fff
	v_cndmask_b32_sdwa v8, v9, v8, vcc_lo dst_sel:DWORD dst_unused:UNUSED_PAD src0_sel:DWORD src1_sel:WORD_1
	s_waitcnt lgkmcnt(0)
	v_add_co_u32 v6, vcc_lo, s12, v6
	v_add_co_ci_u32_e64 v7, null, s13, v7, vcc_lo
	global_store_short v[6:7], v8, off
	s_or_b32 exec_lo, exec_lo, s4
	s_and_saveexec_b32 s4, s1
	s_cbranch_execz .LBB161_44
.LBB161_76:
	v_add_nc_u32_e32 v6, v5, v2
	v_mov_b32_e32 v7, 0
	v_bfe_u32 v8, v65, 16, 1
	v_cmp_o_f32_e32 vcc_lo, v65, v65
	v_mov_b32_e32 v9, 0x7fc0
	v_lshlrev_b64 v[6:7], 1, v[6:7]
	v_add3_u32 v8, v65, v8, 0x7fff
	v_cndmask_b32_sdwa v8, v9, v8, vcc_lo dst_sel:DWORD dst_unused:UNUSED_PAD src0_sel:DWORD src1_sel:WORD_1
	s_waitcnt lgkmcnt(0)
	v_add_co_u32 v6, vcc_lo, s12, v6
	v_add_co_ci_u32_e64 v7, null, s13, v7, vcc_lo
	global_store_short v[6:7], v8, off
	s_or_b32 exec_lo, exec_lo, s4
	s_and_saveexec_b32 s4, s2
	s_cbranch_execz .LBB161_45
.LBB161_77:
	v_add_nc_u32_e32 v6, v5, v3
	v_mov_b32_e32 v7, 0
	v_bfe_u32 v8, v64, 16, 1
	v_cmp_o_f32_e32 vcc_lo, v64, v64
	v_mov_b32_e32 v9, 0x7fc0
	v_lshlrev_b64 v[6:7], 1, v[6:7]
	v_add3_u32 v8, v64, v8, 0x7fff
	v_cndmask_b32_sdwa v8, v9, v8, vcc_lo dst_sel:DWORD dst_unused:UNUSED_PAD src0_sel:DWORD src1_sel:WORD_1
	s_waitcnt lgkmcnt(0)
	v_add_co_u32 v6, vcc_lo, s12, v6
	v_add_co_ci_u32_e64 v7, null, s13, v7, vcc_lo
	global_store_short v[6:7], v8, off
	s_or_b32 exec_lo, exec_lo, s4
	s_and_saveexec_b32 s4, s3
	s_cbranch_execnz .LBB161_46
	s_branch .LBB161_47
.LBB161_78:
	v_add_nc_u32_e32 v6, v5, v0
	v_mov_b32_e32 v7, 0
	v_bfe_u32 v8, v62, 16, 1
	v_cmp_o_f32_e32 vcc_lo, v62, v62
	v_mov_b32_e32 v9, 0x7fc0
	v_lshlrev_b64 v[6:7], 1, v[6:7]
	v_add3_u32 v8, v62, v8, 0x7fff
	v_cndmask_b32_sdwa v8, v9, v8, vcc_lo dst_sel:DWORD dst_unused:UNUSED_PAD src0_sel:DWORD src1_sel:WORD_1
	s_waitcnt lgkmcnt(0)
	v_add_co_u32 v6, vcc_lo, s12, v6
	v_add_co_ci_u32_e64 v7, null, s13, v7, vcc_lo
	global_store_short v[6:7], v8, off
	s_or_b32 exec_lo, exec_lo, s4
	s_and_saveexec_b32 s4, s1
	s_cbranch_execz .LBB161_50
.LBB161_79:
	v_add_nc_u32_e32 v6, v5, v2
	v_mov_b32_e32 v7, 0
	v_bfe_u32 v8, v61, 16, 1
	v_cmp_o_f32_e32 vcc_lo, v61, v61
	v_mov_b32_e32 v9, 0x7fc0
	v_lshlrev_b64 v[6:7], 1, v[6:7]
	v_add3_u32 v8, v61, v8, 0x7fff
	v_cndmask_b32_sdwa v8, v9, v8, vcc_lo dst_sel:DWORD dst_unused:UNUSED_PAD src0_sel:DWORD src1_sel:WORD_1
	s_waitcnt lgkmcnt(0)
	v_add_co_u32 v6, vcc_lo, s12, v6
	v_add_co_ci_u32_e64 v7, null, s13, v7, vcc_lo
	global_store_short v[6:7], v8, off
	s_or_b32 exec_lo, exec_lo, s4
	s_and_saveexec_b32 s4, s2
	s_cbranch_execz .LBB161_51
.LBB161_80:
	v_add_nc_u32_e32 v6, v5, v3
	v_mov_b32_e32 v7, 0
	v_bfe_u32 v8, v60, 16, 1
	v_cmp_o_f32_e32 vcc_lo, v60, v60
	v_mov_b32_e32 v9, 0x7fc0
	v_lshlrev_b64 v[6:7], 1, v[6:7]
	v_add3_u32 v8, v60, v8, 0x7fff
	v_cndmask_b32_sdwa v8, v9, v8, vcc_lo dst_sel:DWORD dst_unused:UNUSED_PAD src0_sel:DWORD src1_sel:WORD_1
	s_waitcnt lgkmcnt(0)
	v_add_co_u32 v6, vcc_lo, s12, v6
	v_add_co_ci_u32_e64 v7, null, s13, v7, vcc_lo
	global_store_short v[6:7], v8, off
	s_or_b32 exec_lo, exec_lo, s4
	s_and_saveexec_b32 s4, s3
	s_cbranch_execnz .LBB161_52
	s_branch .LBB161_53
.LBB161_81:
	v_add_nc_u32_e32 v6, v5, v0
	v_mov_b32_e32 v7, 0
	v_bfe_u32 v8, v58, 16, 1
	v_cmp_o_f32_e32 vcc_lo, v58, v58
	v_mov_b32_e32 v9, 0x7fc0
	v_lshlrev_b64 v[6:7], 1, v[6:7]
	v_add3_u32 v8, v58, v8, 0x7fff
	v_cndmask_b32_sdwa v8, v9, v8, vcc_lo dst_sel:DWORD dst_unused:UNUSED_PAD src0_sel:DWORD src1_sel:WORD_1
	s_waitcnt lgkmcnt(0)
	v_add_co_u32 v6, vcc_lo, s12, v6
	v_add_co_ci_u32_e64 v7, null, s13, v7, vcc_lo
	global_store_short v[6:7], v8, off
	s_or_b32 exec_lo, exec_lo, s4
	s_and_saveexec_b32 s4, s1
	s_cbranch_execz .LBB161_56
.LBB161_82:
	v_add_nc_u32_e32 v6, v5, v2
	v_mov_b32_e32 v7, 0
	v_bfe_u32 v8, v57, 16, 1
	v_cmp_o_f32_e32 vcc_lo, v57, v57
	v_mov_b32_e32 v9, 0x7fc0
	v_lshlrev_b64 v[6:7], 1, v[6:7]
	v_add3_u32 v8, v57, v8, 0x7fff
	v_cndmask_b32_sdwa v8, v9, v8, vcc_lo dst_sel:DWORD dst_unused:UNUSED_PAD src0_sel:DWORD src1_sel:WORD_1
	s_waitcnt lgkmcnt(0)
	v_add_co_u32 v6, vcc_lo, s12, v6
	v_add_co_ci_u32_e64 v7, null, s13, v7, vcc_lo
	global_store_short v[6:7], v8, off
	s_or_b32 exec_lo, exec_lo, s4
	s_and_saveexec_b32 s4, s2
	s_cbranch_execz .LBB161_57
.LBB161_83:
	v_add_nc_u32_e32 v6, v5, v3
	v_mov_b32_e32 v7, 0
	v_bfe_u32 v8, v56, 16, 1
	v_cmp_o_f32_e32 vcc_lo, v56, v56
	v_mov_b32_e32 v9, 0x7fc0
	v_lshlrev_b64 v[6:7], 1, v[6:7]
	v_add3_u32 v8, v56, v8, 0x7fff
	v_cndmask_b32_sdwa v8, v9, v8, vcc_lo dst_sel:DWORD dst_unused:UNUSED_PAD src0_sel:DWORD src1_sel:WORD_1
	s_waitcnt lgkmcnt(0)
	v_add_co_u32 v6, vcc_lo, s12, v6
	v_add_co_ci_u32_e64 v7, null, s13, v7, vcc_lo
	global_store_short v[6:7], v8, off
	s_or_b32 exec_lo, exec_lo, s4
	s_and_saveexec_b32 s4, s3
	s_cbranch_execnz .LBB161_58
	s_branch .LBB161_59
.LBB161_84:
	v_add_nc_u32_e32 v5, v1, v0
	v_mov_b32_e32 v6, 0
	v_bfe_u32 v7, v54, 16, 1
	v_cmp_o_f32_e32 vcc_lo, v54, v54
	v_mov_b32_e32 v0, 0x7fc0
	v_lshlrev_b64 v[5:6], 1, v[5:6]
	v_add3_u32 v7, v54, v7, 0x7fff
	v_cndmask_b32_sdwa v0, v0, v7, vcc_lo dst_sel:DWORD dst_unused:UNUSED_PAD src0_sel:DWORD src1_sel:WORD_1
	s_waitcnt lgkmcnt(0)
	v_add_co_u32 v5, vcc_lo, s12, v5
	v_add_co_ci_u32_e64 v6, null, s13, v6, vcc_lo
	global_store_short v[5:6], v0, off
	s_or_b32 exec_lo, exec_lo, s4
	s_and_saveexec_b32 s0, s1
	s_cbranch_execz .LBB161_62
.LBB161_85:
	v_add_nc_u32_e32 v5, v1, v2
	v_mov_b32_e32 v6, 0
	v_bfe_u32 v0, v53, 16, 1
	v_cmp_o_f32_e32 vcc_lo, v53, v53
	v_mov_b32_e32 v2, 0x7fc0
	v_lshlrev_b64 v[5:6], 1, v[5:6]
	v_add3_u32 v0, v53, v0, 0x7fff
	v_cndmask_b32_sdwa v0, v2, v0, vcc_lo dst_sel:DWORD dst_unused:UNUSED_PAD src0_sel:DWORD src1_sel:WORD_1
	s_waitcnt lgkmcnt(0)
	v_add_co_u32 v5, vcc_lo, s12, v5
	v_add_co_ci_u32_e64 v6, null, s13, v6, vcc_lo
	global_store_short v[5:6], v0, off
	s_or_b32 exec_lo, exec_lo, s0
	s_and_saveexec_b32 s0, s2
	s_cbranch_execz .LBB161_63
.LBB161_86:
	v_add_nc_u32_e32 v2, v1, v3
	v_mov_b32_e32 v3, 0
	v_bfe_u32 v0, v52, 16, 1
	v_cmp_o_f32_e32 vcc_lo, v52, v52
	v_mov_b32_e32 v5, 0x7fc0
	v_lshlrev_b64 v[2:3], 1, v[2:3]
	v_add3_u32 v0, v52, v0, 0x7fff
	v_cndmask_b32_sdwa v0, v5, v0, vcc_lo dst_sel:DWORD dst_unused:UNUSED_PAD src0_sel:DWORD src1_sel:WORD_1
	s_waitcnt lgkmcnt(0)
	v_add_co_u32 v2, vcc_lo, s12, v2
	v_add_co_ci_u32_e64 v3, null, s13, v3, vcc_lo
	global_store_short v[2:3], v0, off
	s_or_b32 exec_lo, exec_lo, s0
	s_and_b32 exec_lo, exec_lo, s3
	s_cbranch_execnz .LBB161_64
	s_branch .LBB161_65
	.section	.rodata,"a",@progbits
	.p2align	6, 0x0
	.amdhsa_kernel _ZL12mul_mat_q5_0IN3c108BFloat16ELb0EEvPKvS3_PT_iiiii
		.amdhsa_group_segment_fixed_size 46720
		.amdhsa_private_segment_fixed_size 0
		.amdhsa_kernarg_size 44
		.amdhsa_user_sgpr_count 6
		.amdhsa_user_sgpr_private_segment_buffer 1
		.amdhsa_user_sgpr_dispatch_ptr 0
		.amdhsa_user_sgpr_queue_ptr 0
		.amdhsa_user_sgpr_kernarg_segment_ptr 1
		.amdhsa_user_sgpr_dispatch_id 0
		.amdhsa_user_sgpr_flat_scratch_init 0
		.amdhsa_user_sgpr_private_segment_size 0
		.amdhsa_wavefront_size32 1
		.amdhsa_uses_dynamic_stack 0
		.amdhsa_system_sgpr_private_segment_wavefront_offset 0
		.amdhsa_system_sgpr_workgroup_id_x 1
		.amdhsa_system_sgpr_workgroup_id_y 1
		.amdhsa_system_sgpr_workgroup_id_z 0
		.amdhsa_system_sgpr_workgroup_info 0
		.amdhsa_system_vgpr_workitem_id 1
		.amdhsa_next_free_vgpr 200
		.amdhsa_next_free_sgpr 15
		.amdhsa_reserve_vcc 1
		.amdhsa_reserve_flat_scratch 0
		.amdhsa_float_round_mode_32 0
		.amdhsa_float_round_mode_16_64 0
		.amdhsa_float_denorm_mode_32 3
		.amdhsa_float_denorm_mode_16_64 3
		.amdhsa_dx10_clamp 1
		.amdhsa_ieee_mode 1
		.amdhsa_fp16_overflow 0
		.amdhsa_workgroup_processor_mode 1
		.amdhsa_memory_ordered 1
		.amdhsa_forward_progress 1
		.amdhsa_shared_vgpr_count 0
		.amdhsa_exception_fp_ieee_invalid_op 0
		.amdhsa_exception_fp_denorm_src 0
		.amdhsa_exception_fp_ieee_div_zero 0
		.amdhsa_exception_fp_ieee_overflow 0
		.amdhsa_exception_fp_ieee_underflow 0
		.amdhsa_exception_fp_ieee_inexact 0
		.amdhsa_exception_int_div_zero 0
	.end_amdhsa_kernel
	.section	.text._ZL12mul_mat_q5_0IN3c108BFloat16ELb0EEvPKvS3_PT_iiiii,"axG",@progbits,_ZL12mul_mat_q5_0IN3c108BFloat16ELb0EEvPKvS3_PT_iiiii,comdat
.Lfunc_end161:
	.size	_ZL12mul_mat_q5_0IN3c108BFloat16ELb0EEvPKvS3_PT_iiiii, .Lfunc_end161-_ZL12mul_mat_q5_0IN3c108BFloat16ELb0EEvPKvS3_PT_iiiii
                                        ; -- End function
	.set _ZL12mul_mat_q5_0IN3c108BFloat16ELb0EEvPKvS3_PT_iiiii.num_vgpr, 200
	.set _ZL12mul_mat_q5_0IN3c108BFloat16ELb0EEvPKvS3_PT_iiiii.num_agpr, 0
	.set _ZL12mul_mat_q5_0IN3c108BFloat16ELb0EEvPKvS3_PT_iiiii.numbered_sgpr, 15
	.set _ZL12mul_mat_q5_0IN3c108BFloat16ELb0EEvPKvS3_PT_iiiii.num_named_barrier, 0
	.set _ZL12mul_mat_q5_0IN3c108BFloat16ELb0EEvPKvS3_PT_iiiii.private_seg_size, 0
	.set _ZL12mul_mat_q5_0IN3c108BFloat16ELb0EEvPKvS3_PT_iiiii.uses_vcc, 1
	.set _ZL12mul_mat_q5_0IN3c108BFloat16ELb0EEvPKvS3_PT_iiiii.uses_flat_scratch, 0
	.set _ZL12mul_mat_q5_0IN3c108BFloat16ELb0EEvPKvS3_PT_iiiii.has_dyn_sized_stack, 0
	.set _ZL12mul_mat_q5_0IN3c108BFloat16ELb0EEvPKvS3_PT_iiiii.has_recursion, 0
	.set _ZL12mul_mat_q5_0IN3c108BFloat16ELb0EEvPKvS3_PT_iiiii.has_indirect_call, 0
	.section	.AMDGPU.csdata,"",@progbits
; Kernel info:
; codeLenInByte = 17064
; TotalNumSgprs: 17
; NumVgprs: 200
; ScratchSize: 0
; MemoryBound: 0
; FloatMode: 240
; IeeeMode: 1
; LDSByteSize: 46720 bytes/workgroup (compile time only)
; SGPRBlocks: 0
; VGPRBlocks: 24
; NumSGPRsForWavesPerEU: 17
; NumVGPRsForWavesPerEU: 200
; Occupancy: 4
; WaveLimiterHint : 0
; COMPUTE_PGM_RSRC2:SCRATCH_EN: 0
; COMPUTE_PGM_RSRC2:USER_SGPR: 6
; COMPUTE_PGM_RSRC2:TRAP_HANDLER: 0
; COMPUTE_PGM_RSRC2:TGID_X_EN: 1
; COMPUTE_PGM_RSRC2:TGID_Y_EN: 1
; COMPUTE_PGM_RSRC2:TGID_Z_EN: 0
; COMPUTE_PGM_RSRC2:TIDIG_COMP_CNT: 1
	.section	.text._ZL12mul_mat_q5_0IN3c108BFloat16ELb1EEvPKvS3_PT_iiiii,"axG",@progbits,_ZL12mul_mat_q5_0IN3c108BFloat16ELb1EEvPKvS3_PT_iiiii,comdat
	.globl	_ZL12mul_mat_q5_0IN3c108BFloat16ELb1EEvPKvS3_PT_iiiii ; -- Begin function _ZL12mul_mat_q5_0IN3c108BFloat16ELb1EEvPKvS3_PT_iiiii
	.p2align	8
	.type	_ZL12mul_mat_q5_0IN3c108BFloat16ELb1EEvPKvS3_PT_iiiii,@function
_ZL12mul_mat_q5_0IN3c108BFloat16ELb1EEvPKvS3_PT_iiiii: ; @_ZL12mul_mat_q5_0IN3c108BFloat16ELb1EEvPKvS3_PT_iiiii
; %bb.0:
	s_clause 0x1
	s_load_dwordx4 s[8:11], s[4:5], 0x18
	s_load_dword s14, s[4:5], 0x28
	s_lshl_b32 s7, s7, 6
	v_add_nc_u32_e32 v86, s7, v1
	s_waitcnt lgkmcnt(0)
	s_cmp_gt_i32 s8, 31
	s_cbranch_scc1 .LBB162_2
; %bb.1:
	v_add_nc_u32_e32 v2, s7, v1
	s_mov_b32 s0, 0
	s_branch .LBB162_3
.LBB162_2:
	s_mov_b32 s0, -1
                                        ; implicit-def: $vgpr2
.LBB162_3:
	s_load_dwordx2 s[12:13], s[4:5], 0x10
	v_mov_b32_e32 v67, 0
	v_mov_b32_e32 v71, 0
	;; [unrolled: 1-line block ×32, first 2 shown]
	s_andn2_b32 vcc_lo, exec_lo, s0
	s_lshl_b32 s6, s6, 7
	s_cbranch_vccnz .LBB162_14
; %bb.4:
	s_load_dwordx4 s[0:3], s[4:5], 0x0
	s_ashr_i32 s4, s8, 31
	s_ashr_i32 s5, s11, 31
	s_lshr_b32 s4, s4, 27
	s_lshr_b32 s5, s5, 27
	s_add_i32 s4, s8, s4
	s_add_i32 s5, s11, s5
	s_ashr_i32 s4, s4, 5
	s_ashr_i32 s11, s5, 5
	s_mul_i32 s8, s4, s6
	v_add_nc_u32_e32 v17, 8, v1
	s_mul_i32 s5, s8, 22
	s_mul_hi_i32 s8, s8, 22
	v_lshlrev_b32_e32 v3, 3, v0
	v_add_nc_u32_e32 v38, 16, v1
	v_add_nc_u32_e32 v39, 24, v1
	v_add_nc_u32_e32 v40, 32, v1
	v_add_nc_u32_e32 v41, 40, v1
	v_add_nc_u32_e32 v42, 48, v1
	v_add_nc_u32_e32 v43, 56, v1
	s_waitcnt lgkmcnt(0)
	s_add_u32 s5, s0, s5
	s_addc_u32 s8, s1, s8
	s_not_b32 s0, s6
	v_lshrrev_b32_e32 v109, 3, v0
	s_add_i32 s0, s9, s0
	v_and_b32_e32 v116, 7, v0
	v_min_i32_e32 v4, s0, v1
	v_min_i32_e32 v5, s0, v17
	;; [unrolled: 1-line block ×3, first 2 shown]
	v_lshl_add_u32 v44, v1, 2, v109
	v_add_nc_u32_e32 v9, 16, v86
	v_mad_u64_u32 v[18:19], null, 0x104, v4, v[3:4]
	v_mul_lo_u32 v95, v4, s4
	v_mad_u64_u32 v[19:20], null, 0x104, v5, v[3:4]
	v_min_i32_e32 v4, s0, v39
	v_mul_lo_u32 v96, v5, s4
	v_min_i32_e32 v5, s0, v40
	v_mul_lo_u32 v97, v6, s4
	v_min_i32_e32 v45, s0, v44
	v_mad_u64_u32 v[20:21], null, 0x104, v6, v[3:4]
	v_mul_lo_u32 v99, v4, s4
	v_mad_u64_u32 v[21:22], null, 0x104, v4, v[3:4]
	v_min_i32_e32 v4, s0, v41
	v_mul_lo_u32 v100, v5, s4
	v_add_nc_u32_e32 v6, 64, v1
	v_ashrrev_i32_e32 v7, 31, v45
	v_add_nc_u32_e32 v11, 24, v86
	v_mad_u64_u32 v[22:23], null, 0x104, v5, v[3:4]
	v_mul_lo_u32 v101, v4, s4
	v_min_i32_e32 v5, s0, v42
	v_mad_u64_u32 v[23:24], null, 0x104, v4, v[3:4]
	v_min_i32_e32 v4, s0, v43
	v_add_nc_u32_e32 v13, 32, v86
	v_mul_lo_u32 v102, v5, s4
	v_add_nc_u32_e32 v15, 40, v86
	s_add_i32 s1, s10, -1
	v_mad_u64_u32 v[24:25], null, 0x104, v5, v[3:4]
	v_mul_lo_u32 v103, v4, s4
	v_min_i32_e32 v5, s0, v6
	v_add_nc_u32_e32 v6, 0x48, v1
	v_mad_u64_u32 v[25:26], null, 0x104, v4, v[3:4]
	v_add_nc_u32_e32 v4, 0x50, v1
	v_mul_lo_u32 v105, v5, s4
	v_min_i32_e32 v6, s0, v6
	v_lshlrev_b32_e32 v47, 2, v116
	v_add_nc_u32_e32 v36, 64, v44
	v_mad_u64_u32 v[26:27], null, 0x104, v5, v[3:4]
	v_min_i32_e32 v4, s0, v4
	v_add_nc_u32_e32 v5, 0x58, v1
	v_mul_lo_u32 v106, v6, s4
	v_cvt_f64_u32_e32 v[9:10], v9
	v_cvt_f64_u32_e32 v[11:12], v11
	v_mad_u64_u32 v[27:28], null, 0x104, v6, v[3:4]
	v_add_nc_u32_e32 v6, 0x60, v1
	v_mul_lo_u32 v107, v4, s4
	v_min_i32_e32 v5, s0, v5
	v_mad_u64_u32 v[28:29], null, 0x104, v4, v[3:4]
	v_min_i32_e32 v4, s0, v6
	v_add_nc_u32_e32 v6, 0x68, v1
	v_mul_lo_u32 v110, v5, s4
	v_add_nc_u32_e32 v35, 48, v86
	v_cvt_f64_u32_e32 v[13:14], v13
	v_mad_u64_u32 v[29:30], null, 0x104, v5, v[3:4]
	v_min_i32_e32 v5, s0, v6
	v_add_nc_u32_e32 v6, 0x70, v1
	v_mul_lo_u32 v111, v4, s4
	v_mad_u64_u32 v[30:31], null, 0x104, v4, v[3:4]
	v_mul_lo_u32 v113, v5, s4
	v_min_i32_e32 v4, s0, v6
	v_add_nc_u32_e32 v6, 0x78, v1
	v_add_nc_u32_e32 v37, 56, v86
	v_cvt_f64_u32_e32 v[15:16], v15
	v_min_i32_e32 v50, s0, v36
	v_mad_u64_u32 v[31:32], null, 0x104, v5, v[3:4]
	v_min_i32_e32 v5, s0, v6
	v_lshrrev_b32_e32 v6, 30, v7
	v_add_nc_u32_e32 v7, 32, v44
	v_mul_lo_u32 v114, v4, s4
	v_mad_u64_u32 v[32:33], null, 0x104, v4, v[3:4]
	v_add_nc_u32_e32 v4, v45, v6
	v_min_i32_e32 v46, s0, v7
	v_add_nc_u32_e32 v7, 8, v86
	v_mul_lo_u32 v115, v5, s4
	v_cvt_f64_u32_e32 v[36:37], v37
	v_mad_u64_u32 v[33:34], null, 0x104, v5, v[3:4]
	v_and_b32_e32 v34, -4, v4
	v_cvt_f64_i32_e32 v[3:4], s1
	v_cvt_f64_u32_e32 v[5:6], v86
	v_cvt_f64_u32_e32 v[7:8], v7
	v_ashrrev_i32_e32 v51, 31, v50
	v_add3_u32 v49, v34, v47, 0xa200
	v_cvt_f64_u32_e32 v[34:35], v35
	v_ashrrev_i32_e32 v48, 31, v46
	v_lshrrev_b32_e32 v92, 2, v0
	v_lshrrev_b32_e32 v51, 30, v51
	v_add_nc_u32_e32 v44, 0x60, v44
	v_mul_lo_u32 v121, v46, s4
	v_lshrrev_b32_e32 v48, 30, v48
	v_and_b32_e32 v2, 3, v0
	v_add_nc_u32_e32 v51, v50, v51
	v_min_i32_e32 v44, s0, v44
	v_mul_lo_u32 v117, v45, s4
	v_add_nc_u32_e32 v48, v46, v48
	v_lshlrev_b32_e32 v94, 2, v2
	v_and_b32_e32 v51, -4, v51
	v_ashrrev_i32_e32 v52, 31, v44
	v_lshlrev_b32_e32 v45, 5, v45
	v_and_b32_e32 v48, -4, v48
	v_min_f64 v[9:10], v[9:10], v[3:4]
	v_min_f64 v[5:6], v[5:6], v[3:4]
	;; [unrolled: 1-line block ×8, first 2 shown]
	v_lshlrev_b32_e32 v37, 5, v46
	v_add3_u32 v46, v51, v47, 0xa200
	v_lshl_add_u32 v51, v1, 3, v92
	v_lshrrev_b32_e32 v52, 30, v52
	v_add3_u32 v48, v48, v47, 0xa200
	v_mul_lo_u32 v122, v50, s4
	v_lshlrev_b32_e32 v50, 5, v50
	v_lshlrev_b32_e32 v127, 7, v1
	v_add_nc_u32_e32 v36, v44, v52
	v_mul_lo_u32 v123, v44, s4
	v_mov_b32_e32 v88, 0
	v_mul_u32_u24_e32 v135, 0x104, v0
	v_lshl_add_u32 v141, v1, 4, 0xb280
	v_and_b32_e32 v36, -4, v36
	v_add_nc_u32_e32 v142, 0x8200, v127
	v_cvt_i32_f64_e32 v5, v[5:6]
	v_cvt_i32_f64_e32 v6, v[7:8]
	v_cvt_i32_f64_e32 v8, v[9:10]
	v_cvt_i32_f64_e32 v10, v[11:12]
	v_cvt_i32_f64_e32 v12, v[13:14]
	v_cvt_i32_f64_e32 v14, v[15:16]
	v_cvt_i32_f64_e32 v16, v[34:35]
	v_cvt_i32_f64_e32 v3, v[3:4]
	v_and_b32_e32 v7, 63, v51
	v_lshlrev_b32_e32 v15, 2, v0
	v_and_b32_e32 v34, 31, v0
	v_add3_u32 v9, v36, v47, 0xa200
	v_lshlrev_b32_e32 v11, 5, v44
	v_or_b32_e32 v13, s7, v7
	v_lshl_or_b32 v7, v7, 4, v94
	v_lshl_or_b32 v124, v34, 2, 0x8200
	v_add_nc_u32_e32 v148, v49, v45
	v_add_nc_u32_e32 v149, v48, v37
	v_min_i32_e32 v4, s1, v13
	v_and_b32_e32 v13, 28, v15
	v_lshlrev_b32_e32 v15, 5, v0
	v_add_nc_u32_e32 v125, 0xb280, v7
	v_mul_lo_u32 v126, s11, v5
	v_mul_lo_u32 v128, s11, v6
	;; [unrolled: 1-line block ×6, first 2 shown]
	v_add_nc_u32_e32 v10, 0x60, v0
	v_add_nc_u32_e32 v12, 64, v0
	;; [unrolled: 1-line block ×3, first 2 shown]
	v_mad_u64_u32 v[34:35], null, v4, s11, v[2:3]
	v_lshlrev_b32_e32 v2, 7, v17
	v_mul_lo_u32 v133, s11, v16
	v_and_b32_e32 v10, 0x1fc, v10
	v_and_b32_e32 v12, 0x1fc, v12
	;; [unrolled: 1-line block ×4, first 2 shown]
	v_lshlrev_b32_e32 v4, 7, v38
	v_lshlrev_b32_e32 v5, 7, v39
	;; [unrolled: 1-line block ×5, first 2 shown]
	v_mul_lo_u32 v134, s11, v3
	v_lshlrev_b32_e32 v3, 7, v43
	v_lshrrev_b32_e32 v136, 3, v14
	v_add_nc_u32_e32 v10, v15, v10
	v_add_nc_u32_e32 v12, v15, v12
	;; [unrolled: 1-line block ×4, first 2 shown]
	v_add_co_u32 v35, s0, s2, v13
	v_add_co_ci_u32_e64 v36, null, s3, 0, s0
	s_movk_i32 s0, 0x80
	v_add_nc_u32_e32 v137, 0xae00, v10
	v_add_nc_u32_e32 v138, 0xaa00, v12
	;; [unrolled: 1-line block ×8, first 2 shown]
	v_mad_u32_u24 v147, 0x104, v0, s0
	v_add_nc_u32_e32 v150, v46, v50
	v_add_nc_u32_e32 v151, v9, v11
	;; [unrolled: 1-line block ×9, first 2 shown]
	v_mov_b32_e32 v112, 0
	v_mov_b32_e32 v93, 0
	;; [unrolled: 1-line block ×31, first 2 shown]
	s_add_i32 s9, s4, 3
	s_mov_b32 s11, 0
	s_branch .LBB162_6
.LBB162_5:                              ;   in Loop: Header=BB162_6 Depth=1
	s_add_i32 s11, s11, 8
	s_add_i32 s9, s9, -8
	s_cmp_ge_i32 s11, s4
	s_cbranch_scc1 .LBB162_13
.LBB162_6:                              ; =>This Loop Header: Depth=1
                                        ;     Child Loop BB162_8 Depth 2
                                        ;     Child Loop BB162_11 Depth 2
	s_mul_i32 s0, s11, 22
	s_mul_hi_u32 s1, s11, 22
	s_add_u32 s0, s5, s0
	s_addc_u32 s1, s8, s1
	s_cmp_gt_u32 s9, 3
	v_mad_u64_u32 v[2:3], null, v92, 22, s[0:1]
	v_mad_i64_i32 v[4:5], null, v95, 22, v[2:3]
	v_mad_i64_i32 v[6:7], null, v96, 22, v[2:3]
	;; [unrolled: 1-line block ×4, first 2 shown]
	v_add_co_u32 v8, vcc_lo, v4, v94
	v_add_co_ci_u32_e64 v9, null, 0, v5, vcc_lo
	v_add_co_u32 v10, vcc_lo, v6, v94
	v_add_co_ci_u32_e64 v11, null, 0, v7, vcc_lo
	;; [unrolled: 2-line block ×4, first 2 shown]
	s_clause 0x7
	global_load_dword v12, v[8:9], off offset:6
	global_load_dword v10, v[10:11], off offset:6
	;; [unrolled: 1-line block ×8, first 2 shown]
	v_mad_i64_i32 v[16:17], null, v100, 22, v[2:3]
	v_mad_i64_i32 v[37:38], null, v101, 22, v[2:3]
	;; [unrolled: 1-line block ×4, first 2 shown]
	v_add_co_u32 v43, vcc_lo, v16, v94
	v_add_co_ci_u32_e64 v44, null, 0, v17, vcc_lo
	v_add_co_u32 v45, vcc_lo, v37, v94
	v_add_co_ci_u32_e64 v46, null, 0, v38, vcc_lo
	s_clause 0x5
	global_load_dword v5, v[41:42], off offset:2
	global_load_dword v7, v[39:40], off offset:2
	;; [unrolled: 1-line block ×6, first 2 shown]
	v_add_co_u32 v16, vcc_lo, v39, v94
	v_add_co_ci_u32_e64 v17, null, 0, v40, vcc_lo
	v_add_co_u32 v37, vcc_lo, v41, v94
	v_add_co_ci_u32_e64 v38, null, 0, v42, vcc_lo
	s_clause 0x1
	global_load_dword v6, v[16:17], off offset:6
	global_load_dword v4, v[37:38], off offset:6
	v_mad_i64_i32 v[37:38], null, v105, 22, v[2:3]
	v_mad_i64_i32 v[39:40], null, v106, 22, v[2:3]
	;; [unrolled: 1-line block ×8, first 2 shown]
	v_add_co_u32 v2, vcc_lo, v37, v94
	v_add_co_ci_u32_e64 v3, null, 0, v38, vcc_lo
	v_add_co_u32 v16, vcc_lo, v39, v94
	v_add_co_ci_u32_e64 v17, null, 0, v40, vcc_lo
	;; [unrolled: 2-line block ×4, first 2 shown]
	s_clause 0x7
	global_load_dword v63, v[2:3], off offset:6
	global_load_dword v64, v[16:17], off offset:6
	;; [unrolled: 1-line block ×8, first 2 shown]
	v_add_co_u32 v57, vcc_lo, v45, v94
	v_add_co_ci_u32_e64 v58, null, 0, v46, vcc_lo
	s_waitcnt vmcnt(23)
	v_and_b32_e32 v38, 0xf0f0f0f, v12
	v_lshrrev_b32_e32 v12, 4, v12
	s_waitcnt vmcnt(22)
	v_and_b32_e32 v40, 0xf0f0f0f, v10
	v_lshrrev_b32_e32 v10, 4, v10
	s_waitcnt vmcnt(19)
	v_ashrrev_i32_e32 v11, v94, v11
	s_waitcnt vmcnt(18)
	v_ashrrev_i32_e32 v13, v94, v13
	;; [unrolled: 2-line block ×4, first 2 shown]
	v_and_b32_e32 v41, 0xf0f0f0f, v8
	v_lshrrev_b32_e32 v8, 4, v8
	v_lshlrev_b32_e32 v167, 4, v13
	v_lshlrev_b32_e32 v160, 4, v14
	v_lshrrev_b32_e32 v65, 12, v15
	v_lshrrev_b32_e32 v66, 5, v15
	v_lshlrev_b32_e32 v159, 2, v15
	v_lshlrev_b32_e32 v161, 11, v14
	;; [unrolled: 1-line block ×4, first 2 shown]
	v_lshrrev_b32_e32 v164, 12, v14
	v_lshrrev_b32_e32 v165, 5, v14
	v_lshlrev_b32_e32 v166, 2, v14
	s_waitcnt vmcnt(13)
	v_ashrrev_i32_e32 v54, v94, v59
	s_waitcnt vmcnt(12)
	v_ashrrev_i32_e32 v43, v94, v60
	s_waitcnt vmcnt(11)
	v_and_b32_e32 v44, 0xf0f0f0f, v61
	v_lshrrev_b32_e32 v53, 4, v61
	s_waitcnt vmcnt(10)
	v_and_b32_e32 v55, 0xf0f0f0f, v62
	v_lshrrev_b32_e32 v56, 4, v62
	v_lshlrev_b32_e32 v59, 4, v15
	v_lshlrev_b32_e32 v60, 11, v15
	;; [unrolled: 1-line block ×9, first 2 shown]
	v_lshrrev_b32_e32 v171, 12, v13
	v_lshrrev_b32_e32 v172, 5, v13
	v_lshlrev_b32_e32 v173, 2, v13
	v_lshlrev_b32_e32 v13, 9, v13
	;; [unrolled: 1-line block ×4, first 2 shown]
	v_and_b32_e32 v42, 0xf0f0f0f, v9
	v_lshrrev_b32_e32 v9, 4, v9
	v_lshlrev_b32_e32 v176, 18, v11
	v_lshlrev_b32_e32 v177, 25, v11
	v_lshrrev_b32_e32 v178, 12, v11
	v_lshrrev_b32_e32 v179, 5, v11
	v_lshlrev_b32_e32 v180, 2, v11
	v_lshlrev_b32_e32 v11, 9, v11
	;; [unrolled: 1-line block ×4, first 2 shown]
	v_and_b32_e32 v12, 0xf0f0f0f, v12
	v_lshlrev_b32_e32 v188, 4, v54
	v_lshlrev_b32_e32 v189, 11, v54
	;; [unrolled: 1-line block ×4, first 2 shown]
	v_lshrrev_b32_e32 v192, 12, v54
	v_lshrrev_b32_e32 v193, 5, v54
	v_lshlrev_b32_e32 v194, 2, v54
	v_lshlrev_b32_e32 v54, 9, v54
	v_and_b32_e32 v59, 16, v59
	v_and_b32_e32 v60, 0x1000, v60
	;; [unrolled: 1-line block ×25, first 2 shown]
	v_lshlrev_b32_e32 v183, 18, v43
	v_lshlrev_b32_e32 v184, 25, v43
	v_lshrrev_b32_e32 v185, 12, v43
	v_lshrrev_b32_e32 v186, 5, v43
	v_lshlrev_b32_e32 v187, 2, v43
	v_lshlrev_b32_e32 v43, 9, v43
	v_and_b32_e32 v178, 16, v178
	v_and_b32_e32 v179, 0x1000, v179
	v_and_b32_e32 v180, 0x100000, v180
	v_and_b32_e32 v11, 0x10000000, v11
	v_and_b32_e32 v181, 16, v181
	v_and_b32_e32 v182, 0x1000, v182
	v_and_b32_e32 v56, 0xf0f0f0f, v56
	v_and_b32_e32 v192, 16, v192
	v_and_b32_e32 v193, 0x1000, v193
	v_and_b32_e32 v194, 0x100000, v194
	v_and_b32_e32 v54, 0x10000000, v54
	v_or3_b32 v59, v59, v38, v60
	v_or3_b32 v38, v38, v61, v62
	;; [unrolled: 1-line block ×3, first 2 shown]
	v_and_b32_e32 v162, 0x100000, v162
	v_and_b32_e32 v163, 0x10000000, v163
	v_or3_b32 v12, v12, v159, v15
	v_or3_b32 v15, v160, v40, v161
	v_and_b32_e32 v169, 0x100000, v169
	v_and_b32_e32 v170, 0x10000000, v170
	v_or3_b32 v61, v164, v10, v165
	v_or3_b32 v10, v10, v166, v14
	;; [unrolled: 1-line block ×3, first 2 shown]
	v_and_b32_e32 v176, 0x100000, v176
	v_and_b32_e32 v177, 0x10000000, v177
	v_or3_b32 v62, v171, v8, v172
	v_or3_b32 v8, v8, v173, v13
	;; [unrolled: 1-line block ×3, first 2 shown]
	v_and_b32_e32 v53, 0xf0f0f0f, v53
	v_and_b32_e32 v183, 0x100000, v183
	;; [unrolled: 1-line block ×5, first 2 shown]
	v_or3_b32 v65, v178, v9, v179
	v_or3_b32 v9, v9, v180, v11
	v_or3_b32 v11, v181, v44, v182
	v_or3_b32 v159, v192, v56, v193
	v_or3_b32 v54, v56, v194, v54
	v_lshrrev_b32_e32 v38, 16, v38
	v_and_b32_e32 v56, 0x1f00, v59
	v_lshlrev_b16 v59, 8, v59
	v_and_b32_e32 v160, 0x1f00, v60
	v_lshlrev_b16 v60, 8, v60
	v_or3_b32 v40, v40, v162, v163
	v_and_b32_e32 v161, 0x1f00, v15
	v_lshlrev_b16 v15, 8, v15
	v_or3_b32 v41, v41, v169, v170
	;; [unrolled: 3-line block ×3, first 2 shown]
	v_and_b32_e32 v165, 0x1f00, v13
	v_lshlrev_b16 v13, 8, v13
	v_and_b32_e32 v185, 16, v185
	v_and_b32_e32 v186, 0x1000, v186
	v_or3_b32 v44, v44, v183, v184
	v_or3_b32 v43, v53, v187, v43
	v_and_b32_e32 v167, 0x1f00, v11
	v_lshlrev_b16 v11, 8, v11
	v_lshrrev_b32_e32 v12, 16, v12
	v_add_nc_u16 v56, 0xf000, v56
	v_add_nc_u16 v59, 0xf000, v59
	v_and_b32_e32 v170, 0x1f00, v38
	v_lshlrev_b16 v38, 8, v38
	v_add_nc_u16 v60, 0xf000, v60
	v_lshrrev_b32_e32 v40, 16, v40
	v_lshrrev_b32_e32 v10, 16, v10
	v_add_nc_u16 v15, 0xf000, v15
	v_and_b32_e32 v162, 0x1f00, v61
	v_lshlrev_b16 v61, 8, v61
	v_lshrrev_b32_e32 v41, 16, v41
	v_lshrrev_b32_e32 v8, 16, v8
	v_add_nc_u16 v14, 0xf000, v14
	v_and_b32_e32 v164, 0x1f00, v62
	v_lshlrev_b16 v62, 8, v62
	v_lshrrev_b32_e32 v42, 16, v42
	v_lshrrev_b32_e32 v9, 16, v9
	v_add_nc_u16 v13, 0xf000, v13
	v_or3_b32 v66, v185, v53, v186
	v_and_b32_e32 v166, 0x1f00, v65
	v_lshlrev_b16 v65, 8, v65
	v_lshrrev_b32_e32 v44, 16, v44
	v_lshrrev_b32_e32 v43, 16, v43
	v_add_nc_u16 v11, 0xf000, v11
	v_and_b32_e32 v171, 0x1f00, v12
	v_lshlrev_b16 v12, 8, v12
	v_perm_b32 v56, v59, v56, 0xc0c0105
	v_add_nc_u16 v59, 0xf000, v170
	v_add_nc_u16 v38, 0xf000, v38
	v_or_b32_sdwa v60, v160, v60 dst_sel:DWORD dst_unused:UNUSED_PAD src0_sel:DWORD src1_sel:BYTE_1
	v_and_b32_e32 v172, 0x1f00, v40
	v_lshlrev_b16 v40, 8, v40
	v_and_b32_e32 v173, 0x1f00, v10
	v_lshlrev_b16 v10, 8, v10
	v_or_b32_sdwa v15, v161, v15 dst_sel:DWORD dst_unused:UNUSED_PAD src0_sel:DWORD src1_sel:BYTE_1
	v_add_nc_u16 v162, 0xf000, v162
	v_add_nc_u16 v61, 0xf000, v61
	v_and_b32_e32 v174, 0x1f00, v41
	v_lshlrev_b16 v41, 8, v41
	v_and_b32_e32 v175, 0x1f00, v8
	v_lshlrev_b16 v8, 8, v8
	v_or_b32_sdwa v14, v163, v14 dst_sel:DWORD dst_unused:UNUSED_PAD src0_sel:DWORD src1_sel:BYTE_1
	v_add_nc_u16 v164, 0xf000, v164
	v_add_nc_u16 v62, 0xf000, v62
	v_and_b32_e32 v176, 0x1f00, v42
	v_lshlrev_b16 v42, 8, v42
	v_and_b32_e32 v177, 0x1f00, v9
	v_lshlrev_b16 v9, 8, v9
	v_or_b32_sdwa v13, v165, v13 dst_sel:DWORD dst_unused:UNUSED_PAD src0_sel:DWORD src1_sel:BYTE_1
	v_and_b32_e32 v168, 0x1f00, v66
	v_lshlrev_b16 v66, 8, v66
	v_add_nc_u16 v166, 0xf000, v166
	v_add_nc_u16 v65, 0xf000, v65
	v_and_b32_e32 v178, 0x1f00, v44
	v_lshlrev_b16 v44, 8, v44
	v_and_b32_e32 v179, 0x1f00, v43
	v_lshlrev_b16 v43, 8, v43
	v_or_b32_sdwa v11, v167, v11 dst_sel:DWORD dst_unused:UNUSED_PAD src0_sel:DWORD src1_sel:BYTE_1
	v_add_nc_u16 v170, 0xf000, v171
	v_add_nc_u16 v12, 0xf000, v12
	v_perm_b32 v38, v38, v59, 0xc0c0105
	v_add_nc_u16 v59, 0xf000, v60
	v_add_nc_u16 v160, 0xf000, v172
	;; [unrolled: 1-line block ×6, first 2 shown]
	v_perm_b32 v61, v61, v162, 0xc0c0105
	v_add_nc_u16 v162, 0xf000, v174
	v_add_nc_u16 v41, 0xf000, v41
	;; [unrolled: 1-line block ×5, first 2 shown]
	v_perm_b32 v62, v62, v164, 0xc0c0105
	v_add_nc_u16 v164, 0xf000, v176
	v_add_nc_u16 v42, 0xf000, v42
	;; [unrolled: 1-line block ×7, first 2 shown]
	v_perm_b32 v65, v65, v166, 0xc0c0105
	v_add_nc_u16 v166, 0xf000, v178
	v_add_nc_u16 v44, 0xf000, v44
	;; [unrolled: 1-line block ×5, first 2 shown]
	v_perm_b32 v12, v12, v170, 0xc0c0105
	v_lshl_or_b32 v38, v38, 16, v56
	v_and_b32_e32 v56, 0xffff, v59
	v_perm_b32 v40, v40, v160, 0xc0c0105
	v_perm_b32 v10, v10, v161, 0xc0c0105
	v_and_b32_e32 v15, 0xffff, v15
	v_perm_b32 v41, v41, v162, 0xc0c0105
	v_perm_b32 v8, v8, v163, 0xc0c0105
	;; [unrolled: 3-line block ×4, first 2 shown]
	v_perm_b32 v43, v43, v167, 0xc0c0105
	v_and_b32_e32 v11, 0xffff, v11
	v_lshl_or_b32 v12, v12, 16, v56
	v_lshl_or_b32 v10, v10, 16, v61
	;; [unrolled: 1-line block ×9, first 2 shown]
	ds_write2_b32 v18, v38, v12 offset1:1
	ds_write2_b32 v19, v15, v10 offset1:1
	;; [unrolled: 1-line block ×5, first 2 shown]
	v_add_co_u32 v8, vcc_lo, v47, v94
	v_add_co_ci_u32_e64 v9, null, 0, v48, vcc_lo
	v_add_co_u32 v10, vcc_lo, v49, v94
	v_add_co_ci_u32_e64 v11, null, 0, v50, vcc_lo
	v_add_co_u32 v12, vcc_lo, v51, v94
	v_add_co_ci_u32_e64 v13, null, 0, v52, vcc_lo
	s_clause 0x7
	global_load_dword v15, v[57:58], off offset:6
	global_load_dword v38, v[8:9], off offset:6
	;; [unrolled: 1-line block ×8, first 2 shown]
	v_and_b32_e32 v188, 16, v188
	v_and_b32_e32 v189, 0x1000, v189
	;; [unrolled: 1-line block ×4, first 2 shown]
	v_lshlrev_b16 v14, 8, v159
	v_and_b32_e32 v13, 0x1f00, v159
	v_or3_b32 v53, v188, v55, v189
	v_ashrrev_i32_e32 v7, v94, v7
	v_or3_b32 v55, v55, v190, v191
	v_add_nc_u16 v14, 0xf000, v14
	v_lshrrev_b32_e32 v12, 16, v54
	s_waitcnt vmcnt(17)
	v_and_b32_e32 v47, 0xf0f0f0f, v6
	v_lshlrev_b32_e32 v44, 18, v7
	v_lshrrev_b32_e32 v55, 16, v55
	v_or_b32_sdwa v13, v13, v14 dst_sel:DWORD dst_unused:UNUSED_PAD src0_sel:DWORD src1_sel:BYTE_1
	v_lshlrev_b32_e32 v14, 4, v7
	v_lshlrev_b32_e32 v45, 25, v7
	;; [unrolled: 1-line block ×3, first 2 shown]
	v_and_b32_e32 v180, 0x1f00, v55
	v_lshlrev_b16 v55, 8, v55
	v_and_b32_e32 v14, 16, v14
	v_and_b32_e32 v44, 0x100000, v44
	;; [unrolled: 1-line block ×3, first 2 shown]
	v_add_nc_u16 v10, 0xf000, v180
	v_add_nc_u16 v11, 0xf000, v55
	v_and_b32_e32 v46, 0x1000, v46
	v_add_nc_u16 v13, 0xf000, v13
	v_or3_b32 v44, v47, v44, v45
	v_lshrrev_b32_e32 v6, 4, v6
	v_perm_b32 v10, v11, v10, 0xc0c0105
	v_and_b32_e32 v11, 0x1f00, v12
	v_lshlrev_b16 v12, 8, v12
	v_or3_b32 v14, v14, v47, v46
	v_lshrrev_b32_e32 v45, 12, v7
	v_lshrrev_b32_e32 v46, 5, v7
	v_add_nc_u16 v11, 0xf000, v11
	v_add_nc_u16 v12, 0xf000, v12
	v_lshlrev_b32_e32 v47, 2, v7
	v_lshlrev_b32_e32 v7, 9, v7
	v_and_b32_e32 v6, 0xf0f0f0f, v6
	v_and_b32_e32 v45, 16, v45
	v_perm_b32 v11, v12, v11, 0xc0c0105
	v_and_b32_e32 v12, 0xffff, v13
	v_lshrrev_b32_e32 v13, 16, v44
	v_and_b32_e32 v44, 0x1f00, v14
	v_lshlrev_b16 v14, 8, v14
	v_and_b32_e32 v46, 0x1000, v46
	v_and_b32_e32 v47, 0x100000, v47
	;; [unrolled: 1-line block ×3, first 2 shown]
	v_add_nc_u16 v44, 0xf000, v44
	v_add_nc_u16 v14, 0xf000, v14
	v_or3_b32 v45, v45, v6, v46
	v_lshl_or_b32 v11, v11, 16, v12
	v_or3_b32 v6, v6, v47, v7
	v_and_b32_e32 v169, 0x1f00, v53
	v_perm_b32 v12, v14, v44, 0xc0c0105
	v_lshlrev_b16 v14, 8, v45
	v_lshlrev_b16 v53, 8, v53
	v_and_b32_e32 v7, 0x1f00, v13
	v_lshlrev_b16 v13, 8, v13
	v_lshrrev_b32_e32 v6, 16, v6
	v_and_b32_e32 v44, 0x1f00, v45
	v_add_nc_u16 v14, 0xf000, v14
	v_add_nc_u16 v169, 0xf000, v169
	;; [unrolled: 1-line block ×5, first 2 shown]
	v_and_b32_e32 v45, 0x1f00, v6
	v_ashrrev_i32_e32 v5, v94, v5
	v_lshlrev_b16 v6, 8, v6
	v_or_b32_sdwa v14, v44, v14 dst_sel:DWORD dst_unused:UNUSED_PAD src0_sel:DWORD src1_sel:BYTE_1
	v_perm_b32 v53, v53, v169, 0xc0c0105
	v_perm_b32 v7, v13, v7, 0xc0c0105
	v_add_nc_u16 v13, 0xf000, v45
	v_lshlrev_b32_e32 v44, 4, v5
	v_add_nc_u16 v6, 0xf000, v6
	v_add_nc_u16 v14, 0xf000, v14
	v_lshlrev_b32_e32 v45, 11, v5
	v_lshlrev_b32_e32 v47, 18, v5
	;; [unrolled: 1-line block ×3, first 2 shown]
	v_lshl_or_b32 v10, v10, 16, v53
	s_waitcnt vmcnt(16)
	v_and_b32_e32 v46, 0xf0f0f0f, v4
	v_and_b32_e32 v44, 16, v44
	;; [unrolled: 1-line block ×3, first 2 shown]
	v_perm_b32 v6, v6, v13, 0xc0c0105
	v_and_b32_e32 v13, 0xffff, v14
	v_and_b32_e32 v14, 0x100000, v47
	v_and_b32_e32 v47, 0x10000000, v48
	v_or3_b32 v44, v44, v46, v45
	ds_write2_b32 v23, v10, v11 offset1:1
	v_lshl_or_b32 v7, v7, 16, v12
	v_lshl_or_b32 v6, v6, 16, v13
	v_or3_b32 v10, v46, v14, v47
	v_lshrrev_b32_e32 v4, 4, v4
	v_lshlrev_b32_e32 v12, 2, v5
	v_lshlrev_b32_e32 v13, 9, v5
	v_and_b32_e32 v11, 0x1f00, v44
	v_lshrrev_b32_e32 v10, 16, v10
	v_and_b32_e32 v4, 0xf0f0f0f, v4
	v_and_b32_e32 v12, 0x100000, v12
	;; [unrolled: 1-line block ×3, first 2 shown]
	v_lshlrev_b16 v14, 8, v44
	v_lshrrev_b32_e32 v44, 12, v5
	v_lshrrev_b32_e32 v5, 5, v5
	v_add_nc_u16 v11, 0xf000, v11
	v_and_b32_e32 v45, 0x1f00, v10
	v_or3_b32 v12, v4, v12, v13
	v_lshlrev_b16 v10, 8, v10
	v_and_b32_e32 v13, 16, v44
	v_and_b32_e32 v5, 0x1000, v5
	v_add_nc_u16 v14, 0xf000, v14
	v_add_nc_u16 v44, 0xf000, v45
	v_add_nc_u16 v10, 0xf000, v10
	ds_write2_b32 v24, v7, v6 offset1:1
	v_or3_b32 v4, v13, v4, v5
	v_perm_b32 v6, v14, v11, 0xc0c0105
	s_waitcnt vmcnt(8)
	v_ashrrev_i32_e32 v11, v94, v37
	v_perm_b32 v7, v10, v44, 0xc0c0105
	v_and_b32_e32 v45, 0xf0f0f0f, v63
	v_lshlrev_b16 v10, 8, v4
	v_and_b32_e32 v4, 0x1f00, v4
	v_lshlrev_b32_e32 v13, 4, v11
	v_lshlrev_b32_e32 v14, 18, v11
	;; [unrolled: 1-line block ×4, first 2 shown]
	v_add_nc_u16 v10, 0xf000, v10
	v_and_b32_e32 v13, 16, v13
	v_and_b32_e32 v14, 0x100000, v14
	;; [unrolled: 1-line block ×4, first 2 shown]
	v_lshrrev_b32_e32 v12, 16, v12
	v_or_b32_sdwa v4, v4, v10 dst_sel:DWORD dst_unused:UNUSED_PAD src0_sel:DWORD src1_sel:BYTE_1
	v_lshl_or_b32 v46, v7, 16, v6
	v_or3_b32 v6, v45, v14, v37
	v_or3_b32 v7, v13, v45, v44
	v_lshrrev_b32_e32 v10, 4, v63
	v_lshlrev_b32_e32 v13, 2, v11
	v_lshlrev_b32_e32 v14, 9, v11
	v_lshrrev_b32_e32 v37, 12, v11
	v_lshrrev_b32_e32 v11, 5, v11
	v_and_b32_e32 v5, 0x1f00, v12
	v_lshlrev_b16 v12, 8, v12
	v_and_b32_e32 v10, 0xf0f0f0f, v10
	v_and_b32_e32 v13, 0x100000, v13
	;; [unrolled: 1-line block ×5, first 2 shown]
	v_add_nc_u16 v5, 0xf000, v5
	v_add_nc_u16 v12, 0xf000, v12
	v_or3_b32 v13, v10, v13, v14
	v_lshrrev_b32_e32 v6, 16, v6
	v_or3_b32 v10, v37, v10, v11
	v_ashrrev_i32_e32 v37, v94, v39
	v_perm_b32 v5, v12, v5, 0xc0c0105
	v_and_b32_e32 v12, 0x1f00, v7
	v_lshlrev_b16 v7, 8, v7
	v_lshrrev_b32_e32 v11, 16, v13
	v_lshlrev_b16 v13, 8, v10
	v_and_b32_e32 v14, 0x1f00, v6
	v_add_nc_u16 v12, 0xf000, v12
	v_add_nc_u16 v7, 0xf000, v7
	v_and_b32_e32 v10, 0x1f00, v10
	v_add_nc_u16 v13, 0xf000, v13
	v_lshlrev_b16 v6, 8, v6
	v_lshlrev_b32_e32 v45, 18, v37
	v_perm_b32 v7, v7, v12, 0xc0c0105
	v_add_nc_u16 v12, 0xf000, v14
	v_and_b32_e32 v14, 0x1f00, v11
	v_lshlrev_b16 v11, 8, v11
	v_or_b32_sdwa v10, v10, v13 dst_sel:DWORD dst_unused:UNUSED_PAD src0_sel:DWORD src1_sel:BYTE_1
	v_lshlrev_b32_e32 v47, 25, v37
	v_add_nc_u16 v4, 0xf000, v4
	v_add_nc_u16 v14, 0xf000, v14
	v_lshlrev_b32_e32 v39, 4, v37
	v_lshlrev_b32_e32 v13, 11, v37
	v_add_nc_u16 v11, 0xf000, v11
	v_add_nc_u16 v10, 0xf000, v10
	;; [unrolled: 1-line block ×3, first 2 shown]
	v_and_b32_e32 v44, 0xf0f0f0f, v64
	v_and_b32_e32 v45, 0x100000, v45
	;; [unrolled: 1-line block ×6, first 2 shown]
	v_perm_b32 v11, v11, v14, 0xc0c0105
	v_and_b32_e32 v10, 0xffff, v10
	v_perm_b32 v6, v6, v12, 0xc0c0105
	v_or3_b32 v12, v44, v45, v47
	v_or3_b32 v13, v39, v44, v13
	v_lshl_or_b32 v39, v5, 16, v4
	v_lshl_or_b32 v45, v11, 16, v10
	v_lshrrev_b32_e32 v4, 4, v64
	v_lshlrev_b32_e32 v5, 2, v37
	v_lshlrev_b32_e32 v10, 9, v37
	v_lshl_or_b32 v44, v6, 16, v7
	v_lshrrev_b32_e32 v6, 16, v12
	v_lshrrev_b32_e32 v11, 12, v37
	;; [unrolled: 1-line block ×3, first 2 shown]
	v_and_b32_e32 v14, 0x1f00, v13
	v_lshlrev_b16 v7, 8, v13
	v_and_b32_e32 v13, 0xf0f0f0f, v4
	v_and_b32_e32 v37, 0x100000, v5
	;; [unrolled: 1-line block ×3, first 2 shown]
	v_mad_u64_u32 v[4:5], null, v116, 22, s[0:1]
	v_and_b32_e32 v11, 16, v11
	v_and_b32_e32 v12, 0x1000, v12
	v_or3_b32 v10, v13, v37, v10
	v_add_nc_u16 v37, 0xf000, v7
	v_and_b32_e32 v47, 0x1f00, v6
	v_lshlrev_b16 v48, 8, v6
	v_or3_b32 v49, v11, v13, v12
	v_mad_i64_i32 v[6:7], null, v117, 22, v[4:5]
	v_mad_i64_i32 v[12:13], null, v122, 22, v[4:5]
	v_lshrrev_b32_e32 v50, 16, v10
	v_mad_i64_i32 v[10:11], null, v121, 22, v[4:5]
	v_mad_i64_i32 v[4:5], null, v123, 22, v[4:5]
	s_clause 0x3
	global_load_ushort v6, v[6:7], off
	global_load_ushort v7, v[10:11], off
	global_load_ushort v11, v[12:13], off
	global_load_ushort v4, v[4:5], off
	v_lshlrev_b16 v51, 8, v49
	v_and_b32_e32 v49, 0x1f00, v49
	v_add_nc_u16 v14, 0xf000, v14
	v_and_b32_e32 v52, 0x1f00, v50
	v_add_nc_u16 v5, 0xf000, v47
	v_add_nc_u16 v10, 0xf000, v51
	v_lshlrev_b16 v12, 8, v50
	v_add_nc_u16 v13, 0xf000, v48
	v_ashrrev_i32_e32 v17, v94, v17
	v_add_nc_u16 v47, 0xf000, v52
	v_or_b32_sdwa v10, v49, v10 dst_sel:DWORD dst_unused:UNUSED_PAD src0_sel:DWORD src1_sel:BYTE_1
	v_add_nc_u16 v12, 0xf000, v12
	v_perm_b32 v14, v37, v14, 0xc0c0105
	v_perm_b32 v5, v13, v5, 0xc0c0105
	v_lshlrev_b32_e32 v13, 4, v17
	v_add_nc_u16 v10, 0xf000, v10
	v_lshlrev_b32_e32 v37, 11, v17
	v_perm_b32 v12, v12, v47, 0xc0c0105
	v_and_b32_e32 v47, 0xf0f0f0f, v16
	v_and_b32_e32 v13, 16, v13
	;; [unrolled: 1-line block ×3, first 2 shown]
	v_lshlrev_b32_e32 v48, 18, v17
	v_lshlrev_b32_e32 v49, 25, v17
	v_and_b32_e32 v37, 0x1000, v37
	v_lshl_or_b32 v5, v5, 16, v14
	v_lshl_or_b32 v10, v12, 16, v10
	v_and_b32_e32 v12, 0x100000, v48
	v_and_b32_e32 v14, 0x10000000, v49
	v_or3_b32 v13, v13, v47, v37
	ds_write2_b32 v25, v46, v39 offset1:1
	ds_write2_b32 v26, v44, v45 offset1:1
	;; [unrolled: 1-line block ×3, first 2 shown]
	v_lshrrev_b32_e32 v37, 12, v17
	v_ashrrev_i32_e32 v3, v94, v3
	v_or3_b32 v5, v47, v12, v14
	v_and_b32_e32 v10, 0x1f00, v13
	v_lshlrev_b16 v12, 8, v13
	v_lshrrev_b32_e32 v13, 4, v16
	v_lshlrev_b32_e32 v14, 2, v17
	v_lshlrev_b32_e32 v16, 9, v17
	v_lshrrev_b32_e32 v17, 5, v17
	v_and_b32_e32 v37, 16, v37
	v_and_b32_e32 v13, 0xf0f0f0f, v13
	v_and_b32_e32 v14, 0x100000, v14
	v_and_b32_e32 v16, 0x10000000, v16
	v_and_b32_e32 v17, 0x1000, v17
	v_lshrrev_b32_e32 v5, 16, v5
	v_add_nc_u16 v10, 0xf000, v10
	v_add_nc_u16 v12, 0xf000, v12
	v_or3_b32 v14, v13, v14, v16
	v_or3_b32 v13, v37, v13, v17
	v_and_b32_e32 v16, 0x1f00, v5
	v_lshlrev_b16 v5, 8, v5
	v_perm_b32 v10, v12, v10, 0xc0c0105
	v_lshrrev_b32_e32 v14, 16, v14
	v_lshlrev_b16 v12, 8, v13
	v_add_nc_u16 v16, 0xf000, v16
	v_add_nc_u16 v5, 0xf000, v5
	v_and_b32_e32 v13, 0x1f00, v13
	v_and_b32_e32 v17, 0x1f00, v14
	v_add_nc_u16 v12, 0xf000, v12
	v_lshlrev_b32_e32 v37, 25, v3
	v_perm_b32 v5, v5, v16, 0xc0c0105
	v_lshlrev_b32_e32 v39, 11, v3
	v_add_nc_u16 v16, 0xf000, v17
	v_or_b32_sdwa v12, v13, v12 dst_sel:DWORD dst_unused:UNUSED_PAD src0_sel:DWORD src1_sel:BYTE_1
	v_lshlrev_b32_e32 v13, 4, v3
	v_lshlrev_b32_e32 v17, 18, v3
	v_lshlrev_b16 v14, 8, v14
	v_and_b32_e32 v44, 0xf0f0f0f, v2
	v_and_b32_e32 v37, 0x10000000, v37
	;; [unrolled: 1-line block ×5, first 2 shown]
	v_add_nc_u16 v14, 0xf000, v14
	v_lshl_or_b32 v5, v5, 16, v10
	v_lshrrev_b32_e32 v2, 4, v2
	v_or3_b32 v10, v44, v17, v37
	v_or3_b32 v13, v13, v44, v39
	v_lshlrev_b32_e32 v17, 2, v3
	v_lshlrev_b32_e32 v37, 9, v3
	v_lshrrev_b32_e32 v39, 12, v3
	v_lshrrev_b32_e32 v3, 5, v3
	v_perm_b32 v14, v14, v16, 0xc0c0105
	v_and_b32_e32 v16, 0x1f00, v13
	v_and_b32_e32 v2, 0xf0f0f0f, v2
	;; [unrolled: 1-line block ×4, first 2 shown]
	v_lshlrev_b16 v13, 8, v13
	v_and_b32_e32 v39, 16, v39
	v_and_b32_e32 v3, 0x1000, v3
	v_add_nc_u16 v12, 0xf000, v12
	v_lshrrev_b32_e32 v10, 16, v10
	v_add_nc_u16 v16, 0xf000, v16
	v_or3_b32 v17, v2, v17, v37
	v_add_nc_u16 v13, 0xf000, v13
	v_or3_b32 v2, v39, v2, v3
	v_and_b32_e32 v12, 0xffff, v12
	v_and_b32_e32 v37, 0x1f00, v10
	v_lshlrev_b16 v10, 8, v10
	v_perm_b32 v13, v13, v16, 0xc0c0105
	v_lshlrev_b16 v16, 8, v2
	v_lshl_or_b32 v3, v14, 16, v12
	v_lshrrev_b32_e32 v12, 16, v17
	v_add_nc_u16 v14, 0xf000, v37
	v_and_b32_e32 v2, 0x1f00, v2
	v_add_nc_u16 v16, 0xf000, v16
	s_waitcnt vmcnt(4)
	v_ashrrev_i32_e32 v37, v94, v43
	v_and_b32_e32 v17, 0x1f00, v12
	v_lshlrev_b16 v12, 8, v12
	v_add_nc_u16 v10, 0xf000, v10
	v_or_b32_sdwa v2, v2, v16 dst_sel:DWORD dst_unused:UNUSED_PAD src0_sel:DWORD src1_sel:BYTE_1
	v_lshlrev_b32_e32 v16, 4, v37
	v_lshlrev_b32_e32 v39, 11, v37
	;; [unrolled: 1-line block ×4, first 2 shown]
	v_add_nc_u16 v17, 0xf000, v17
	v_add_nc_u16 v12, 0xf000, v12
	v_and_b32_e32 v43, 0xf0f0f0f, v15
	v_and_b32_e32 v16, 16, v16
	;; [unrolled: 1-line block ×3, first 2 shown]
	v_add_nc_u16 v2, 0xf000, v2
	v_and_b32_e32 v44, 0x100000, v44
	v_and_b32_e32 v45, 0x10000000, v45
	v_perm_b32 v10, v10, v14, 0xc0c0105
	v_or3_b32 v14, v16, v43, v39
	v_perm_b32 v12, v12, v17, 0xc0c0105
	v_and_b32_e32 v2, 0xffff, v2
	v_or3_b32 v16, v43, v44, v45
	ds_write2_b32 v28, v5, v3 offset1:1
	v_and_b32_e32 v3, 0x1f00, v14
	v_lshl_or_b32 v5, v10, 16, v13
	v_lshl_or_b32 v2, v12, 16, v2
	v_lshrrev_b32_e32 v10, 16, v16
	v_lshrrev_b32_e32 v12, 4, v15
	v_lshlrev_b16 v13, 8, v14
	v_lshlrev_b32_e32 v14, 2, v37
	v_lshlrev_b32_e32 v15, 9, v37
	v_lshrrev_b32_e32 v16, 12, v37
	v_lshrrev_b32_e32 v17, 5, v37
	v_and_b32_e32 v12, 0xf0f0f0f, v12
	v_and_b32_e32 v14, 0x100000, v14
	;; [unrolled: 1-line block ×5, first 2 shown]
	v_add_nc_u16 v3, 0xf000, v3
	v_and_b32_e32 v37, 0x1f00, v10
	v_lshlrev_b16 v10, 8, v10
	v_or3_b32 v14, v12, v14, v15
	v_add_nc_u16 v13, 0xf000, v13
	v_or3_b32 v12, v16, v12, v17
	v_add_nc_u16 v15, 0xf000, v37
	v_add_nc_u16 v10, 0xf000, v10
	v_lshrrev_b32_e32 v14, 16, v14
	ds_write2_b32 v29, v5, v2 offset1:1
	v_perm_b32 v2, v13, v3, 0xc0c0105
	v_lshlrev_b16 v3, 8, v12
	v_perm_b32 v5, v10, v15, 0xc0c0105
	v_and_b32_e32 v10, 0x1f00, v14
	v_ashrrev_i32_e32 v13, v94, v42
	v_and_b32_e32 v12, 0x1f00, v12
	v_add_nc_u16 v3, 0xf000, v3
	v_lshl_or_b32 v2, v5, 16, v2
	v_add_nc_u16 v5, 0xf000, v10
	v_lshlrev_b32_e32 v10, 4, v13
	v_lshlrev_b16 v14, 8, v14
	v_or_b32_sdwa v3, v12, v3 dst_sel:DWORD dst_unused:UNUSED_PAD src0_sel:DWORD src1_sel:BYTE_1
	v_lshlrev_b32_e32 v12, 11, v13
	v_lshlrev_b32_e32 v16, 18, v13
	;; [unrolled: 1-line block ×3, first 2 shown]
	v_and_b32_e32 v15, 0xf0f0f0f, v38
	v_and_b32_e32 v10, 16, v10
	;; [unrolled: 1-line block ×3, first 2 shown]
	v_add_nc_u16 v14, 0xf000, v14
	v_and_b32_e32 v16, 0x100000, v16
	v_and_b32_e32 v17, 0x10000000, v17
	v_add_nc_u16 v3, 0xf000, v3
	v_or3_b32 v10, v10, v15, v12
	v_perm_b32 v5, v14, v5, 0xc0c0105
	v_lshrrev_b32_e32 v12, 4, v38
	v_or3_b32 v14, v15, v16, v17
	v_lshrrev_b32_e32 v16, 12, v13
	v_lshrrev_b32_e32 v17, 5, v13
	v_lshlrev_b32_e32 v37, 2, v13
	v_and_b32_e32 v12, 0xf0f0f0f, v12
	v_lshlrev_b32_e32 v13, 9, v13
	v_and_b32_e32 v16, 16, v16
	v_and_b32_e32 v17, 0x1000, v17
	;; [unrolled: 1-line block ×4, first 2 shown]
	v_lshlrev_b16 v10, 8, v10
	v_and_b32_e32 v37, 0x100000, v37
	v_and_b32_e32 v13, 0x10000000, v13
	v_or3_b32 v16, v16, v12, v17
	v_add_nc_u16 v15, 0xf000, v15
	v_add_nc_u16 v10, 0xf000, v10
	v_lshrrev_b32_e32 v14, 16, v14
	v_or3_b32 v12, v12, v37, v13
	v_lshl_or_b32 v3, v5, 16, v3
	v_lshlrev_b16 v5, 8, v16
	v_perm_b32 v10, v10, v15, 0xc0c0105
	v_and_b32_e32 v13, 0x1f00, v14
	v_lshrrev_b32_e32 v12, 16, v12
	v_and_b32_e32 v15, 0x1f00, v16
	v_add_nc_u16 v5, 0xf000, v5
	v_lshlrev_b16 v14, 8, v14
	v_add_nc_u16 v13, 0xf000, v13
	v_and_b32_e32 v16, 0x1f00, v12
	v_lshlrev_b16 v12, 8, v12
	v_or_b32_sdwa v5, v15, v5 dst_sel:DWORD dst_unused:UNUSED_PAD src0_sel:DWORD src1_sel:BYTE_1
	v_add_nc_u16 v14, 0xf000, v14
	v_ashrrev_i32_e32 v15, v94, v41
	v_add_nc_u16 v16, 0xf000, v16
	v_add_nc_u16 v12, 0xf000, v12
	;; [unrolled: 1-line block ×3, first 2 shown]
	v_perm_b32 v13, v14, v13, 0xc0c0105
	v_lshlrev_b32_e32 v14, 4, v15
	v_lshlrev_b32_e32 v17, 11, v15
	v_perm_b32 v12, v12, v16, 0xc0c0105
	v_and_b32_e32 v5, 0xffff, v5
	v_and_b32_e32 v16, 0xf0f0f0f, v40
	;; [unrolled: 1-line block ×4, first 2 shown]
	v_lshlrev_b32_e32 v37, 25, v15
	v_lshl_or_b32 v10, v13, 16, v10
	v_lshlrev_b32_e32 v13, 18, v15
	v_lshl_or_b32 v5, v12, 16, v5
	v_or3_b32 v12, v14, v16, v17
	v_lshrrev_b32_e32 v14, 4, v40
	v_and_b32_e32 v17, 0x10000000, v37
	v_lshlrev_b32_e32 v37, 2, v15
	v_lshlrev_b32_e32 v38, 9, v15
	v_and_b32_e32 v13, 0x100000, v13
	v_and_b32_e32 v14, 0xf0f0f0f, v14
	v_lshrrev_b32_e32 v39, 12, v15
	v_lshrrev_b32_e32 v15, 5, v15
	v_and_b32_e32 v37, 0x100000, v37
	v_and_b32_e32 v38, 0x10000000, v38
	v_or3_b32 v13, v16, v13, v17
	v_and_b32_e32 v16, 16, v39
	v_and_b32_e32 v15, 0x1000, v15
	;; [unrolled: 1-line block ×3, first 2 shown]
	v_or3_b32 v37, v14, v37, v38
	v_lshrrev_b32_e32 v13, 16, v13
	v_lshlrev_b16 v12, 8, v12
	v_or3_b32 v14, v16, v14, v15
	v_add_nc_u16 v15, 0xf000, v17
	v_lshrrev_b32_e32 v16, 16, v37
	v_and_b32_e32 v17, 0x1f00, v13
	v_lshlrev_b16 v13, 8, v13
	v_lshlrev_b16 v37, 8, v14
	v_add_nc_u16 v12, 0xf000, v12
	v_and_b32_e32 v38, 0x1f00, v16
	v_lshlrev_b16 v16, 8, v16
	v_and_b32_e32 v14, 0x1f00, v14
	v_add_nc_u16 v37, 0xf000, v37
	v_add_nc_u16 v17, 0xf000, v17
	;; [unrolled: 1-line block ×5, first 2 shown]
	v_ashrrev_i32_e32 v9, v94, v9
	v_or_b32_sdwa v14, v14, v37 dst_sel:DWORD dst_unused:UNUSED_PAD src0_sel:DWORD src1_sel:BYTE_1
	v_perm_b32 v12, v12, v15, 0xc0c0105
	v_perm_b32 v13, v13, v17, 0xc0c0105
	;; [unrolled: 1-line block ×3, first 2 shown]
	v_lshlrev_b32_e32 v16, 4, v9
	v_lshlrev_b32_e32 v17, 11, v9
	v_and_b32_e32 v37, 0xf0f0f0f, v8
	v_lshlrev_b32_e32 v38, 18, v9
	v_lshlrev_b32_e32 v39, 25, v9
	v_lshrrev_b32_e32 v8, 4, v8
	v_lshrrev_b32_e32 v40, 12, v9
	v_lshrrev_b32_e32 v41, 5, v9
	v_and_b32_e32 v16, 16, v16
	v_and_b32_e32 v17, 0x1000, v17
	;; [unrolled: 1-line block ×5, first 2 shown]
	v_lshlrev_b32_e32 v42, 2, v9
	v_lshlrev_b32_e32 v9, 9, v9
	v_and_b32_e32 v40, 16, v40
	v_and_b32_e32 v41, 0x1000, v41
	v_or3_b32 v16, v16, v37, v17
	v_and_b32_e32 v17, 0x100000, v42
	v_and_b32_e32 v9, 0x10000000, v9
	v_or3_b32 v37, v37, v38, v39
	v_or3_b32 v38, v40, v8, v41
	v_and_b32_e32 v39, 0x1f00, v16
	v_lshlrev_b16 v16, 8, v16
	v_or3_b32 v8, v8, v17, v9
	v_lshrrev_b32_e32 v9, 16, v37
	v_lshlrev_b16 v17, 8, v38
	v_and_b32_e32 v38, 0x1f00, v38
	v_add_nc_u16 v37, 0xf000, v39
	v_lshrrev_b32_e32 v8, 16, v8
	v_and_b32_e32 v39, 0x1f00, v9
	v_add_nc_u16 v17, 0xf000, v17
	v_lshlrev_b16 v9, 8, v9
	v_add_nc_u16 v16, 0xf000, v16
	v_and_b32_e32 v40, 0x1f00, v8
	v_lshlrev_b16 v8, 8, v8
	v_or_b32_sdwa v17, v38, v17 dst_sel:DWORD dst_unused:UNUSED_PAD src0_sel:DWORD src1_sel:BYTE_1
	v_add_nc_u16 v38, 0xf000, v39
	v_add_nc_u16 v9, 0xf000, v9
	;; [unrolled: 1-line block ×6, first 2 shown]
	v_perm_b32 v16, v16, v37, 0xc0c0105
	v_perm_b32 v9, v9, v38, 0xc0c0105
	;; [unrolled: 1-line block ×3, first 2 shown]
	v_and_b32_e32 v17, 0xffff, v17
	v_and_b32_e32 v14, 0xffff, v14
	ds_write2_b32 v30, v2, v3 offset1:1
	v_lshl_or_b32 v2, v9, 16, v16
	v_lshl_or_b32 v12, v13, 16, v12
	;; [unrolled: 1-line block ×4, first 2 shown]
	ds_write2_b32 v31, v10, v5 offset1:1
	ds_write2_b32 v32, v12, v13 offset1:1
	s_waitcnt vmcnt(3)
	v_cvt_f32_f16_e32 v5, v6
	ds_write2_b32 v33, v2, v3 offset1:1
	s_waitcnt vmcnt(1)
	v_cvt_f32_f16_e32 v2, v11
	v_cvt_f32_f16_e32 v6, v7
	s_waitcnt vmcnt(0)
	v_cvt_f32_f16_e32 v3, v4
	ds_write_b32 v148, v5
	ds_write_b32 v149, v6
	;; [unrolled: 1-line block ×4, first 2 shown]
	s_cbranch_scc0 .LBB162_5
; %bb.7:                                ;   in Loop: Header=BB162_6 Depth=1
	v_add_nc_u32_e32 v14, s11, v109
	v_add_nc_u32_e32 v159, s11, v34
	;; [unrolled: 1-line block ×3, first 2 shown]
	v_mov_b32_e32 v161, v142
	v_mov_b32_e32 v162, v135
	v_add_nc_u32_e32 v2, v14, v126
	v_add_nc_u32_e32 v4, v14, v128
	;; [unrolled: 1-line block ×5, first 2 shown]
	v_mad_u64_u32 v[12:13], null, v159, 36, s[2:3]
	v_mad_i64_i32 v[2:3], null, v2, 36, v[35:36]
	v_add_nc_u32_e32 v15, v14, v132
	v_mad_i64_i32 v[4:5], null, v4, 36, v[35:36]
	v_add_nc_u32_e32 v16, v14, v133
	;; [unrolled: 2-line block ×3, first 2 shown]
	v_mad_i64_i32 v[8:9], null, v8, 36, v[35:36]
	v_mad_i64_i32 v[10:11], null, v10, 36, v[35:36]
	v_mad_i64_i32 v[14:15], null, v15, 36, v[35:36]
	v_mad_i64_i32 v[16:17], null, v16, 36, v[35:36]
	v_mad_i64_i32 v[37:38], null, v37, 36, v[35:36]
	s_clause 0x8
	global_load_dword v12, v[12:13], off
	global_load_dword v2, v[2:3], off offset:4
	global_load_dword v3, v[4:5], off offset:4
	;; [unrolled: 1-line block ×8, first 2 shown]
	v_mov_b32_e32 v163, v141
	v_mov_b32_e32 v164, v140
	;; [unrolled: 1-line block ×5, first 2 shown]
	s_mov_b32 s0, -4
	s_waitcnt vmcnt(8)
	v_cvt_f32_f16_e32 v10, v12
	s_waitcnt vmcnt(7)
	ds_write_b32 v160, v2
	s_waitcnt vmcnt(6)
	ds_write_b32 v152, v3
	;; [unrolled: 2-line block ×8, first 2 shown]
	ds_write_b32 v125, v10
	s_waitcnt lgkmcnt(0)
	s_barrier
	buffer_gl0_inv
.LBB162_8:                              ;   Parent Loop BB162_6 Depth=1
                                        ; =>  This Inner Loop Header: Depth=2
	v_add_nc_u32_e32 v10, 0x2080, v162
	ds_read_b128 v[6:9], v161
	ds_read2_b32 v[37:38], v162 offset1:1
	ds_read_b128 v[2:5], v161 offset:16
	v_mov_b32_e32 v169, 0
	v_mov_b32_e32 v168, 0
	ds_read2_b32 v[39:40], v10 offset1:1
	v_add_nc_u32_e32 v10, 0x4100, v162
	v_mov_b32_e32 v170, 0
	v_mov_b32_e32 v171, 0
	;; [unrolled: 1-line block ×3, first 2 shown]
	ds_read2_b32 v[47:48], v162 offset0:2 offset1:3
	ds_read2_b32 v[41:42], v10 offset1:1
	v_add_nc_u32_e32 v10, 0x6180, v162
	v_mov_b32_e32 v173, 0
	v_mov_b32_e32 v174, 0
	ds_read2_b32 v[57:58], v162 offset0:4 offset1:5
	v_mov_b32_e32 v175, 0
	ds_read2_b32 v[49:50], v10 offset1:1
	v_mov_b32_e32 v176, 0
	v_mov_b32_e32 v198, 0
	;; [unrolled: 1-line block ×3, first 2 shown]
	s_waitcnt lgkmcnt(6)
	v_dot4c_i32_i8 v169, v37, v6
	s_add_i32 s0, s0, 4
	ds_read_b128 v[13:16], v161 offset:2048
	s_cmp_lt_u32 s0, 12
	s_waitcnt lgkmcnt(5)
	v_dot4c_i32_i8 v168, v39, v6
	v_dot4c_i32_i8 v169, v38, v2
	ds_read_b128 v[177:180], v161 offset:3072
	ds_read_b128 v[182:185], v161 offset:4112
	;; [unrolled: 1-line block ×3, first 2 shown]
	v_dot4c_i32_i8 v168, v40, v2
	s_waitcnt lgkmcnt(6)
	v_dot4c_i32_i8 v170, v41, v6
	v_dot4c_i32_i8 v169, v47, v7
	ds_read_b128 v[190:193], v161 offset:6160
	ds_read_b128 v[194:197], v161 offset:7184
	v_dot4c_i32_i8 v170, v42, v2
	s_waitcnt lgkmcnt(6)
	v_dot4c_i32_i8 v171, v49, v6
	v_dot4c_i32_i8 v169, v48, v3
	;; [unrolled: 1-line block ×3, first 2 shown]
	v_add_nc_u32_e32 v2, 0x2088, v162
	v_dot4c_i32_i8 v169, v57, v8
	s_waitcnt lgkmcnt(5)
	v_dot4c_i32_i8 v175, v49, v13
	s_waitcnt lgkmcnt(4)
	v_dot4c_i32_i8 v176, v49, v177
	ds_read2_b32 v[51:52], v2 offset1:1
	v_add_nc_u32_e32 v2, 0x4108, v162
	v_dot4c_i32_i8 v169, v58, v4
	ds_read2_b32 v[55:56], v2 offset1:1
	v_add_nc_u32_e32 v2, 0x6188, v162
	ds_read2_b32 v[59:60], v2 offset1:1
	v_add_nc_u32_e32 v2, 0x2090, v162
	;; [unrolled: 2-line block ×3, first 2 shown]
	s_waitcnt lgkmcnt(3)
	v_dot4c_i32_i8 v168, v51, v7
	ds_read2_b32 v[63:64], v2 offset1:1
	v_add_nc_u32_e32 v2, 0x6190, v162
	s_waitcnt lgkmcnt(3)
	v_dot4c_i32_i8 v170, v55, v7
	v_dot4c_i32_i8 v168, v52, v3
	ds_read2_b32 v[65:66], v2 offset1:1
	v_dot4c_i32_i8 v170, v56, v3
	s_waitcnt lgkmcnt(3)
	v_dot4c_i32_i8 v171, v59, v7
	v_dot4c_i32_i8 v171, v60, v3
	s_waitcnt lgkmcnt(2)
	v_dot4c_i32_i8 v168, v61, v8
	ds_read2_b32 v[2:3], v162 offset0:6 offset1:7
	v_dot4c_i32_i8 v168, v62, v4
	s_waitcnt lgkmcnt(2)
	v_dot4c_i32_i8 v170, v63, v8
	v_dot4c_i32_i8 v170, v64, v4
	s_waitcnt lgkmcnt(1)
	v_dot4c_i32_i8 v171, v65, v8
	v_dot4c_i32_i8 v171, v66, v4
	v_add_nc_u32_e32 v4, 0x2098, v162
	ds_read2_b32 v[43:44], v4 offset1:1
	v_add_nc_u32_e32 v4, 0x4118, v162
	s_waitcnt lgkmcnt(1)
	v_dot4c_i32_i8 v169, v2, v9
	ds_read2_b32 v[45:46], v4 offset1:1
	v_add_nc_u32_e32 v4, 0x6198, v162
	v_dot4c_i32_i8 v169, v3, v5
	v_add_nc_u32_e32 v162, 32, v162
	ds_read2_b32 v[53:54], v4 offset1:1
	v_mov_b32_e32 v4, 0
	s_waitcnt lgkmcnt(2)
	v_dot4c_i32_i8 v168, v43, v9
	v_dot4c_i32_i8 v168, v44, v5
	s_waitcnt lgkmcnt(1)
	v_dot4c_i32_i8 v170, v45, v9
	v_dot4c_i32_i8 v170, v46, v5
	s_waitcnt lgkmcnt(0)
	v_dot4c_i32_i8 v171, v53, v9
	ds_read_b128 v[9:12], v161 offset:1024
	v_dot4c_i32_i8 v171, v54, v5
	s_waitcnt lgkmcnt(0)
	v_dot4c_i32_i8 v4, v37, v9
	v_dot4c_i32_i8 v172, v39, v9
	;; [unrolled: 1-line block ×4, first 2 shown]
	ds_read_b128 v[6:9], v161 offset:1040
	s_waitcnt lgkmcnt(0)
	v_dot4c_i32_i8 v4, v38, v6
	v_dot4c_i32_i8 v172, v40, v6
	v_dot4c_i32_i8 v173, v42, v6
	v_dot4c_i32_i8 v174, v50, v6
	v_mov_b32_e32 v6, 0
	v_dot4c_i32_i8 v4, v47, v10
	v_dot4c_i32_i8 v172, v51, v10
	v_dot4c_i32_i8 v173, v55, v10
	v_dot4c_i32_i8 v174, v59, v10
	v_dot4c_i32_i8 v6, v37, v13
	v_dot4c_i32_i8 v4, v48, v7
	v_dot4c_i32_i8 v172, v52, v7
	v_dot4c_i32_i8 v173, v56, v7
	v_dot4c_i32_i8 v174, v60, v7
	v_mov_b32_e32 v7, 0
	v_dot4c_i32_i8 v4, v57, v11
	v_dot4c_i32_i8 v172, v61, v11
	v_dot4c_i32_i8 v173, v63, v11
	v_dot4c_i32_i8 v174, v65, v11
	v_dot4c_i32_i8 v7, v39, v13
	;; [unrolled: 10-line block ×3, first 2 shown]
	ds_read_b128 v[10:13], v161 offset:2064
	v_dot4c_i32_i8 v4, v3, v9
	v_dot4c_i32_i8 v172, v44, v9
	;; [unrolled: 1-line block ×4, first 2 shown]
	v_cvt_f32_i32_e32 v4, v4
	s_waitcnt lgkmcnt(0)
	v_dot4c_i32_i8 v6, v38, v10
	v_dot4c_i32_i8 v7, v40, v10
	;; [unrolled: 1-line block ×4, first 2 shown]
	v_mov_b32_e32 v10, 0
	v_dot4c_i32_i8 v6, v47, v14
	v_dot4c_i32_i8 v7, v51, v14
	v_dot4c_i32_i8 v8, v55, v14
	v_dot4c_i32_i8 v175, v59, v14
	v_dot4c_i32_i8 v10, v37, v177
	v_dot4c_i32_i8 v6, v48, v11
	v_dot4c_i32_i8 v7, v52, v11
	v_dot4c_i32_i8 v8, v56, v11
	v_dot4c_i32_i8 v175, v60, v11
	v_mov_b32_e32 v11, 0
	v_dot4c_i32_i8 v6, v57, v15
	v_dot4c_i32_i8 v7, v61, v15
	;; [unrolled: 1-line block ×9, first 2 shown]
	v_mov_b32_e32 v12, 0
	v_dot4c_i32_i8 v6, v2, v16
	v_dot4c_i32_i8 v7, v43, v16
	;; [unrolled: 1-line block ×4, first 2 shown]
	ds_read_b128 v[14:17], v161 offset:3088
	v_dot4c_i32_i8 v12, v41, v177
	v_mov_b32_e32 v177, 0
	v_dot4c_i32_i8 v6, v3, v13
	v_dot4c_i32_i8 v7, v44, v13
	v_dot4c_i32_i8 v8, v46, v13
	v_dot4c_i32_i8 v175, v54, v13
	s_waitcnt lgkmcnt(0)
	v_dot4c_i32_i8 v10, v38, v14
	v_dot4c_i32_i8 v11, v40, v14
	v_dot4c_i32_i8 v12, v42, v14
	v_dot4c_i32_i8 v176, v50, v14
	v_mov_b32_e32 v14, 0
	v_dot4c_i32_i8 v10, v47, v178
	v_dot4c_i32_i8 v11, v51, v178
	v_dot4c_i32_i8 v12, v55, v178
	v_dot4c_i32_i8 v176, v59, v178
	v_dot4c_i32_i8 v10, v48, v15
	v_dot4c_i32_i8 v11, v52, v15
	v_dot4c_i32_i8 v12, v56, v15
	v_dot4c_i32_i8 v176, v60, v15
	v_mov_b32_e32 v15, 0
	v_dot4c_i32_i8 v10, v57, v179
	v_dot4c_i32_i8 v11, v61, v179
	v_dot4c_i32_i8 v12, v63, v179
	v_dot4c_i32_i8 v176, v65, v179
	v_dot4c_i32_i8 v10, v58, v16
	v_dot4c_i32_i8 v11, v62, v16
	v_dot4c_i32_i8 v12, v64, v16
	v_dot4c_i32_i8 v176, v66, v16
	v_mov_b32_e32 v16, 0
	v_dot4c_i32_i8 v10, v2, v180
	v_dot4c_i32_i8 v11, v43, v180
	v_dot4c_i32_i8 v12, v45, v180
	v_dot4c_i32_i8 v176, v53, v180
	ds_read_b128 v[178:181], v161 offset:4096
	v_dot4c_i32_i8 v10, v3, v17
	v_dot4c_i32_i8 v11, v44, v17
	v_dot4c_i32_i8 v12, v46, v17
	v_dot4c_i32_i8 v176, v54, v17
	s_waitcnt lgkmcnt(0)
	v_dot4c_i32_i8 v14, v37, v178
	v_dot4c_i32_i8 v15, v39, v178
	v_dot4c_i32_i8 v16, v41, v178
	v_dot4c_i32_i8 v177, v49, v178
	v_dot4c_i32_i8 v14, v38, v182
	v_dot4c_i32_i8 v15, v40, v182
	v_dot4c_i32_i8 v16, v42, v182
	v_dot4c_i32_i8 v177, v50, v182
	v_mov_b32_e32 v182, 0
	v_dot4c_i32_i8 v14, v47, v179
	v_dot4c_i32_i8 v15, v51, v179
	v_dot4c_i32_i8 v16, v55, v179
	v_dot4c_i32_i8 v177, v59, v179
	v_dot4c_i32_i8 v14, v48, v183
	v_dot4c_i32_i8 v15, v52, v183
	v_dot4c_i32_i8 v16, v56, v183
	v_dot4c_i32_i8 v177, v60, v183
	v_mov_b32_e32 v183, 0
	v_dot4c_i32_i8 v14, v57, v180
	v_dot4c_i32_i8 v15, v61, v180
	v_dot4c_i32_i8 v16, v63, v180
	v_dot4c_i32_i8 v177, v65, v180
	v_dot4c_i32_i8 v14, v58, v184
	v_dot4c_i32_i8 v15, v62, v184
	v_dot4c_i32_i8 v16, v64, v184
	v_dot4c_i32_i8 v177, v66, v184
	v_mov_b32_e32 v184, 0
	v_dot4c_i32_i8 v14, v2, v181
	v_dot4c_i32_i8 v15, v43, v181
	v_dot4c_i32_i8 v16, v45, v181
	v_dot4c_i32_i8 v177, v53, v181
	ds_read_b128 v[178:181], v161 offset:5120
	v_dot4c_i32_i8 v14, v3, v185
	v_dot4c_i32_i8 v15, v44, v185
	v_dot4c_i32_i8 v16, v46, v185
	v_dot4c_i32_i8 v177, v54, v185
	s_waitcnt lgkmcnt(0)
	v_dot4c_i32_i8 v182, v37, v178
	v_dot4c_i32_i8 v183, v39, v178
	v_dot4c_i32_i8 v184, v41, v178
	v_dot4c_i32_i8 v198, v49, v178
	;; [unrolled: 37-line block ×3, first 2 shown]
	v_dot4c_i32_i8 v186, v38, v190
	v_dot4c_i32_i8 v187, v40, v190
	;; [unrolled: 1-line block ×4, first 2 shown]
	v_mov_b32_e32 v190, 0
	v_dot4c_i32_i8 v186, v47, v179
	v_dot4c_i32_i8 v187, v51, v179
	v_dot4c_i32_i8 v188, v55, v179
	v_dot4c_i32_i8 v199, v59, v179
	v_dot4c_i32_i8 v186, v48, v191
	v_dot4c_i32_i8 v187, v52, v191
	v_dot4c_i32_i8 v188, v56, v191
	v_dot4c_i32_i8 v199, v60, v191
	v_dot4c_i32_i8 v186, v57, v180
	v_dot4c_i32_i8 v187, v61, v180
	v_dot4c_i32_i8 v188, v63, v180
	v_dot4c_i32_i8 v199, v65, v180
	v_dot4c_i32_i8 v186, v58, v192
	v_dot4c_i32_i8 v187, v62, v192
	v_dot4c_i32_i8 v188, v64, v192
	v_dot4c_i32_i8 v199, v66, v192
	v_dot4c_i32_i8 v186, v2, v181
	v_dot4c_i32_i8 v187, v43, v181
	v_dot4c_i32_i8 v188, v45, v181
	v_dot4c_i32_i8 v199, v53, v181
	ds_read_b128 v[178:181], v161 offset:7168
	v_dot4c_i32_i8 v186, v3, v193
	v_dot4c_i32_i8 v187, v44, v193
	v_dot4c_i32_i8 v188, v46, v193
	v_dot4c_i32_i8 v199, v54, v193
	v_add_nc_u32_e32 v161, 32, v161
	s_waitcnt lgkmcnt(0)
	v_dot4c_i32_i8 v190, v37, v178
	v_mov_b32_e32 v37, 0
	v_dot4c_i32_i8 v190, v38, v194
	v_mov_b32_e32 v38, 0
	;; [unrolled: 2-line block ×3, first 2 shown]
	v_dot4c_i32_i8 v190, v47, v179
	v_dot4c_i32_i8 v38, v41, v178
	;; [unrolled: 1-line block ×21, first 2 shown]
	ds_read_b32 v5, v164
	ds_read_b32 v9, v165
	;; [unrolled: 1-line block ×4, first 2 shown]
	ds_read2_b32 v[2:3], v163 offset1:32
	v_dot4c_i32_i8 v38, v64, v196
	v_dot4c_i32_i8 v37, v43, v181
	;; [unrolled: 1-line block ×3, first 2 shown]
	v_add_nc_u32_e32 v167, 4, v167
	v_add_nc_u32_e32 v166, 4, v166
	v_dot4c_i32_i8 v38, v45, v181
	v_dot4c_i32_i8 v37, v44, v197
	;; [unrolled: 1-line block ×3, first 2 shown]
	v_add_nc_u32_e32 v165, 4, v165
	v_add_nc_u32_e32 v164, 4, v164
	v_dot4c_i32_i8 v38, v46, v197
	v_dot4c_i32_i8 v39, v54, v197
	s_waitcnt lgkmcnt(0)
	v_mul_f32_e32 v40, v2, v5
	v_mul_f32_e32 v41, v2, v9
	;; [unrolled: 1-line block ×8, first 2 shown]
	ds_read2_b32 v[2:3], v163 offset0:64 offset1:96
	v_fmac_f32_e32 v112, v44, v4
	v_cvt_f32_i32_e32 v4, v6
	v_cvt_f32_i32_e32 v6, v188
	s_waitcnt lgkmcnt(0)
	v_mul_f32_e32 v48, v5, v2
	v_mul_f32_e32 v49, v9, v2
	;; [unrolled: 1-line block ×8, first 2 shown]
	ds_read2_b32 v[2:3], v163 offset0:128 offset1:160
	v_fmac_f32_e32 v93, v48, v4
	v_cvt_f32_i32_e32 v4, v10
	v_cvt_f32_i32_e32 v10, v38
	v_fmac_f32_e32 v87, v52, v4
	v_cvt_f32_i32_e32 v4, v14
	s_waitcnt lgkmcnt(0)
	v_mul_f32_e32 v56, v5, v2
	v_mul_f32_e32 v57, v9, v2
	;; [unrolled: 1-line block ×8, first 2 shown]
	ds_read2_b32 v[2:3], v163 offset0:192 offset1:224
	v_fmac_f32_e32 v82, v56, v4
	v_cvt_f32_i32_e32 v4, v182
	v_add_nc_u32_e32 v163, 4, v163
	v_fmac_f32_e32 v78, v60, v4
	v_cvt_f32_i32_e32 v4, v186
	s_waitcnt lgkmcnt(0)
	v_mul_f32_e32 v64, v5, v2
	v_mul_f32_e32 v5, v5, v3
	;; [unrolled: 1-line block ×5, first 2 shown]
	v_fmac_f32_e32 v74, v64, v4
	v_cvt_f32_i32_e32 v4, v190
	v_mul_f32_e32 v13, v13, v3
	v_mul_f32_e32 v2, v17, v2
	;; [unrolled: 1-line block ×3, first 2 shown]
	v_cvt_f32_i32_e32 v17, v169
	v_fmac_f32_e32 v70, v5, v4
	v_cvt_f32_i32_e32 v4, v168
	v_cvt_f32_i32_e32 v5, v187
	v_fmac_f32_e32 v72, v66, v6
	v_fmac_f32_e32 v88, v40, v17
	;; [unrolled: 1-line block ×4, first 2 shown]
	v_cvt_f32_i32_e32 v4, v170
	v_fmac_f32_e32 v73, v65, v5
	v_fmac_f32_e32 v119, v42, v4
	v_cvt_f32_i32_e32 v4, v171
	v_fmac_f32_e32 v118, v43, v4
	v_cvt_f32_i32_e32 v4, v172
	;; [unrolled: 2-line block ×5, first 2 shown]
	v_cvt_f32_i32_e32 v7, v199
	v_fmac_f32_e32 v91, v49, v4
	v_cvt_f32_i32_e32 v4, v8
	v_cvt_f32_i32_e32 v8, v37
	v_fmac_f32_e32 v71, v2, v7
	v_fmac_f32_e32 v90, v50, v4
	v_cvt_f32_i32_e32 v4, v175
	v_fmac_f32_e32 v69, v9, v8
	v_fmac_f32_e32 v89, v51, v4
	v_cvt_f32_i32_e32 v4, v11
	v_cvt_f32_i32_e32 v11, v39
	v_fmac_f32_e32 v85, v53, v4
	v_cvt_f32_i32_e32 v4, v12
	v_fmac_f32_e32 v67, v3, v11
	v_fmac_f32_e32 v84, v54, v4
	v_cvt_f32_i32_e32 v4, v176
	v_fmac_f32_e32 v83, v55, v4
	v_cvt_f32_i32_e32 v4, v15
	v_fmac_f32_e32 v81, v57, v4
	v_cvt_f32_i32_e32 v4, v16
	v_fmac_f32_e32 v80, v58, v4
	v_cvt_f32_i32_e32 v4, v177
	v_fmac_f32_e32 v79, v59, v4
	v_cvt_f32_i32_e32 v4, v183
	v_fmac_f32_e32 v77, v61, v4
	v_cvt_f32_i32_e32 v4, v184
	v_fmac_f32_e32 v76, v62, v4
	v_cvt_f32_i32_e32 v4, v198
	v_fmac_f32_e32 v75, v63, v4
	s_cbranch_scc1 .LBB162_8
; %bb.9:                                ;   in Loop: Header=BB162_6 Depth=1
	s_and_b32 s0, s9, -4
	s_cmp_eq_u32 s0, 4
	s_barrier
	buffer_gl0_inv
	s_cbranch_scc1 .LBB162_5
; %bb.10:                               ;   in Loop: Header=BB162_6 Depth=1
	v_add_nc_u32_e32 v14, s11, v136
	v_add_nc_u32_e32 v12, 4, v159
	v_mov_b32_e32 v159, v141
	v_mov_b32_e32 v161, v142
	;; [unrolled: 1-line block ×3, first 2 shown]
	v_add_nc_u32_e32 v2, v14, v126
	v_add_nc_u32_e32 v4, v14, v128
	;; [unrolled: 1-line block ×5, first 2 shown]
	v_mad_u64_u32 v[12:13], null, v12, 36, s[2:3]
	v_mad_i64_i32 v[2:3], null, v2, 36, v[35:36]
	v_add_nc_u32_e32 v15, v14, v132
	v_mad_i64_i32 v[4:5], null, v4, 36, v[35:36]
	v_add_nc_u32_e32 v16, v14, v133
	;; [unrolled: 2-line block ×3, first 2 shown]
	v_mad_i64_i32 v[8:9], null, v8, 36, v[35:36]
	v_mad_i64_i32 v[10:11], null, v10, 36, v[35:36]
	;; [unrolled: 1-line block ×5, first 2 shown]
	s_clause 0x8
	global_load_dword v12, v[12:13], off
	global_load_dword v2, v[2:3], off offset:4
	global_load_dword v3, v[4:5], off offset:4
	;; [unrolled: 1-line block ×8, first 2 shown]
	v_mov_b32_e32 v163, v146
	v_mov_b32_e32 v164, v145
	;; [unrolled: 1-line block ×4, first 2 shown]
	s_mov_b32 s0, 12
	s_waitcnt vmcnt(8)
	v_cvt_f32_f16_e32 v10, v12
	s_waitcnt vmcnt(7)
	ds_write_b32 v160, v2
	s_waitcnt vmcnt(6)
	ds_write_b32 v152, v3
	;; [unrolled: 2-line block ×8, first 2 shown]
	ds_write_b32 v125, v10
	s_waitcnt lgkmcnt(0)
	s_barrier
	buffer_gl0_inv
.LBB162_11:                             ;   Parent Loop BB162_6 Depth=1
                                        ; =>  This Inner Loop Header: Depth=2
	v_add_nc_u32_e32 v10, 0x2080, v162
	ds_read_b128 v[6:9], v161
	ds_read2_b32 v[37:38], v162 offset1:1
	ds_read_b128 v[2:5], v161 offset:16
	v_mov_b32_e32 v167, 0
	v_mov_b32_e32 v160, 0
	ds_read2_b32 v[39:40], v10 offset1:1
	v_add_nc_u32_e32 v10, 0x4100, v162
	v_mov_b32_e32 v168, 0
	v_mov_b32_e32 v169, 0
	;; [unrolled: 1-line block ×3, first 2 shown]
	ds_read2_b32 v[47:48], v162 offset0:2 offset1:3
	ds_read2_b32 v[41:42], v10 offset1:1
	v_add_nc_u32_e32 v10, 0x6180, v162
	v_mov_b32_e32 v171, 0
	v_mov_b32_e32 v172, 0
	ds_read2_b32 v[57:58], v162 offset0:4 offset1:5
	v_mov_b32_e32 v173, 0
	ds_read2_b32 v[49:50], v10 offset1:1
	v_mov_b32_e32 v174, 0
	v_mov_b32_e32 v196, 0
	;; [unrolled: 1-line block ×3, first 2 shown]
	s_waitcnt lgkmcnt(6)
	v_dot4c_i32_i8 v167, v37, v6
	s_add_i32 s0, s0, 4
	ds_read_b128 v[13:16], v161 offset:2048
	s_cmp_lt_u32 s0, 28
	s_waitcnt lgkmcnt(5)
	v_dot4c_i32_i8 v160, v39, v6
	v_dot4c_i32_i8 v167, v38, v2
	ds_read_b128 v[175:178], v161 offset:3072
	ds_read_b128 v[180:183], v161 offset:4112
	;; [unrolled: 1-line block ×3, first 2 shown]
	v_dot4c_i32_i8 v160, v40, v2
	s_waitcnt lgkmcnt(6)
	v_dot4c_i32_i8 v168, v41, v6
	v_dot4c_i32_i8 v167, v47, v7
	ds_read_b128 v[188:191], v161 offset:6160
	ds_read_b128 v[192:195], v161 offset:7184
	v_dot4c_i32_i8 v168, v42, v2
	s_waitcnt lgkmcnt(6)
	v_dot4c_i32_i8 v169, v49, v6
	v_dot4c_i32_i8 v167, v48, v3
	;; [unrolled: 1-line block ×3, first 2 shown]
	v_add_nc_u32_e32 v2, 0x2088, v162
	v_dot4c_i32_i8 v167, v57, v8
	s_waitcnt lgkmcnt(5)
	v_dot4c_i32_i8 v173, v49, v13
	s_waitcnt lgkmcnt(4)
	v_dot4c_i32_i8 v174, v49, v175
	ds_read2_b32 v[51:52], v2 offset1:1
	v_add_nc_u32_e32 v2, 0x4108, v162
	v_dot4c_i32_i8 v167, v58, v4
	ds_read2_b32 v[55:56], v2 offset1:1
	v_add_nc_u32_e32 v2, 0x6188, v162
	ds_read2_b32 v[59:60], v2 offset1:1
	v_add_nc_u32_e32 v2, 0x2090, v162
	ds_read2_b32 v[61:62], v2 offset1:1
	v_add_nc_u32_e32 v2, 0x4110, v162
	s_waitcnt lgkmcnt(3)
	v_dot4c_i32_i8 v160, v51, v7
	ds_read2_b32 v[63:64], v2 offset1:1
	v_add_nc_u32_e32 v2, 0x6190, v162
	s_waitcnt lgkmcnt(3)
	v_dot4c_i32_i8 v168, v55, v7
	v_dot4c_i32_i8 v160, v52, v3
	ds_read2_b32 v[65:66], v2 offset1:1
	v_dot4c_i32_i8 v168, v56, v3
	s_waitcnt lgkmcnt(3)
	v_dot4c_i32_i8 v169, v59, v7
	v_dot4c_i32_i8 v169, v60, v3
	s_waitcnt lgkmcnt(2)
	v_dot4c_i32_i8 v160, v61, v8
	ds_read2_b32 v[2:3], v162 offset0:6 offset1:7
	v_dot4c_i32_i8 v160, v62, v4
	s_waitcnt lgkmcnt(2)
	v_dot4c_i32_i8 v168, v63, v8
	v_dot4c_i32_i8 v168, v64, v4
	s_waitcnt lgkmcnt(1)
	v_dot4c_i32_i8 v169, v65, v8
	v_dot4c_i32_i8 v169, v66, v4
	v_add_nc_u32_e32 v4, 0x2098, v162
	ds_read2_b32 v[43:44], v4 offset1:1
	v_add_nc_u32_e32 v4, 0x4118, v162
	s_waitcnt lgkmcnt(1)
	v_dot4c_i32_i8 v167, v2, v9
	ds_read2_b32 v[45:46], v4 offset1:1
	v_add_nc_u32_e32 v4, 0x6198, v162
	v_dot4c_i32_i8 v167, v3, v5
	v_add_nc_u32_e32 v162, 32, v162
	ds_read2_b32 v[53:54], v4 offset1:1
	v_mov_b32_e32 v4, 0
	s_waitcnt lgkmcnt(2)
	v_dot4c_i32_i8 v160, v43, v9
	v_dot4c_i32_i8 v160, v44, v5
	s_waitcnt lgkmcnt(1)
	v_dot4c_i32_i8 v168, v45, v9
	v_dot4c_i32_i8 v168, v46, v5
	s_waitcnt lgkmcnt(0)
	v_dot4c_i32_i8 v169, v53, v9
	ds_read_b128 v[9:12], v161 offset:1024
	v_dot4c_i32_i8 v169, v54, v5
	s_waitcnt lgkmcnt(0)
	v_dot4c_i32_i8 v4, v37, v9
	v_dot4c_i32_i8 v170, v39, v9
	;; [unrolled: 1-line block ×4, first 2 shown]
	ds_read_b128 v[6:9], v161 offset:1040
	s_waitcnt lgkmcnt(0)
	v_dot4c_i32_i8 v4, v38, v6
	v_dot4c_i32_i8 v170, v40, v6
	v_dot4c_i32_i8 v171, v42, v6
	v_dot4c_i32_i8 v172, v50, v6
	v_mov_b32_e32 v6, 0
	v_dot4c_i32_i8 v4, v47, v10
	v_dot4c_i32_i8 v170, v51, v10
	v_dot4c_i32_i8 v171, v55, v10
	v_dot4c_i32_i8 v172, v59, v10
	v_dot4c_i32_i8 v6, v37, v13
	v_dot4c_i32_i8 v4, v48, v7
	v_dot4c_i32_i8 v170, v52, v7
	v_dot4c_i32_i8 v171, v56, v7
	v_dot4c_i32_i8 v172, v60, v7
	v_mov_b32_e32 v7, 0
	v_dot4c_i32_i8 v4, v57, v11
	v_dot4c_i32_i8 v170, v61, v11
	v_dot4c_i32_i8 v171, v63, v11
	v_dot4c_i32_i8 v172, v65, v11
	v_dot4c_i32_i8 v7, v39, v13
	;; [unrolled: 10-line block ×3, first 2 shown]
	ds_read_b128 v[10:13], v161 offset:2064
	v_dot4c_i32_i8 v4, v3, v9
	v_dot4c_i32_i8 v170, v44, v9
	;; [unrolled: 1-line block ×4, first 2 shown]
	v_cvt_f32_i32_e32 v4, v4
	s_waitcnt lgkmcnt(0)
	v_dot4c_i32_i8 v6, v38, v10
	v_dot4c_i32_i8 v7, v40, v10
	;; [unrolled: 1-line block ×4, first 2 shown]
	v_mov_b32_e32 v10, 0
	v_dot4c_i32_i8 v6, v47, v14
	v_dot4c_i32_i8 v7, v51, v14
	;; [unrolled: 1-line block ×9, first 2 shown]
	v_mov_b32_e32 v11, 0
	v_dot4c_i32_i8 v6, v57, v15
	v_dot4c_i32_i8 v7, v61, v15
	;; [unrolled: 1-line block ×9, first 2 shown]
	v_mov_b32_e32 v12, 0
	v_dot4c_i32_i8 v6, v2, v16
	v_dot4c_i32_i8 v7, v43, v16
	;; [unrolled: 1-line block ×4, first 2 shown]
	ds_read_b128 v[14:17], v161 offset:3088
	v_dot4c_i32_i8 v12, v41, v175
	v_mov_b32_e32 v175, 0
	v_dot4c_i32_i8 v6, v3, v13
	v_dot4c_i32_i8 v7, v44, v13
	;; [unrolled: 1-line block ×4, first 2 shown]
	s_waitcnt lgkmcnt(0)
	v_dot4c_i32_i8 v10, v38, v14
	v_dot4c_i32_i8 v11, v40, v14
	v_dot4c_i32_i8 v12, v42, v14
	v_dot4c_i32_i8 v174, v50, v14
	v_mov_b32_e32 v14, 0
	v_dot4c_i32_i8 v10, v47, v176
	v_dot4c_i32_i8 v11, v51, v176
	v_dot4c_i32_i8 v12, v55, v176
	v_dot4c_i32_i8 v174, v59, v176
	v_dot4c_i32_i8 v10, v48, v15
	v_dot4c_i32_i8 v11, v52, v15
	v_dot4c_i32_i8 v12, v56, v15
	v_dot4c_i32_i8 v174, v60, v15
	v_mov_b32_e32 v15, 0
	v_dot4c_i32_i8 v10, v57, v177
	v_dot4c_i32_i8 v11, v61, v177
	v_dot4c_i32_i8 v12, v63, v177
	v_dot4c_i32_i8 v174, v65, v177
	v_dot4c_i32_i8 v10, v58, v16
	v_dot4c_i32_i8 v11, v62, v16
	v_dot4c_i32_i8 v12, v64, v16
	v_dot4c_i32_i8 v174, v66, v16
	v_mov_b32_e32 v16, 0
	v_dot4c_i32_i8 v10, v2, v178
	v_dot4c_i32_i8 v11, v43, v178
	v_dot4c_i32_i8 v12, v45, v178
	v_dot4c_i32_i8 v174, v53, v178
	ds_read_b128 v[176:179], v161 offset:4096
	v_dot4c_i32_i8 v10, v3, v17
	v_dot4c_i32_i8 v11, v44, v17
	v_dot4c_i32_i8 v12, v46, v17
	v_dot4c_i32_i8 v174, v54, v17
	s_waitcnt lgkmcnt(0)
	v_dot4c_i32_i8 v14, v37, v176
	v_dot4c_i32_i8 v15, v39, v176
	v_dot4c_i32_i8 v16, v41, v176
	v_dot4c_i32_i8 v175, v49, v176
	v_dot4c_i32_i8 v14, v38, v180
	v_dot4c_i32_i8 v15, v40, v180
	v_dot4c_i32_i8 v16, v42, v180
	v_dot4c_i32_i8 v175, v50, v180
	v_mov_b32_e32 v180, 0
	v_dot4c_i32_i8 v14, v47, v177
	v_dot4c_i32_i8 v15, v51, v177
	v_dot4c_i32_i8 v16, v55, v177
	v_dot4c_i32_i8 v175, v59, v177
	v_dot4c_i32_i8 v14, v48, v181
	v_dot4c_i32_i8 v15, v52, v181
	v_dot4c_i32_i8 v16, v56, v181
	v_dot4c_i32_i8 v175, v60, v181
	v_mov_b32_e32 v181, 0
	v_dot4c_i32_i8 v14, v57, v178
	v_dot4c_i32_i8 v15, v61, v178
	v_dot4c_i32_i8 v16, v63, v178
	v_dot4c_i32_i8 v175, v65, v178
	v_dot4c_i32_i8 v14, v58, v182
	v_dot4c_i32_i8 v15, v62, v182
	v_dot4c_i32_i8 v16, v64, v182
	v_dot4c_i32_i8 v175, v66, v182
	v_mov_b32_e32 v182, 0
	v_dot4c_i32_i8 v14, v2, v179
	v_dot4c_i32_i8 v15, v43, v179
	v_dot4c_i32_i8 v16, v45, v179
	v_dot4c_i32_i8 v175, v53, v179
	ds_read_b128 v[176:179], v161 offset:5120
	v_dot4c_i32_i8 v14, v3, v183
	v_dot4c_i32_i8 v15, v44, v183
	v_dot4c_i32_i8 v16, v46, v183
	v_dot4c_i32_i8 v175, v54, v183
	s_waitcnt lgkmcnt(0)
	v_dot4c_i32_i8 v180, v37, v176
	v_dot4c_i32_i8 v181, v39, v176
	v_dot4c_i32_i8 v182, v41, v176
	v_dot4c_i32_i8 v196, v49, v176
	;; [unrolled: 37-line block ×3, first 2 shown]
	v_dot4c_i32_i8 v184, v38, v188
	v_dot4c_i32_i8 v185, v40, v188
	;; [unrolled: 1-line block ×4, first 2 shown]
	v_mov_b32_e32 v188, 0
	v_dot4c_i32_i8 v184, v47, v177
	v_dot4c_i32_i8 v185, v51, v177
	;; [unrolled: 1-line block ×20, first 2 shown]
	ds_read_b128 v[176:179], v161 offset:7168
	v_dot4c_i32_i8 v184, v3, v191
	v_dot4c_i32_i8 v185, v44, v191
	;; [unrolled: 1-line block ×4, first 2 shown]
	v_add_nc_u32_e32 v161, 32, v161
	s_waitcnt lgkmcnt(0)
	v_dot4c_i32_i8 v188, v37, v176
	v_mov_b32_e32 v37, 0
	v_dot4c_i32_i8 v188, v38, v192
	v_mov_b32_e32 v38, 0
	;; [unrolled: 2-line block ×3, first 2 shown]
	v_dot4c_i32_i8 v188, v47, v177
	v_dot4c_i32_i8 v38, v41, v176
	;; [unrolled: 1-line block ×21, first 2 shown]
	ds_read_b32 v5, v163
	ds_read_b32 v9, v164
	;; [unrolled: 1-line block ×4, first 2 shown]
	ds_read2_b32 v[2:3], v159 offset1:32
	v_dot4c_i32_i8 v38, v64, v194
	v_dot4c_i32_i8 v37, v43, v179
	;; [unrolled: 1-line block ×3, first 2 shown]
	v_add_nc_u32_e32 v166, 4, v166
	v_add_nc_u32_e32 v165, 4, v165
	v_dot4c_i32_i8 v38, v45, v179
	v_dot4c_i32_i8 v37, v44, v195
	v_dot4c_i32_i8 v39, v53, v179
	v_add_nc_u32_e32 v164, 4, v164
	v_add_nc_u32_e32 v163, 4, v163
	v_dot4c_i32_i8 v38, v46, v195
	v_dot4c_i32_i8 v39, v54, v195
	s_waitcnt lgkmcnt(0)
	v_mul_f32_e32 v40, v2, v5
	v_mul_f32_e32 v41, v2, v9
	;; [unrolled: 1-line block ×8, first 2 shown]
	ds_read2_b32 v[2:3], v159 offset0:64 offset1:96
	v_fmac_f32_e32 v112, v44, v4
	v_cvt_f32_i32_e32 v4, v6
	v_cvt_f32_i32_e32 v6, v186
	s_waitcnt lgkmcnt(0)
	v_mul_f32_e32 v48, v5, v2
	v_mul_f32_e32 v49, v9, v2
	;; [unrolled: 1-line block ×8, first 2 shown]
	ds_read2_b32 v[2:3], v159 offset0:128 offset1:160
	v_fmac_f32_e32 v93, v48, v4
	v_cvt_f32_i32_e32 v4, v10
	v_cvt_f32_i32_e32 v10, v38
	v_fmac_f32_e32 v87, v52, v4
	v_cvt_f32_i32_e32 v4, v14
	s_waitcnt lgkmcnt(0)
	v_mul_f32_e32 v56, v5, v2
	v_mul_f32_e32 v57, v9, v2
	;; [unrolled: 1-line block ×8, first 2 shown]
	ds_read2_b32 v[2:3], v159 offset0:192 offset1:224
	v_fmac_f32_e32 v82, v56, v4
	v_cvt_f32_i32_e32 v4, v180
	v_add_nc_u32_e32 v159, 4, v159
	v_fmac_f32_e32 v78, v60, v4
	v_cvt_f32_i32_e32 v4, v184
	s_waitcnt lgkmcnt(0)
	v_mul_f32_e32 v64, v5, v2
	v_mul_f32_e32 v5, v5, v3
	;; [unrolled: 1-line block ×5, first 2 shown]
	v_fmac_f32_e32 v74, v64, v4
	v_cvt_f32_i32_e32 v4, v188
	v_mul_f32_e32 v13, v13, v3
	v_mul_f32_e32 v2, v17, v2
	;; [unrolled: 1-line block ×3, first 2 shown]
	v_cvt_f32_i32_e32 v17, v167
	v_fmac_f32_e32 v70, v5, v4
	v_cvt_f32_i32_e32 v4, v160
	v_cvt_f32_i32_e32 v5, v185
	v_fmac_f32_e32 v72, v66, v6
	v_fmac_f32_e32 v88, v40, v17
	;; [unrolled: 1-line block ×4, first 2 shown]
	v_cvt_f32_i32_e32 v4, v168
	v_fmac_f32_e32 v73, v65, v5
	v_fmac_f32_e32 v119, v42, v4
	v_cvt_f32_i32_e32 v4, v169
	v_fmac_f32_e32 v118, v43, v4
	v_cvt_f32_i32_e32 v4, v170
	;; [unrolled: 2-line block ×5, first 2 shown]
	v_cvt_f32_i32_e32 v7, v197
	v_fmac_f32_e32 v91, v49, v4
	v_cvt_f32_i32_e32 v4, v8
	v_cvt_f32_i32_e32 v8, v37
	v_fmac_f32_e32 v71, v2, v7
	v_fmac_f32_e32 v90, v50, v4
	v_cvt_f32_i32_e32 v4, v173
	v_fmac_f32_e32 v69, v9, v8
	v_fmac_f32_e32 v89, v51, v4
	v_cvt_f32_i32_e32 v4, v11
	v_cvt_f32_i32_e32 v11, v39
	v_fmac_f32_e32 v85, v53, v4
	v_cvt_f32_i32_e32 v4, v12
	v_fmac_f32_e32 v67, v3, v11
	v_fmac_f32_e32 v84, v54, v4
	v_cvt_f32_i32_e32 v4, v174
	v_fmac_f32_e32 v83, v55, v4
	v_cvt_f32_i32_e32 v4, v15
	;; [unrolled: 2-line block ×7, first 2 shown]
	v_fmac_f32_e32 v75, v63, v4
	s_cbranch_scc1 .LBB162_11
; %bb.12:                               ;   in Loop: Header=BB162_6 Depth=1
	s_barrier
	buffer_gl0_inv
	s_branch .LBB162_5
.LBB162_13:
	v_mov_b32_e32 v2, v86
.LBB162_14:
	s_mov_b32 s0, exec_lo
	v_cmpx_gt_u32_e64 s10, v2
	s_cbranch_execz .LBB162_65
; %bb.15:
	v_add_nc_u32_e32 v0, s6, v0
	v_mul_lo_u32 v5, v2, s14
	v_cmp_gt_u32_e64 s0, s14, v0
	s_and_saveexec_b32 s1, s0
	s_cbranch_execz .LBB162_17
; %bb.16:
	v_add_nc_u32_e32 v2, v0, v5
	v_mov_b32_e32 v3, 0
	v_bfe_u32 v4, v88, 16, 1
	v_cmp_o_f32_e32 vcc_lo, v88, v88
	v_mov_b32_e32 v6, 0x7fc0
	v_lshlrev_b64 v[2:3], 1, v[2:3]
	v_add3_u32 v4, v88, v4, 0x7fff
	v_cndmask_b32_sdwa v4, v6, v4, vcc_lo dst_sel:DWORD dst_unused:UNUSED_PAD src0_sel:DWORD src1_sel:WORD_1
	s_waitcnt lgkmcnt(0)
	v_add_co_u32 v2, vcc_lo, s12, v2
	v_add_co_ci_u32_e64 v3, null, s13, v3, vcc_lo
	global_store_short v[2:3], v4, off
.LBB162_17:
	s_or_b32 exec_lo, exec_lo, s1
	v_add_nc_u32_e32 v2, 32, v0
	v_cmp_gt_u32_e64 s1, s14, v2
	s_and_saveexec_b32 s2, s1
	s_cbranch_execz .LBB162_19
; %bb.18:
	v_add_nc_u32_e32 v3, v2, v5
	v_mov_b32_e32 v4, 0
	v_bfe_u32 v6, v120, 16, 1
	v_cmp_o_f32_e32 vcc_lo, v120, v120
	v_mov_b32_e32 v7, 0x7fc0
	v_lshlrev_b64 v[3:4], 1, v[3:4]
	v_add3_u32 v6, v120, v6, 0x7fff
	v_cndmask_b32_sdwa v6, v7, v6, vcc_lo dst_sel:DWORD dst_unused:UNUSED_PAD src0_sel:DWORD src1_sel:WORD_1
	s_waitcnt lgkmcnt(0)
	v_add_co_u32 v3, vcc_lo, s12, v3
	v_add_co_ci_u32_e64 v4, null, s13, v4, vcc_lo
	global_store_short v[3:4], v6, off
.LBB162_19:
	s_or_b32 exec_lo, exec_lo, s2
	v_add_nc_u32_e32 v3, 64, v0
	v_cmp_gt_u32_e64 s2, s14, v3
	s_and_saveexec_b32 s3, s2
	s_cbranch_execz .LBB162_21
; %bb.20:
	v_add_nc_u32_e32 v6, v3, v5
	v_mov_b32_e32 v7, 0
	v_bfe_u32 v4, v119, 16, 1
	v_cmp_o_f32_e32 vcc_lo, v119, v119
	v_mov_b32_e32 v8, 0x7fc0
	v_lshlrev_b64 v[6:7], 1, v[6:7]
	v_add3_u32 v4, v119, v4, 0x7fff
	v_cndmask_b32_sdwa v4, v8, v4, vcc_lo dst_sel:DWORD dst_unused:UNUSED_PAD src0_sel:DWORD src1_sel:WORD_1
	s_waitcnt lgkmcnt(0)
	v_add_co_u32 v6, vcc_lo, s12, v6
	v_add_co_ci_u32_e64 v7, null, s13, v7, vcc_lo
	global_store_short v[6:7], v4, off
.LBB162_21:
	s_or_b32 exec_lo, exec_lo, s3
	v_add_nc_u32_e32 v4, 0x60, v0
	v_cmp_gt_u32_e64 s3, s14, v4
	s_and_saveexec_b32 s4, s3
	s_cbranch_execz .LBB162_23
; %bb.22:
	v_add_nc_u32_e32 v5, v4, v5
	v_mov_b32_e32 v6, 0
	v_bfe_u32 v7, v118, 16, 1
	v_cmp_o_f32_e32 vcc_lo, v118, v118
	v_mov_b32_e32 v8, 0x7fc0
	v_lshlrev_b64 v[5:6], 1, v[5:6]
	v_add3_u32 v7, v118, v7, 0x7fff
	v_cndmask_b32_sdwa v7, v8, v7, vcc_lo dst_sel:DWORD dst_unused:UNUSED_PAD src0_sel:DWORD src1_sel:WORD_1
	s_waitcnt lgkmcnt(0)
	v_add_co_u32 v5, vcc_lo, s12, v5
	v_add_co_ci_u32_e64 v6, null, s13, v6, vcc_lo
	global_store_short v[5:6], v7, off
.LBB162_23:
	s_or_b32 exec_lo, exec_lo, s4
	v_add3_u32 v5, v1, s7, 8
	v_cmp_gt_u32_e32 vcc_lo, s10, v5
	s_and_b32 exec_lo, exec_lo, vcc_lo
	s_cbranch_execz .LBB162_65
; %bb.24:
	v_mul_lo_u32 v5, v5, s14
	s_and_saveexec_b32 s4, s0
	s_cbranch_execnz .LBB162_66
; %bb.25:
	s_or_b32 exec_lo, exec_lo, s4
	s_and_saveexec_b32 s4, s1
	s_cbranch_execnz .LBB162_67
.LBB162_26:
	s_or_b32 exec_lo, exec_lo, s4
	s_and_saveexec_b32 s4, s2
	s_cbranch_execnz .LBB162_68
.LBB162_27:
	s_or_b32 exec_lo, exec_lo, s4
	s_and_saveexec_b32 s4, s3
	s_cbranch_execz .LBB162_29
.LBB162_28:
	v_add_nc_u32_e32 v5, v5, v4
	v_mov_b32_e32 v6, 0
	v_bfe_u32 v7, v98, 16, 1
	v_cmp_o_f32_e32 vcc_lo, v98, v98
	v_mov_b32_e32 v8, 0x7fc0
	v_lshlrev_b64 v[5:6], 1, v[5:6]
	v_add3_u32 v7, v98, v7, 0x7fff
	v_cndmask_b32_sdwa v7, v8, v7, vcc_lo dst_sel:DWORD dst_unused:UNUSED_PAD src0_sel:DWORD src1_sel:WORD_1
	s_waitcnt lgkmcnt(0)
	v_add_co_u32 v5, vcc_lo, s12, v5
	v_add_co_ci_u32_e64 v6, null, s13, v6, vcc_lo
	global_store_short v[5:6], v7, off
.LBB162_29:
	s_or_b32 exec_lo, exec_lo, s4
	v_add3_u32 v5, v1, s7, 16
	v_cmp_gt_u32_e32 vcc_lo, s10, v5
	s_and_b32 exec_lo, exec_lo, vcc_lo
	s_cbranch_execz .LBB162_65
; %bb.30:
	v_mul_lo_u32 v5, v5, s14
	s_and_saveexec_b32 s4, s0
	s_cbranch_execnz .LBB162_69
; %bb.31:
	s_or_b32 exec_lo, exec_lo, s4
	s_and_saveexec_b32 s4, s1
	s_cbranch_execnz .LBB162_70
.LBB162_32:
	s_or_b32 exec_lo, exec_lo, s4
	s_and_saveexec_b32 s4, s2
	s_cbranch_execnz .LBB162_71
.LBB162_33:
	s_or_b32 exec_lo, exec_lo, s4
	s_and_saveexec_b32 s4, s3
	s_cbranch_execz .LBB162_35
.LBB162_34:
	v_add_nc_u32_e32 v5, v5, v4
	v_mov_b32_e32 v6, 0
	v_bfe_u32 v7, v89, 16, 1
	v_cmp_o_f32_e32 vcc_lo, v89, v89
	v_mov_b32_e32 v8, 0x7fc0
	v_lshlrev_b64 v[5:6], 1, v[5:6]
	v_add3_u32 v7, v89, v7, 0x7fff
	v_cndmask_b32_sdwa v7, v8, v7, vcc_lo dst_sel:DWORD dst_unused:UNUSED_PAD src0_sel:DWORD src1_sel:WORD_1
	s_waitcnt lgkmcnt(0)
	v_add_co_u32 v5, vcc_lo, s12, v5
	v_add_co_ci_u32_e64 v6, null, s13, v6, vcc_lo
	global_store_short v[5:6], v7, off
.LBB162_35:
	s_or_b32 exec_lo, exec_lo, s4
	v_add3_u32 v5, v1, s7, 24
	v_cmp_gt_u32_e32 vcc_lo, s10, v5
	s_and_b32 exec_lo, exec_lo, vcc_lo
	s_cbranch_execz .LBB162_65
; %bb.36:
	v_mul_lo_u32 v5, v5, s14
	s_and_saveexec_b32 s4, s0
	s_cbranch_execnz .LBB162_72
; %bb.37:
	s_or_b32 exec_lo, exec_lo, s4
	s_and_saveexec_b32 s4, s1
	s_cbranch_execnz .LBB162_73
.LBB162_38:
	s_or_b32 exec_lo, exec_lo, s4
	s_and_saveexec_b32 s4, s2
	s_cbranch_execnz .LBB162_74
.LBB162_39:
	s_or_b32 exec_lo, exec_lo, s4
	s_and_saveexec_b32 s4, s3
	s_cbranch_execz .LBB162_41
.LBB162_40:
	v_add_nc_u32_e32 v5, v5, v4
	v_mov_b32_e32 v6, 0
	v_bfe_u32 v7, v83, 16, 1
	v_cmp_o_f32_e32 vcc_lo, v83, v83
	v_mov_b32_e32 v8, 0x7fc0
	v_lshlrev_b64 v[5:6], 1, v[5:6]
	v_add3_u32 v7, v83, v7, 0x7fff
	v_cndmask_b32_sdwa v7, v8, v7, vcc_lo dst_sel:DWORD dst_unused:UNUSED_PAD src0_sel:DWORD src1_sel:WORD_1
	s_waitcnt lgkmcnt(0)
	v_add_co_u32 v5, vcc_lo, s12, v5
	v_add_co_ci_u32_e64 v6, null, s13, v6, vcc_lo
	global_store_short v[5:6], v7, off
.LBB162_41:
	s_or_b32 exec_lo, exec_lo, s4
	v_add3_u32 v5, v1, s7, 32
	v_cmp_gt_u32_e32 vcc_lo, s10, v5
	s_and_b32 exec_lo, exec_lo, vcc_lo
	s_cbranch_execz .LBB162_65
; %bb.42:
	v_mul_lo_u32 v5, v5, s14
	s_and_saveexec_b32 s4, s0
	s_cbranch_execnz .LBB162_75
; %bb.43:
	s_or_b32 exec_lo, exec_lo, s4
	s_and_saveexec_b32 s4, s1
	s_cbranch_execnz .LBB162_76
.LBB162_44:
	s_or_b32 exec_lo, exec_lo, s4
	s_and_saveexec_b32 s4, s2
	s_cbranch_execnz .LBB162_77
.LBB162_45:
	s_or_b32 exec_lo, exec_lo, s4
	s_and_saveexec_b32 s4, s3
	s_cbranch_execz .LBB162_47
.LBB162_46:
	v_add_nc_u32_e32 v5, v5, v4
	v_mov_b32_e32 v6, 0
	v_bfe_u32 v7, v79, 16, 1
	v_cmp_o_f32_e32 vcc_lo, v79, v79
	v_mov_b32_e32 v8, 0x7fc0
	v_lshlrev_b64 v[5:6], 1, v[5:6]
	v_add3_u32 v7, v79, v7, 0x7fff
	v_cndmask_b32_sdwa v7, v8, v7, vcc_lo dst_sel:DWORD dst_unused:UNUSED_PAD src0_sel:DWORD src1_sel:WORD_1
	s_waitcnt lgkmcnt(0)
	v_add_co_u32 v5, vcc_lo, s12, v5
	v_add_co_ci_u32_e64 v6, null, s13, v6, vcc_lo
	global_store_short v[5:6], v7, off
.LBB162_47:
	s_or_b32 exec_lo, exec_lo, s4
	v_add3_u32 v5, v1, s7, 40
	v_cmp_gt_u32_e32 vcc_lo, s10, v5
	s_and_b32 exec_lo, exec_lo, vcc_lo
	s_cbranch_execz .LBB162_65
; %bb.48:
	v_mul_lo_u32 v5, v5, s14
	s_and_saveexec_b32 s4, s0
	s_cbranch_execnz .LBB162_78
; %bb.49:
	s_or_b32 exec_lo, exec_lo, s4
	s_and_saveexec_b32 s4, s1
	s_cbranch_execnz .LBB162_79
.LBB162_50:
	s_or_b32 exec_lo, exec_lo, s4
	s_and_saveexec_b32 s4, s2
	s_cbranch_execnz .LBB162_80
.LBB162_51:
	s_or_b32 exec_lo, exec_lo, s4
	s_and_saveexec_b32 s4, s3
	s_cbranch_execz .LBB162_53
.LBB162_52:
	v_add_nc_u32_e32 v5, v5, v4
	v_mov_b32_e32 v6, 0
	v_bfe_u32 v7, v75, 16, 1
	v_cmp_o_f32_e32 vcc_lo, v75, v75
	v_mov_b32_e32 v8, 0x7fc0
	v_lshlrev_b64 v[5:6], 1, v[5:6]
	v_add3_u32 v7, v75, v7, 0x7fff
	v_cndmask_b32_sdwa v7, v8, v7, vcc_lo dst_sel:DWORD dst_unused:UNUSED_PAD src0_sel:DWORD src1_sel:WORD_1
	s_waitcnt lgkmcnt(0)
	v_add_co_u32 v5, vcc_lo, s12, v5
	v_add_co_ci_u32_e64 v6, null, s13, v6, vcc_lo
	global_store_short v[5:6], v7, off
.LBB162_53:
	s_or_b32 exec_lo, exec_lo, s4
	v_add3_u32 v5, v1, s7, 48
	v_cmp_gt_u32_e32 vcc_lo, s10, v5
	s_and_b32 exec_lo, exec_lo, vcc_lo
	s_cbranch_execz .LBB162_65
; %bb.54:
	v_mul_lo_u32 v5, v5, s14
	s_and_saveexec_b32 s4, s0
	s_cbranch_execnz .LBB162_81
; %bb.55:
	s_or_b32 exec_lo, exec_lo, s4
	s_and_saveexec_b32 s4, s1
	s_cbranch_execnz .LBB162_82
.LBB162_56:
	s_or_b32 exec_lo, exec_lo, s4
	s_and_saveexec_b32 s4, s2
	s_cbranch_execnz .LBB162_83
.LBB162_57:
	s_or_b32 exec_lo, exec_lo, s4
	s_and_saveexec_b32 s4, s3
	s_cbranch_execz .LBB162_59
.LBB162_58:
	v_add_nc_u32_e32 v5, v5, v4
	v_mov_b32_e32 v6, 0
	v_bfe_u32 v7, v71, 16, 1
	v_cmp_o_f32_e32 vcc_lo, v71, v71
	v_mov_b32_e32 v8, 0x7fc0
	v_lshlrev_b64 v[5:6], 1, v[5:6]
	v_add3_u32 v7, v71, v7, 0x7fff
	v_cndmask_b32_sdwa v7, v8, v7, vcc_lo dst_sel:DWORD dst_unused:UNUSED_PAD src0_sel:DWORD src1_sel:WORD_1
	s_waitcnt lgkmcnt(0)
	v_add_co_u32 v5, vcc_lo, s12, v5
	v_add_co_ci_u32_e64 v6, null, s13, v6, vcc_lo
	global_store_short v[5:6], v7, off
.LBB162_59:
	s_or_b32 exec_lo, exec_lo, s4
	v_add3_u32 v1, v1, s7, 56
	v_cmp_gt_u32_e32 vcc_lo, s10, v1
	s_and_b32 exec_lo, exec_lo, vcc_lo
	s_cbranch_execz .LBB162_65
; %bb.60:
	v_mul_lo_u32 v1, v1, s14
	s_and_saveexec_b32 s4, s0
	s_cbranch_execnz .LBB162_84
; %bb.61:
	s_or_b32 exec_lo, exec_lo, s4
	s_and_saveexec_b32 s0, s1
	s_cbranch_execnz .LBB162_85
.LBB162_62:
	s_or_b32 exec_lo, exec_lo, s0
	s_and_saveexec_b32 s0, s2
	s_cbranch_execnz .LBB162_86
.LBB162_63:
	s_or_b32 exec_lo, exec_lo, s0
	s_and_b32 exec_lo, exec_lo, s3
	s_cbranch_execz .LBB162_65
.LBB162_64:
	v_add_nc_u32_e32 v0, v1, v4
	v_mov_b32_e32 v1, 0
	v_bfe_u32 v2, v67, 16, 1
	v_cmp_o_f32_e32 vcc_lo, v67, v67
	v_mov_b32_e32 v3, 0x7fc0
	v_lshlrev_b64 v[0:1], 1, v[0:1]
	v_add3_u32 v2, v67, v2, 0x7fff
	v_cndmask_b32_sdwa v2, v3, v2, vcc_lo dst_sel:DWORD dst_unused:UNUSED_PAD src0_sel:DWORD src1_sel:WORD_1
	s_waitcnt lgkmcnt(0)
	v_add_co_u32 v0, vcc_lo, s12, v0
	v_add_co_ci_u32_e64 v1, null, s13, v1, vcc_lo
	global_store_short v[0:1], v2, off
.LBB162_65:
	s_endpgm
.LBB162_66:
	v_add_nc_u32_e32 v6, v5, v0
	v_mov_b32_e32 v7, 0
	v_bfe_u32 v8, v112, 16, 1
	v_cmp_o_f32_e32 vcc_lo, v112, v112
	v_mov_b32_e32 v9, 0x7fc0
	v_lshlrev_b64 v[6:7], 1, v[6:7]
	v_add3_u32 v8, v112, v8, 0x7fff
	v_cndmask_b32_sdwa v8, v9, v8, vcc_lo dst_sel:DWORD dst_unused:UNUSED_PAD src0_sel:DWORD src1_sel:WORD_1
	s_waitcnt lgkmcnt(0)
	v_add_co_u32 v6, vcc_lo, s12, v6
	v_add_co_ci_u32_e64 v7, null, s13, v7, vcc_lo
	global_store_short v[6:7], v8, off
	s_or_b32 exec_lo, exec_lo, s4
	s_and_saveexec_b32 s4, s1
	s_cbranch_execz .LBB162_26
.LBB162_67:
	v_add_nc_u32_e32 v6, v5, v2
	v_mov_b32_e32 v7, 0
	v_bfe_u32 v8, v108, 16, 1
	v_cmp_o_f32_e32 vcc_lo, v108, v108
	v_mov_b32_e32 v9, 0x7fc0
	v_lshlrev_b64 v[6:7], 1, v[6:7]
	v_add3_u32 v8, v108, v8, 0x7fff
	v_cndmask_b32_sdwa v8, v9, v8, vcc_lo dst_sel:DWORD dst_unused:UNUSED_PAD src0_sel:DWORD src1_sel:WORD_1
	s_waitcnt lgkmcnt(0)
	v_add_co_u32 v6, vcc_lo, s12, v6
	v_add_co_ci_u32_e64 v7, null, s13, v7, vcc_lo
	global_store_short v[6:7], v8, off
	s_or_b32 exec_lo, exec_lo, s4
	s_and_saveexec_b32 s4, s2
	s_cbranch_execz .LBB162_27
.LBB162_68:
	v_add_nc_u32_e32 v6, v5, v3
	v_mov_b32_e32 v7, 0
	v_bfe_u32 v8, v104, 16, 1
	v_cmp_o_f32_e32 vcc_lo, v104, v104
	v_mov_b32_e32 v9, 0x7fc0
	v_lshlrev_b64 v[6:7], 1, v[6:7]
	v_add3_u32 v8, v104, v8, 0x7fff
	v_cndmask_b32_sdwa v8, v9, v8, vcc_lo dst_sel:DWORD dst_unused:UNUSED_PAD src0_sel:DWORD src1_sel:WORD_1
	s_waitcnt lgkmcnt(0)
	v_add_co_u32 v6, vcc_lo, s12, v6
	v_add_co_ci_u32_e64 v7, null, s13, v7, vcc_lo
	global_store_short v[6:7], v8, off
	s_or_b32 exec_lo, exec_lo, s4
	s_and_saveexec_b32 s4, s3
	s_cbranch_execnz .LBB162_28
	s_branch .LBB162_29
.LBB162_69:
	v_add_nc_u32_e32 v6, v5, v0
	v_mov_b32_e32 v7, 0
	v_bfe_u32 v8, v93, 16, 1
	v_cmp_o_f32_e32 vcc_lo, v93, v93
	v_mov_b32_e32 v9, 0x7fc0
	v_lshlrev_b64 v[6:7], 1, v[6:7]
	v_add3_u32 v8, v93, v8, 0x7fff
	v_cndmask_b32_sdwa v8, v9, v8, vcc_lo dst_sel:DWORD dst_unused:UNUSED_PAD src0_sel:DWORD src1_sel:WORD_1
	s_waitcnt lgkmcnt(0)
	v_add_co_u32 v6, vcc_lo, s12, v6
	v_add_co_ci_u32_e64 v7, null, s13, v7, vcc_lo
	global_store_short v[6:7], v8, off
	s_or_b32 exec_lo, exec_lo, s4
	s_and_saveexec_b32 s4, s1
	s_cbranch_execz .LBB162_32
.LBB162_70:
	v_add_nc_u32_e32 v6, v5, v2
	v_mov_b32_e32 v7, 0
	v_bfe_u32 v8, v91, 16, 1
	v_cmp_o_f32_e32 vcc_lo, v91, v91
	v_mov_b32_e32 v9, 0x7fc0
	v_lshlrev_b64 v[6:7], 1, v[6:7]
	v_add3_u32 v8, v91, v8, 0x7fff
	v_cndmask_b32_sdwa v8, v9, v8, vcc_lo dst_sel:DWORD dst_unused:UNUSED_PAD src0_sel:DWORD src1_sel:WORD_1
	s_waitcnt lgkmcnt(0)
	v_add_co_u32 v6, vcc_lo, s12, v6
	v_add_co_ci_u32_e64 v7, null, s13, v7, vcc_lo
	global_store_short v[6:7], v8, off
	s_or_b32 exec_lo, exec_lo, s4
	s_and_saveexec_b32 s4, s2
	s_cbranch_execz .LBB162_33
.LBB162_71:
	v_add_nc_u32_e32 v6, v5, v3
	v_mov_b32_e32 v7, 0
	v_bfe_u32 v8, v90, 16, 1
	v_cmp_o_f32_e32 vcc_lo, v90, v90
	v_mov_b32_e32 v9, 0x7fc0
	v_lshlrev_b64 v[6:7], 1, v[6:7]
	v_add3_u32 v8, v90, v8, 0x7fff
	v_cndmask_b32_sdwa v8, v9, v8, vcc_lo dst_sel:DWORD dst_unused:UNUSED_PAD src0_sel:DWORD src1_sel:WORD_1
	s_waitcnt lgkmcnt(0)
	v_add_co_u32 v6, vcc_lo, s12, v6
	v_add_co_ci_u32_e64 v7, null, s13, v7, vcc_lo
	global_store_short v[6:7], v8, off
	s_or_b32 exec_lo, exec_lo, s4
	s_and_saveexec_b32 s4, s3
	s_cbranch_execnz .LBB162_34
	s_branch .LBB162_35
.LBB162_72:
	v_add_nc_u32_e32 v6, v5, v0
	v_mov_b32_e32 v7, 0
	v_bfe_u32 v8, v87, 16, 1
	v_cmp_o_f32_e32 vcc_lo, v87, v87
	v_mov_b32_e32 v9, 0x7fc0
	v_lshlrev_b64 v[6:7], 1, v[6:7]
	v_add3_u32 v8, v87, v8, 0x7fff
	v_cndmask_b32_sdwa v8, v9, v8, vcc_lo dst_sel:DWORD dst_unused:UNUSED_PAD src0_sel:DWORD src1_sel:WORD_1
	s_waitcnt lgkmcnt(0)
	v_add_co_u32 v6, vcc_lo, s12, v6
	v_add_co_ci_u32_e64 v7, null, s13, v7, vcc_lo
	global_store_short v[6:7], v8, off
	s_or_b32 exec_lo, exec_lo, s4
	s_and_saveexec_b32 s4, s1
	s_cbranch_execz .LBB162_38
.LBB162_73:
	v_add_nc_u32_e32 v6, v5, v2
	v_mov_b32_e32 v7, 0
	v_bfe_u32 v8, v85, 16, 1
	v_cmp_o_f32_e32 vcc_lo, v85, v85
	v_mov_b32_e32 v9, 0x7fc0
	v_lshlrev_b64 v[6:7], 1, v[6:7]
	v_add3_u32 v8, v85, v8, 0x7fff
	v_cndmask_b32_sdwa v8, v9, v8, vcc_lo dst_sel:DWORD dst_unused:UNUSED_PAD src0_sel:DWORD src1_sel:WORD_1
	s_waitcnt lgkmcnt(0)
	v_add_co_u32 v6, vcc_lo, s12, v6
	v_add_co_ci_u32_e64 v7, null, s13, v7, vcc_lo
	global_store_short v[6:7], v8, off
	s_or_b32 exec_lo, exec_lo, s4
	s_and_saveexec_b32 s4, s2
	s_cbranch_execz .LBB162_39
.LBB162_74:
	v_add_nc_u32_e32 v6, v5, v3
	v_mov_b32_e32 v7, 0
	v_bfe_u32 v8, v84, 16, 1
	v_cmp_o_f32_e32 vcc_lo, v84, v84
	v_mov_b32_e32 v9, 0x7fc0
	v_lshlrev_b64 v[6:7], 1, v[6:7]
	v_add3_u32 v8, v84, v8, 0x7fff
	v_cndmask_b32_sdwa v8, v9, v8, vcc_lo dst_sel:DWORD dst_unused:UNUSED_PAD src0_sel:DWORD src1_sel:WORD_1
	s_waitcnt lgkmcnt(0)
	v_add_co_u32 v6, vcc_lo, s12, v6
	v_add_co_ci_u32_e64 v7, null, s13, v7, vcc_lo
	global_store_short v[6:7], v8, off
	s_or_b32 exec_lo, exec_lo, s4
	s_and_saveexec_b32 s4, s3
	s_cbranch_execnz .LBB162_40
	s_branch .LBB162_41
.LBB162_75:
	v_add_nc_u32_e32 v6, v5, v0
	v_mov_b32_e32 v7, 0
	v_bfe_u32 v8, v82, 16, 1
	v_cmp_o_f32_e32 vcc_lo, v82, v82
	v_mov_b32_e32 v9, 0x7fc0
	v_lshlrev_b64 v[6:7], 1, v[6:7]
	v_add3_u32 v8, v82, v8, 0x7fff
	v_cndmask_b32_sdwa v8, v9, v8, vcc_lo dst_sel:DWORD dst_unused:UNUSED_PAD src0_sel:DWORD src1_sel:WORD_1
	s_waitcnt lgkmcnt(0)
	v_add_co_u32 v6, vcc_lo, s12, v6
	v_add_co_ci_u32_e64 v7, null, s13, v7, vcc_lo
	global_store_short v[6:7], v8, off
	s_or_b32 exec_lo, exec_lo, s4
	s_and_saveexec_b32 s4, s1
	s_cbranch_execz .LBB162_44
.LBB162_76:
	v_add_nc_u32_e32 v6, v5, v2
	v_mov_b32_e32 v7, 0
	v_bfe_u32 v8, v81, 16, 1
	v_cmp_o_f32_e32 vcc_lo, v81, v81
	v_mov_b32_e32 v9, 0x7fc0
	v_lshlrev_b64 v[6:7], 1, v[6:7]
	v_add3_u32 v8, v81, v8, 0x7fff
	v_cndmask_b32_sdwa v8, v9, v8, vcc_lo dst_sel:DWORD dst_unused:UNUSED_PAD src0_sel:DWORD src1_sel:WORD_1
	s_waitcnt lgkmcnt(0)
	v_add_co_u32 v6, vcc_lo, s12, v6
	v_add_co_ci_u32_e64 v7, null, s13, v7, vcc_lo
	global_store_short v[6:7], v8, off
	s_or_b32 exec_lo, exec_lo, s4
	s_and_saveexec_b32 s4, s2
	s_cbranch_execz .LBB162_45
.LBB162_77:
	v_add_nc_u32_e32 v6, v5, v3
	v_mov_b32_e32 v7, 0
	v_bfe_u32 v8, v80, 16, 1
	v_cmp_o_f32_e32 vcc_lo, v80, v80
	v_mov_b32_e32 v9, 0x7fc0
	v_lshlrev_b64 v[6:7], 1, v[6:7]
	v_add3_u32 v8, v80, v8, 0x7fff
	v_cndmask_b32_sdwa v8, v9, v8, vcc_lo dst_sel:DWORD dst_unused:UNUSED_PAD src0_sel:DWORD src1_sel:WORD_1
	s_waitcnt lgkmcnt(0)
	v_add_co_u32 v6, vcc_lo, s12, v6
	v_add_co_ci_u32_e64 v7, null, s13, v7, vcc_lo
	global_store_short v[6:7], v8, off
	s_or_b32 exec_lo, exec_lo, s4
	s_and_saveexec_b32 s4, s3
	s_cbranch_execnz .LBB162_46
	s_branch .LBB162_47
.LBB162_78:
	v_add_nc_u32_e32 v6, v5, v0
	v_mov_b32_e32 v7, 0
	v_bfe_u32 v8, v78, 16, 1
	v_cmp_o_f32_e32 vcc_lo, v78, v78
	v_mov_b32_e32 v9, 0x7fc0
	v_lshlrev_b64 v[6:7], 1, v[6:7]
	v_add3_u32 v8, v78, v8, 0x7fff
	v_cndmask_b32_sdwa v8, v9, v8, vcc_lo dst_sel:DWORD dst_unused:UNUSED_PAD src0_sel:DWORD src1_sel:WORD_1
	s_waitcnt lgkmcnt(0)
	v_add_co_u32 v6, vcc_lo, s12, v6
	v_add_co_ci_u32_e64 v7, null, s13, v7, vcc_lo
	global_store_short v[6:7], v8, off
	s_or_b32 exec_lo, exec_lo, s4
	s_and_saveexec_b32 s4, s1
	s_cbranch_execz .LBB162_50
.LBB162_79:
	v_add_nc_u32_e32 v6, v5, v2
	v_mov_b32_e32 v7, 0
	v_bfe_u32 v8, v77, 16, 1
	v_cmp_o_f32_e32 vcc_lo, v77, v77
	v_mov_b32_e32 v9, 0x7fc0
	v_lshlrev_b64 v[6:7], 1, v[6:7]
	v_add3_u32 v8, v77, v8, 0x7fff
	v_cndmask_b32_sdwa v8, v9, v8, vcc_lo dst_sel:DWORD dst_unused:UNUSED_PAD src0_sel:DWORD src1_sel:WORD_1
	s_waitcnt lgkmcnt(0)
	v_add_co_u32 v6, vcc_lo, s12, v6
	v_add_co_ci_u32_e64 v7, null, s13, v7, vcc_lo
	global_store_short v[6:7], v8, off
	s_or_b32 exec_lo, exec_lo, s4
	s_and_saveexec_b32 s4, s2
	s_cbranch_execz .LBB162_51
.LBB162_80:
	v_add_nc_u32_e32 v6, v5, v3
	v_mov_b32_e32 v7, 0
	v_bfe_u32 v8, v76, 16, 1
	v_cmp_o_f32_e32 vcc_lo, v76, v76
	v_mov_b32_e32 v9, 0x7fc0
	v_lshlrev_b64 v[6:7], 1, v[6:7]
	v_add3_u32 v8, v76, v8, 0x7fff
	v_cndmask_b32_sdwa v8, v9, v8, vcc_lo dst_sel:DWORD dst_unused:UNUSED_PAD src0_sel:DWORD src1_sel:WORD_1
	s_waitcnt lgkmcnt(0)
	v_add_co_u32 v6, vcc_lo, s12, v6
	v_add_co_ci_u32_e64 v7, null, s13, v7, vcc_lo
	global_store_short v[6:7], v8, off
	s_or_b32 exec_lo, exec_lo, s4
	s_and_saveexec_b32 s4, s3
	s_cbranch_execnz .LBB162_52
	s_branch .LBB162_53
.LBB162_81:
	v_add_nc_u32_e32 v6, v5, v0
	v_mov_b32_e32 v7, 0
	v_bfe_u32 v8, v74, 16, 1
	v_cmp_o_f32_e32 vcc_lo, v74, v74
	v_mov_b32_e32 v9, 0x7fc0
	v_lshlrev_b64 v[6:7], 1, v[6:7]
	v_add3_u32 v8, v74, v8, 0x7fff
	v_cndmask_b32_sdwa v8, v9, v8, vcc_lo dst_sel:DWORD dst_unused:UNUSED_PAD src0_sel:DWORD src1_sel:WORD_1
	s_waitcnt lgkmcnt(0)
	v_add_co_u32 v6, vcc_lo, s12, v6
	v_add_co_ci_u32_e64 v7, null, s13, v7, vcc_lo
	global_store_short v[6:7], v8, off
	s_or_b32 exec_lo, exec_lo, s4
	s_and_saveexec_b32 s4, s1
	s_cbranch_execz .LBB162_56
.LBB162_82:
	v_add_nc_u32_e32 v6, v5, v2
	v_mov_b32_e32 v7, 0
	v_bfe_u32 v8, v73, 16, 1
	v_cmp_o_f32_e32 vcc_lo, v73, v73
	v_mov_b32_e32 v9, 0x7fc0
	v_lshlrev_b64 v[6:7], 1, v[6:7]
	v_add3_u32 v8, v73, v8, 0x7fff
	v_cndmask_b32_sdwa v8, v9, v8, vcc_lo dst_sel:DWORD dst_unused:UNUSED_PAD src0_sel:DWORD src1_sel:WORD_1
	s_waitcnt lgkmcnt(0)
	v_add_co_u32 v6, vcc_lo, s12, v6
	v_add_co_ci_u32_e64 v7, null, s13, v7, vcc_lo
	global_store_short v[6:7], v8, off
	s_or_b32 exec_lo, exec_lo, s4
	s_and_saveexec_b32 s4, s2
	s_cbranch_execz .LBB162_57
.LBB162_83:
	v_add_nc_u32_e32 v6, v5, v3
	v_mov_b32_e32 v7, 0
	v_bfe_u32 v8, v72, 16, 1
	v_cmp_o_f32_e32 vcc_lo, v72, v72
	v_mov_b32_e32 v9, 0x7fc0
	v_lshlrev_b64 v[6:7], 1, v[6:7]
	v_add3_u32 v8, v72, v8, 0x7fff
	v_cndmask_b32_sdwa v8, v9, v8, vcc_lo dst_sel:DWORD dst_unused:UNUSED_PAD src0_sel:DWORD src1_sel:WORD_1
	s_waitcnt lgkmcnt(0)
	v_add_co_u32 v6, vcc_lo, s12, v6
	v_add_co_ci_u32_e64 v7, null, s13, v7, vcc_lo
	global_store_short v[6:7], v8, off
	s_or_b32 exec_lo, exec_lo, s4
	s_and_saveexec_b32 s4, s3
	s_cbranch_execnz .LBB162_58
	s_branch .LBB162_59
.LBB162_84:
	v_add_nc_u32_e32 v5, v1, v0
	v_mov_b32_e32 v6, 0
	v_bfe_u32 v7, v70, 16, 1
	v_cmp_o_f32_e32 vcc_lo, v70, v70
	v_mov_b32_e32 v0, 0x7fc0
	v_lshlrev_b64 v[5:6], 1, v[5:6]
	v_add3_u32 v7, v70, v7, 0x7fff
	v_cndmask_b32_sdwa v0, v0, v7, vcc_lo dst_sel:DWORD dst_unused:UNUSED_PAD src0_sel:DWORD src1_sel:WORD_1
	s_waitcnt lgkmcnt(0)
	v_add_co_u32 v5, vcc_lo, s12, v5
	v_add_co_ci_u32_e64 v6, null, s13, v6, vcc_lo
	global_store_short v[5:6], v0, off
	s_or_b32 exec_lo, exec_lo, s4
	s_and_saveexec_b32 s0, s1
	s_cbranch_execz .LBB162_62
.LBB162_85:
	v_add_nc_u32_e32 v5, v1, v2
	v_mov_b32_e32 v6, 0
	v_bfe_u32 v0, v69, 16, 1
	v_cmp_o_f32_e32 vcc_lo, v69, v69
	v_mov_b32_e32 v2, 0x7fc0
	v_lshlrev_b64 v[5:6], 1, v[5:6]
	v_add3_u32 v0, v69, v0, 0x7fff
	v_cndmask_b32_sdwa v0, v2, v0, vcc_lo dst_sel:DWORD dst_unused:UNUSED_PAD src0_sel:DWORD src1_sel:WORD_1
	s_waitcnt lgkmcnt(0)
	v_add_co_u32 v5, vcc_lo, s12, v5
	v_add_co_ci_u32_e64 v6, null, s13, v6, vcc_lo
	global_store_short v[5:6], v0, off
	s_or_b32 exec_lo, exec_lo, s0
	s_and_saveexec_b32 s0, s2
	s_cbranch_execz .LBB162_63
.LBB162_86:
	v_add_nc_u32_e32 v2, v1, v3
	v_mov_b32_e32 v3, 0
	v_bfe_u32 v0, v68, 16, 1
	v_cmp_o_f32_e32 vcc_lo, v68, v68
	v_mov_b32_e32 v5, 0x7fc0
	v_lshlrev_b64 v[2:3], 1, v[2:3]
	v_add3_u32 v0, v68, v0, 0x7fff
	v_cndmask_b32_sdwa v0, v5, v0, vcc_lo dst_sel:DWORD dst_unused:UNUSED_PAD src0_sel:DWORD src1_sel:WORD_1
	s_waitcnt lgkmcnt(0)
	v_add_co_u32 v2, vcc_lo, s12, v2
	v_add_co_ci_u32_e64 v3, null, s13, v3, vcc_lo
	global_store_short v[2:3], v0, off
	s_or_b32 exec_lo, exec_lo, s0
	s_and_b32 exec_lo, exec_lo, s3
	s_cbranch_execnz .LBB162_64
	s_branch .LBB162_65
	.section	.rodata,"a",@progbits
	.p2align	6, 0x0
	.amdhsa_kernel _ZL12mul_mat_q5_0IN3c108BFloat16ELb1EEvPKvS3_PT_iiiii
		.amdhsa_group_segment_fixed_size 46720
		.amdhsa_private_segment_fixed_size 0
		.amdhsa_kernarg_size 44
		.amdhsa_user_sgpr_count 6
		.amdhsa_user_sgpr_private_segment_buffer 1
		.amdhsa_user_sgpr_dispatch_ptr 0
		.amdhsa_user_sgpr_queue_ptr 0
		.amdhsa_user_sgpr_kernarg_segment_ptr 1
		.amdhsa_user_sgpr_dispatch_id 0
		.amdhsa_user_sgpr_flat_scratch_init 0
		.amdhsa_user_sgpr_private_segment_size 0
		.amdhsa_wavefront_size32 1
		.amdhsa_uses_dynamic_stack 0
		.amdhsa_system_sgpr_private_segment_wavefront_offset 0
		.amdhsa_system_sgpr_workgroup_id_x 1
		.amdhsa_system_sgpr_workgroup_id_y 1
		.amdhsa_system_sgpr_workgroup_id_z 0
		.amdhsa_system_sgpr_workgroup_info 0
		.amdhsa_system_vgpr_workitem_id 1
		.amdhsa_next_free_vgpr 200
		.amdhsa_next_free_sgpr 15
		.amdhsa_reserve_vcc 1
		.amdhsa_reserve_flat_scratch 0
		.amdhsa_float_round_mode_32 0
		.amdhsa_float_round_mode_16_64 0
		.amdhsa_float_denorm_mode_32 3
		.amdhsa_float_denorm_mode_16_64 3
		.amdhsa_dx10_clamp 1
		.amdhsa_ieee_mode 1
		.amdhsa_fp16_overflow 0
		.amdhsa_workgroup_processor_mode 1
		.amdhsa_memory_ordered 1
		.amdhsa_forward_progress 1
		.amdhsa_shared_vgpr_count 0
		.amdhsa_exception_fp_ieee_invalid_op 0
		.amdhsa_exception_fp_denorm_src 0
		.amdhsa_exception_fp_ieee_div_zero 0
		.amdhsa_exception_fp_ieee_overflow 0
		.amdhsa_exception_fp_ieee_underflow 0
		.amdhsa_exception_fp_ieee_inexact 0
		.amdhsa_exception_int_div_zero 0
	.end_amdhsa_kernel
	.section	.text._ZL12mul_mat_q5_0IN3c108BFloat16ELb1EEvPKvS3_PT_iiiii,"axG",@progbits,_ZL12mul_mat_q5_0IN3c108BFloat16ELb1EEvPKvS3_PT_iiiii,comdat
.Lfunc_end162:
	.size	_ZL12mul_mat_q5_0IN3c108BFloat16ELb1EEvPKvS3_PT_iiiii, .Lfunc_end162-_ZL12mul_mat_q5_0IN3c108BFloat16ELb1EEvPKvS3_PT_iiiii
                                        ; -- End function
	.set _ZL12mul_mat_q5_0IN3c108BFloat16ELb1EEvPKvS3_PT_iiiii.num_vgpr, 200
	.set _ZL12mul_mat_q5_0IN3c108BFloat16ELb1EEvPKvS3_PT_iiiii.num_agpr, 0
	.set _ZL12mul_mat_q5_0IN3c108BFloat16ELb1EEvPKvS3_PT_iiiii.numbered_sgpr, 15
	.set _ZL12mul_mat_q5_0IN3c108BFloat16ELb1EEvPKvS3_PT_iiiii.num_named_barrier, 0
	.set _ZL12mul_mat_q5_0IN3c108BFloat16ELb1EEvPKvS3_PT_iiiii.private_seg_size, 0
	.set _ZL12mul_mat_q5_0IN3c108BFloat16ELb1EEvPKvS3_PT_iiiii.uses_vcc, 1
	.set _ZL12mul_mat_q5_0IN3c108BFloat16ELb1EEvPKvS3_PT_iiiii.uses_flat_scratch, 0
	.set _ZL12mul_mat_q5_0IN3c108BFloat16ELb1EEvPKvS3_PT_iiiii.has_dyn_sized_stack, 0
	.set _ZL12mul_mat_q5_0IN3c108BFloat16ELb1EEvPKvS3_PT_iiiii.has_recursion, 0
	.set _ZL12mul_mat_q5_0IN3c108BFloat16ELb1EEvPKvS3_PT_iiiii.has_indirect_call, 0
	.section	.AMDGPU.csdata,"",@progbits
; Kernel info:
; codeLenInByte = 17368
; TotalNumSgprs: 17
; NumVgprs: 200
; ScratchSize: 0
; MemoryBound: 0
; FloatMode: 240
; IeeeMode: 1
; LDSByteSize: 46720 bytes/workgroup (compile time only)
; SGPRBlocks: 0
; VGPRBlocks: 24
; NumSGPRsForWavesPerEU: 17
; NumVGPRsForWavesPerEU: 200
; Occupancy: 4
; WaveLimiterHint : 0
; COMPUTE_PGM_RSRC2:SCRATCH_EN: 0
; COMPUTE_PGM_RSRC2:USER_SGPR: 6
; COMPUTE_PGM_RSRC2:TRAP_HANDLER: 0
; COMPUTE_PGM_RSRC2:TGID_X_EN: 1
; COMPUTE_PGM_RSRC2:TGID_Y_EN: 1
; COMPUTE_PGM_RSRC2:TGID_Z_EN: 0
; COMPUTE_PGM_RSRC2:TIDIG_COMP_CNT: 1
	.section	.text._ZL12mul_mat_q5_1IN3c108BFloat16ELb0EEvPKvS3_PT_iiiii,"axG",@progbits,_ZL12mul_mat_q5_1IN3c108BFloat16ELb0EEvPKvS3_PT_iiiii,comdat
	.globl	_ZL12mul_mat_q5_1IN3c108BFloat16ELb0EEvPKvS3_PT_iiiii ; -- Begin function _ZL12mul_mat_q5_1IN3c108BFloat16ELb0EEvPKvS3_PT_iiiii
	.p2align	8
	.type	_ZL12mul_mat_q5_1IN3c108BFloat16ELb0EEvPKvS3_PT_iiiii,@function
_ZL12mul_mat_q5_1IN3c108BFloat16ELb0EEvPKvS3_PT_iiiii: ; @_ZL12mul_mat_q5_1IN3c108BFloat16ELb0EEvPKvS3_PT_iiiii
; %bb.0:
	s_clause 0x1
	s_load_dword s14, s[4:5], 0x18
	s_load_dwordx4 s[8:11], s[4:5], 0x20
	s_lshl_b32 s7, s7, 6
	v_add_nc_u32_e32 v72, s7, v1
	s_waitcnt lgkmcnt(0)
	s_cmp_gt_i32 s14, 31
	s_cbranch_scc1 .LBB163_2
; %bb.1:
	v_add_nc_u32_e32 v2, s7, v1
	s_mov_b32 s0, 0
	s_branch .LBB163_3
.LBB163_2:
	s_mov_b32 s0, -1
                                        ; implicit-def: $vgpr2
.LBB163_3:
	s_load_dwordx2 s[12:13], s[4:5], 0x10
	v_mov_b32_e32 v51, 0
	v_mov_b32_e32 v55, 0
	;; [unrolled: 1-line block ×32, first 2 shown]
	s_andn2_b32 vcc_lo, exec_lo, s0
	s_lshl_b32 s6, s6, 7
	s_cbranch_vccnz .LBB163_14
; %bb.4:
	s_load_dwordx4 s[0:3], s[4:5], 0x0
	s_ashr_i32 s4, s14, 31
	s_ashr_i32 s5, s9, 31
	s_lshr_b32 s4, s4, 27
	s_lshr_b32 s5, s5, 27
	s_add_i32 s11, s14, s4
	s_add_i32 s5, s9, s5
	s_ashr_i32 s4, s11, 5
	v_lshlrev_b32_e32 v5, 3, v0
	s_mul_i32 s9, s4, s6
	s_ashr_i32 s14, s5, 5
	s_mul_i32 s5, s9, 24
	v_add_nc_u32_e32 v6, 8, v72
	v_add_nc_u32_e32 v7, 16, v72
	;; [unrolled: 1-line block ×6, first 2 shown]
	s_mul_hi_i32 s9, s9, 24
	v_mul_lo_u32 v83, s4, v1
	s_waitcnt lgkmcnt(0)
	s_add_u32 s5, s0, s5
	s_addc_u32 s9, s1, s9
	s_add_i32 s1, s8, -1
	v_cvt_f64_u32_e32 v[3:4], v72
	v_add_nc_u32_e32 v17, 56, v72
	v_mad_u32_u24 v91, 0x104, v1, v5
	v_cvt_f64_u32_e32 v[5:6], v6
	v_cvt_f64_u32_e32 v[7:8], v7
	;; [unrolled: 1-line block ×6, first 2 shown]
	v_cvt_f64_i32_e32 v[19:20], s1
	s_lshl_b32 s0, s4, 3
	v_cvt_f64_u32_e32 v[17:18], v17
	v_add_nc_u32_e32 v86, s0, v83
	v_lshrrev_b32_e32 v78, 2, v0
	v_lshrrev_b32_e32 v82, 3, v0
	v_and_b32_e32 v81, 7, v0
	v_and_b32_e32 v2, 3, v0
	v_add_nc_u32_e32 v87, s0, v86
	s_andn2_b32 s11, s11, 31
	v_lshl_add_u32 v21, v1, 2, v82
	v_lshlrev_b32_e32 v22, 2, v81
	v_lshlrev_b32_e32 v89, 2, v2
	v_add_nc_u32_e32 v90, s0, v87
	v_mov_b32_e32 v74, 0
	v_mul_lo_u32 v114, s4, v21
	v_and_b32_e32 v23, 0x7fc, v21
	v_lshlrev_b32_e32 v24, 5, v21
	v_add_nc_u32_e32 v92, s0, v90
	v_add_nc_u32_e32 v25, 32, v21
	;; [unrolled: 1-line block ×4, first 2 shown]
	v_min_f64 v[3:4], v[3:4], v[19:20]
	v_min_f64 v[5:6], v[5:6], v[19:20]
	;; [unrolled: 1-line block ×7, first 2 shown]
	v_add_nc_u32_e32 v93, s0, v92
	v_min_f64 v[17:18], v[17:18], v[19:20]
	v_lshl_add_u32 v20, v1, 3, v78
	v_and_b32_e32 v19, 0xffc, v21
	v_and_b32_e32 v27, 0xffc, v25
	v_add_nc_u32_e32 v96, s0, v93
	v_and_b32_e32 v28, 0xffc, v26
	v_add_nc_u32_e32 v119, s11, v114
	v_add3_u32 v23, v23, v22, 0xa200
	v_add3_u32 v27, v27, v22, 0xa200
	v_add_nc_u32_e32 v101, s0, v96
	v_lshlrev_b32_e32 v25, 5, v25
	v_add_nc_u32_e32 v121, s11, v119
	v_add3_u32 v28, v28, v22, 0xa200
	v_lshlrev_b32_e32 v26, 5, v26
	v_add_nc_u32_e32 v105, s0, v101
	v_cvt_i32_f64_e32 v3, v[3:4]
	v_cvt_i32_f64_e32 v4, v[5:6]
	;; [unrolled: 1-line block ×7, first 2 shown]
	v_add_nc_u32_e32 v110, s0, v105
	v_cvt_i32_f64_e32 v16, v[17:18]
	v_and_b32_e32 v7, 63, v20
	v_add3_u32 v5, v19, v22, 0xa200
	v_lshlrev_b32_e32 v11, 2, v0
	v_add_nc_u32_e32 v115, s0, v110
	v_and_b32_e32 v15, 31, v0
	v_or_b32_e32 v13, s7, v7
	v_lshl_or_b32 v7, v7, 4, v89
	v_lshlrev_b32_e32 v17, 7, v1
	v_add_nc_u32_e32 v116, s0, v115
	v_and_b32_e32 v20, 0xfc, v0
	v_min_i32_e32 v13, s1, v13
	v_and_b32_e32 v11, 28, v11
	v_lshlrev_b32_e32 v9, 5, v21
	v_add_nc_u32_e32 v117, s0, v116
	v_lshl_or_b32 v15, v15, 2, 0x8200
	v_mad_u64_u32 v[18:19], null, v13, s14, v[2:3]
	v_add_nc_u32_e32 v13, 64, v0
	v_mul_lo_u32 v130, s14, v12
	v_mul_lo_u32 v131, s14, v14
	v_add_nc_u32_e32 v12, 0x60, v0
	v_add_nc_u32_e32 v14, 32, v0
	;; [unrolled: 1-line block ×3, first 2 shown]
	v_mul_lo_u32 v132, s14, v16
	v_lshlrev_b32_e32 v16, 5, v0
	v_and_b32_e32 v12, 0x1fc, v12
	v_and_b32_e32 v13, 0x1fc, v13
	;; [unrolled: 1-line block ×3, first 2 shown]
	v_add_nc_u32_e32 v120, s0, v118
	v_add_nc_u32_e32 v124, 0xb280, v7
	v_mul_lo_u32 v125, s14, v3
	v_mul_lo_u32 v126, s14, v4
	v_add_nc_u32_e32 v2, 0x400, v17
	v_mul_lo_u32 v127, s14, v6
	v_add_nc_u32_e32 v3, 0x800, v17
	;; [unrolled: 2-line block ×4, first 2 shown]
	v_add_nc_u32_e32 v7, 0x1400, v17
	v_add_nc_u32_e32 v8, 0x1800, v17
	;; [unrolled: 1-line block ×3, first 2 shown]
	v_lshrrev_b32_e32 v134, 3, v14
	v_add_nc_u32_e32 v12, v16, v12
	v_add_nc_u32_e32 v13, v16, v13
	;; [unrolled: 1-line block ×5, first 2 shown]
	v_add_co_u32 v19, s0, s2, v11
	v_add_co_ci_u32_e64 v20, null, s3, 0, s0
	s_movk_i32 s0, 0x80
	v_add_nc_u32_e32 v94, 0x820, v91
	v_add_nc_u32_e32 v95, 0x1040, v91
	;; [unrolled: 1-line block ×16, first 2 shown]
	v_mul_u32_u24_e32 v133, 0x104, v0
	v_add_nc_u32_e32 v135, 0xae00, v12
	v_add_nc_u32_e32 v136, 0xaa00, v13
	;; [unrolled: 1-line block ×4, first 2 shown]
	v_lshl_add_u32 v139, v1, 4, 0xb280
	v_add_nc_u32_e32 v140, 0x8200, v17
	v_add_nc_u32_e32 v141, 0xae10, v12
	;; [unrolled: 1-line block ×5, first 2 shown]
	v_mad_u32_u24 v145, 0x104, v0, s0
	v_add_nc_u32_e32 v146, v23, v24
	v_add_nc_u32_e32 v147, v27, v25
	v_add_nc_u32_e32 v148, v28, v26
	v_add_nc_u32_e32 v149, v5, v9
	v_add_nc_u32_e32 v150, v15, v17
	v_add_nc_u32_e32 v151, v15, v2
	v_add_nc_u32_e32 v152, v15, v3
	v_add_nc_u32_e32 v153, v15, v4
	v_add_nc_u32_e32 v154, v15, v6
	v_add_nc_u32_e32 v155, v15, v7
	v_add_nc_u32_e32 v156, v15, v8
	v_add_nc_u32_e32 v157, v15, v10
	v_mov_b32_e32 v84, 0
	v_mov_b32_e32 v76, 0
	;; [unrolled: 1-line block ×31, first 2 shown]
	s_add_i32 s11, s4, 3
	s_mov_b32 s14, 0
	s_branch .LBB163_6
.LBB163_5:                              ;   in Loop: Header=BB163_6 Depth=1
	s_add_i32 s14, s14, 8
	s_add_i32 s11, s11, -8
	s_cmp_ge_i32 s14, s4
	s_cbranch_scc1 .LBB163_13
.LBB163_6:                              ; =>This Loop Header: Depth=1
                                        ;     Child Loop BB163_8 Depth 2
                                        ;     Child Loop BB163_11 Depth 2
	s_mul_i32 s0, s14, 24
	s_mul_hi_u32 s1, s14, 24
	s_add_u32 s0, s5, s0
	s_addc_u32 s1, s9, s1
	s_cmp_gt_u32 s11, 3
	v_mad_u64_u32 v[2:3], null, v78, 24, s[0:1]
	v_mad_u64_u32 v[4:5], null, v83, 24, v[2:3]
	v_mad_u64_u32 v[6:7], null, v86, 24, v[2:3]
	v_mad_u64_u32 v[8:9], null, v87, 24, v[2:3]
	v_mad_u64_u32 v[10:11], null, v90, 24, v[2:3]
	v_add_co_u32 v12, vcc_lo, v4, v89
	v_add_co_ci_u32_e64 v13, null, 0, v5, vcc_lo
	v_add_co_u32 v14, vcc_lo, v6, v89
	v_add_co_ci_u32_e64 v15, null, 0, v7, vcc_lo
	;; [unrolled: 2-line block ×4, first 2 shown]
	v_mad_u64_u32 v[23:24], null, v92, 24, v[2:3]
	s_clause 0x7
	global_load_dword v31, v[12:13], off offset:8
	global_load_dword v32, v[14:15], off offset:8
	;; [unrolled: 1-line block ×8, first 2 shown]
	v_mad_u64_u32 v[4:5], null, v93, 24, v[2:3]
	v_mad_u64_u32 v[8:9], null, v96, 24, v[2:3]
	;; [unrolled: 1-line block ×3, first 2 shown]
	v_add_co_u32 v6, vcc_lo, v23, v89
	v_add_co_ci_u32_e64 v7, null, 0, v24, vcc_lo
	v_add_co_u32 v12, vcc_lo, v4, v89
	v_add_co_ci_u32_e64 v13, null, 0, v5, vcc_lo
	v_add_co_u32 v14, vcc_lo, v8, v89
	v_mad_u64_u32 v[21:22], null, v105, 24, v[2:3]
	v_add_co_ci_u32_e64 v15, null, 0, v9, vcc_lo
	v_add_co_u32 v16, vcc_lo, v10, v89
	v_add_co_ci_u32_e64 v17, null, 0, v11, vcc_lo
	v_mad_u64_u32 v[29:30], null, v116, 24, v[2:3]
	s_clause 0x7
	global_load_dword v39, v[10:11], off offset:4
	global_load_dword v40, v[8:9], off offset:4
	;; [unrolled: 1-line block ×8, first 2 shown]
	v_mad_u64_u32 v[27:28], null, v115, 24, v[2:3]
	v_mad_u64_u32 v[25:26], null, v110, 24, v[2:3]
	v_add_co_u32 v4, vcc_lo, v21, v89
	v_add_co_ci_u32_e64 v5, null, 0, v22, vcc_lo
	s_clause 0x4
	global_load_dword v17, v[29:30], off offset:4
	global_load_dword v44, v[27:28], off offset:4
	;; [unrolled: 1-line block ×5, first 2 shown]
	v_mad_u64_u32 v[8:9], null, v122, 24, v[2:3]
	v_add_co_u32 v4, vcc_lo, v25, v89
	v_add_co_ci_u32_e64 v5, null, 0, v26, vcc_lo
	v_mad_u64_u32 v[6:7], null, v118, 24, v[2:3]
	v_mad_u64_u32 v[10:11], null, v81, 24, s[0:1]
	global_load_dword v25, v[4:5], off offset:8
	v_add_co_u32 v4, vcc_lo, v27, v89
	v_add_co_ci_u32_e64 v5, null, 0, v28, vcc_lo
	v_mad_u64_u32 v[14:15], null, v121, 24, v[10:11]
	global_load_dword v26, v[4:5], off offset:8
	v_add_co_u32 v4, vcc_lo, v29, v89
	v_add_co_ci_u32_e64 v5, null, 0, v30, vcc_lo
	global_load_dword v27, v[4:5], off offset:8
	v_mad_u64_u32 v[4:5], null, v117, 24, v[2:3]
	v_mad_u64_u32 v[2:3], null, v120, 24, v[2:3]
	v_add_co_u32 v12, vcc_lo, v4, v89
	v_add_co_ci_u32_e64 v13, null, 0, v5, vcc_lo
	s_clause 0x4
	global_load_dword v28, v[8:9], off offset:4
	global_load_dword v29, v[2:3], off offset:4
	global_load_dword v30, v[6:7], off offset:4
	global_load_dword v46, v[4:5], off offset:4
	global_load_dword v47, v[12:13], off offset:8
	v_add_co_u32 v6, vcc_lo, v6, v89
	v_add_co_ci_u32_e64 v7, null, 0, v7, vcc_lo
	v_add_co_u32 v2, vcc_lo, v2, v89
	v_mad_u64_u32 v[4:5], null, v114, 24, v[10:11]
	v_add_co_ci_u32_e64 v3, null, 0, v3, vcc_lo
	v_add_co_u32 v8, vcc_lo, v8, v89
	v_mad_u64_u32 v[12:13], null, v119, 24, v[10:11]
	v_add_co_ci_u32_e64 v9, null, 0, v9, vcc_lo
	v_mad_u64_u32 v[10:11], null, v123, 24, v[10:11]
	s_clause 0x6
	global_load_dword v6, v[6:7], off offset:8
	global_load_dword v2, v[2:3], off offset:8
	;; [unrolled: 1-line block ×3, first 2 shown]
	global_load_dword v4, v[4:5], off
	global_load_dword v5, v[12:13], off
	;; [unrolled: 1-line block ×4, first 2 shown]
	s_waitcnt vmcnt(35)
	v_and_b32_e32 v10, 0xf0f0f0f, v31
	v_lshrrev_b32_e32 v11, 4, v31
	s_waitcnt vmcnt(34)
	v_and_b32_e32 v13, 0xf0f0f0f, v32
	v_lshrrev_b32_e32 v14, 4, v32
	s_waitcnt vmcnt(33)
	v_and_b32_e32 v31, 0xf0f0f0f, v33
	s_waitcnt vmcnt(30)
	v_ashrrev_i32_e32 v15, v89, v36
	s_waitcnt vmcnt(29)
	v_ashrrev_i32_e32 v12, v89, v37
	;; [unrolled: 2-line block ×3, first 2 shown]
	v_lshrrev_b32_e32 v32, 4, v33
	v_ashrrev_i32_e32 v33, v89, v35
	v_lshlrev_b32_e32 v171, 4, v15
	v_lshlrev_b32_e32 v164, 4, v12
	;; [unrolled: 1-line block ×4, first 2 shown]
	v_lshrrev_b32_e32 v161, 12, v9
	v_lshrrev_b32_e32 v162, 5, v9
	v_lshlrev_b32_e32 v165, 11, v12
	v_lshrrev_b32_e32 v168, 12, v12
	v_lshrrev_b32_e32 v169, 5, v12
	v_lshlrev_b32_e32 v172, 11, v15
	v_lshrrev_b32_e32 v175, 12, v15
	v_lshrrev_b32_e32 v176, 5, v15
	v_and_b32_e32 v35, 0xf0f0f0f, v34
	v_lshrrev_b32_e32 v34, 4, v34
	v_lshlrev_b32_e32 v178, 4, v33
	v_lshlrev_b32_e32 v179, 11, v33
	v_lshrrev_b32_e32 v182, 12, v33
	v_lshrrev_b32_e32 v183, 5, v33
	s_waitcnt vmcnt(26)
	v_ashrrev_i32_e32 v40, v89, v40
	s_waitcnt vmcnt(25)
	v_ashrrev_i32_e32 v37, v89, v41
	;; [unrolled: 2-line block ×3, first 2 shown]
	s_waitcnt vmcnt(23)
	v_and_b32_e32 v36, 0xf0f0f0f, v24
	v_lshrrev_b32_e32 v24, 4, v24
	s_waitcnt vmcnt(22)
	v_and_b32_e32 v38, 0xf0f0f0f, v42
	v_lshrrev_b32_e32 v41, 4, v42
	v_lshlrev_b32_e32 v185, 4, v23
	v_lshlrev_b32_e32 v186, 11, v23
	v_lshrrev_b32_e32 v189, 12, v23
	v_lshrrev_b32_e32 v190, 5, v23
	s_waitcnt vmcnt(21)
	v_and_b32_e32 v42, 0xf0f0f0f, v43
	v_lshrrev_b32_e32 v43, 4, v43
	v_lshlrev_b32_e32 v159, 18, v9
	v_lshlrev_b32_e32 v160, 25, v9
	v_and_b32_e32 v11, 0xf0f0f0f, v11
	v_lshlrev_b32_e32 v163, 2, v9
	v_lshlrev_b32_e32 v9, 9, v9
	;; [unrolled: 1-line block ×4, first 2 shown]
	v_lshrrev_b32_e32 v196, 12, v37
	v_lshrrev_b32_e32 v197, 5, v37
	v_lshlrev_b32_e32 v199, 4, v40
	v_lshlrev_b32_e32 v200, 11, v40
	v_lshrrev_b32_e32 v203, 12, v40
	v_lshrrev_b32_e32 v204, 5, v40
	v_and_b32_e32 v50, 16, v50
	v_and_b32_e32 v158, 0x1000, v158
	v_and_b32_e32 v161, 16, v161
	v_and_b32_e32 v162, 0x1000, v162
	v_lshlrev_b32_e32 v166, 18, v12
	v_lshlrev_b32_e32 v167, 25, v12
	v_and_b32_e32 v14, 0xf0f0f0f, v14
	v_lshlrev_b32_e32 v170, 2, v12
	v_lshlrev_b32_e32 v12, 9, v12
	v_and_b32_e32 v164, 16, v164
	v_and_b32_e32 v165, 0x1000, v165
	v_and_b32_e32 v168, 16, v168
	v_and_b32_e32 v169, 0x1000, v169
	v_lshlrev_b32_e32 v173, 18, v15
	v_lshlrev_b32_e32 v174, 25, v15
	v_and_b32_e32 v32, 0xf0f0f0f, v32
	v_lshlrev_b32_e32 v177, 2, v15
	v_lshlrev_b32_e32 v15, 9, v15
	v_and_b32_e32 v171, 16, v171
	v_and_b32_e32 v172, 0x1000, v172
	v_and_b32_e32 v175, 16, v175
	v_and_b32_e32 v176, 0x1000, v176
	v_lshlrev_b32_e32 v180, 18, v33
	v_lshlrev_b32_e32 v181, 25, v33
	v_and_b32_e32 v34, 0xf0f0f0f, v34
	v_lshlrev_b32_e32 v184, 2, v33
	v_lshlrev_b32_e32 v33, 9, v33
	v_and_b32_e32 v178, 16, v178
	v_and_b32_e32 v179, 0x1000, v179
	v_and_b32_e32 v182, 16, v182
	v_and_b32_e32 v183, 0x1000, v183
	v_lshlrev_b32_e32 v187, 18, v23
	v_lshlrev_b32_e32 v188, 25, v23
	v_and_b32_e32 v24, 0xf0f0f0f, v24
	v_lshlrev_b32_e32 v191, 2, v23
	v_lshlrev_b32_e32 v23, 9, v23
	v_and_b32_e32 v185, 16, v185
	v_and_b32_e32 v186, 0x1000, v186
	v_and_b32_e32 v189, 16, v189
	v_and_b32_e32 v190, 0x1000, v190
	v_ashrrev_i32_e32 v39, v89, v39
	s_waitcnt vmcnt(16)
	v_ashrrev_i32_e32 v21, v89, v21
	v_ashrrev_i32_e32 v45, v89, v45
	v_lshlrev_b32_e32 v194, 18, v37
	v_lshlrev_b32_e32 v195, 25, v37
	v_and_b32_e32 v41, 0xf0f0f0f, v41
	v_lshlrev_b32_e32 v198, 2, v37
	v_lshlrev_b32_e32 v37, 9, v37
	;; [unrolled: 1-line block ×4, first 2 shown]
	v_and_b32_e32 v43, 0xf0f0f0f, v43
	v_lshlrev_b32_e32 v205, 2, v40
	v_lshlrev_b32_e32 v40, 9, v40
	v_and_b32_e32 v159, 0x100000, v159
	v_and_b32_e32 v160, 0x10000000, v160
	;; [unrolled: 1-line block ×12, first 2 shown]
	v_or3_b32 v10, v50, v10, v158
	v_or3_b32 v11, v161, v11, v162
	v_and_b32_e32 v166, 0x100000, v166
	v_and_b32_e32 v167, 0x10000000, v167
	v_and_b32_e32 v170, 0x100000, v170
	v_and_b32_e32 v12, 0x10000000, v12
	v_or3_b32 v13, v164, v13, v165
	v_or3_b32 v14, v168, v14, v169
	v_and_b32_e32 v173, 0x100000, v173
	v_and_b32_e32 v174, 0x10000000, v174
	v_and_b32_e32 v177, 0x100000, v177
	v_and_b32_e32 v15, 0x10000000, v15
	;; [unrolled: 6-line block ×4, first 2 shown]
	v_or3_b32 v36, v185, v36, v186
	v_or3_b32 v24, v189, v24, v190
	v_and_b32_e32 v48, 0xf0f0f0f, v16
	v_lshrrev_b32_e32 v16, 4, v16
	s_waitcnt vmcnt(15)
	v_and_b32_e32 v49, 0xf0f0f0f, v22
	v_lshrrev_b32_e32 v22, 4, v22
	v_lshlrev_b32_e32 v206, 4, v39
	v_lshlrev_b32_e32 v207, 11, v39
	v_lshrrev_b32_e32 v210, 12, v39
	v_lshrrev_b32_e32 v211, 5, v39
	;; [unrolled: 1-line block ×4, first 2 shown]
	v_lshlrev_b32_e32 v220, 4, v45
	v_lshlrev_b32_e32 v221, 11, v45
	v_and_b32_e32 v194, 0x100000, v194
	v_and_b32_e32 v195, 0x10000000, v195
	;; [unrolled: 1-line block ×8, first 2 shown]
	v_or3_b32 v38, v192, v38, v193
	v_or3_b32 v41, v196, v41, v197
	;; [unrolled: 1-line block ×14, first 2 shown]
	v_lshlrev_b32_e32 v208, 18, v39
	v_lshlrev_b32_e32 v209, 25, v39
	v_and_b32_e32 v16, 0xf0f0f0f, v16
	v_lshlrev_b32_e32 v212, 2, v39
	v_lshlrev_b32_e32 v39, 9, v39
	;; [unrolled: 1-line block ×6, first 2 shown]
	v_and_b32_e32 v22, 0xf0f0f0f, v22
	v_lshlrev_b32_e32 v219, 2, v21
	v_lshlrev_b32_e32 v21, 9, v21
	v_and_b32_e32 v206, 16, v206
	v_and_b32_e32 v207, 0x1000, v207
	;; [unrolled: 1-line block ×6, first 2 shown]
	v_or3_b32 v24, v38, v194, v195
	v_or3_b32 v33, v41, v198, v37
	;; [unrolled: 1-line block ×4, first 2 shown]
	ds_write2_b32 v91, v10, v9 offset1:1
	ds_write2_b32 v94, v11, v12 offset1:1
	;; [unrolled: 1-line block ×7, first 2 shown]
	s_waitcnt vmcnt(14)
	v_and_b32_e32 v9, 0xf0f0f0f, v25
	v_and_b32_e32 v10, 16, v220
	;; [unrolled: 1-line block ×9, first 2 shown]
	v_or3_b32 v48, v206, v48, v207
	v_or3_b32 v16, v210, v16, v211
	;; [unrolled: 1-line block ×4, first 2 shown]
	v_lshrrev_b32_e32 v10, 4, v25
	v_lshrrev_b32_e32 v11, 12, v45
	;; [unrolled: 1-line block ×3, first 2 shown]
	v_and_b32_e32 v213, 16, v213
	v_and_b32_e32 v214, 0x1000, v214
	v_or3_b32 v36, v48, v208, v209
	v_or3_b32 v16, v16, v212, v39
	;; [unrolled: 1-line block ×3, first 2 shown]
	v_and_b32_e32 v10, 0xf0f0f0f, v10
	v_and_b32_e32 v11, 16, v11
	;; [unrolled: 1-line block ×3, first 2 shown]
	v_ashrrev_i32_e32 v21, v89, v44
	v_and_b32_e32 v215, 0x100000, v215
	v_and_b32_e32 v216, 0x10000000, v216
	v_or3_b32 v49, v213, v49, v214
	ds_write2_b32 v103, v36, v16 offset1:1
	v_lshlrev_b32_e32 v14, 18, v45
	v_lshlrev_b32_e32 v16, 25, v45
	v_or3_b32 v10, v11, v10, v15
	v_lshlrev_b32_e32 v11, 4, v21
	v_lshlrev_b32_e32 v15, 11, v21
	v_or3_b32 v12, v49, v215, v216
	v_and_b32_e32 v14, 0x100000, v14
	v_and_b32_e32 v16, 0x10000000, v16
	s_waitcnt vmcnt(13)
	v_and_b32_e32 v24, 0xf0f0f0f, v26
	v_and_b32_e32 v11, 16, v11
	;; [unrolled: 1-line block ×3, first 2 shown]
	v_lshlrev_b32_e32 v22, 2, v45
	v_lshlrev_b32_e32 v23, 9, v45
	ds_write2_b32 v104, v12, v13 offset1:1
	v_or3_b32 v9, v9, v14, v16
	v_or3_b32 v11, v11, v24, v15
	v_lshrrev_b32_e32 v13, 4, v26
	v_lshrrev_b32_e32 v14, 12, v21
	;; [unrolled: 1-line block ×3, first 2 shown]
	v_and_b32_e32 v22, 0x100000, v22
	v_and_b32_e32 v23, 0x10000000, v23
	;; [unrolled: 1-line block ×5, first 2 shown]
	v_ashrrev_i32_e32 v17, v89, v17
	v_or3_b32 v10, v10, v22, v23
	v_lshlrev_b32_e32 v12, 18, v21
	v_lshlrev_b32_e32 v16, 25, v21
	;; [unrolled: 1-line block ×4, first 2 shown]
	v_or3_b32 v13, v14, v13, v15
	v_lshlrev_b32_e32 v14, 4, v17
	v_lshlrev_b32_e32 v15, 11, v17
	v_and_b32_e32 v12, 0x100000, v12
	v_and_b32_e32 v16, 0x10000000, v16
	;; [unrolled: 1-line block ×4, first 2 shown]
	s_waitcnt vmcnt(12)
	v_and_b32_e32 v23, 0xf0f0f0f, v27
	v_and_b32_e32 v14, 16, v14
	;; [unrolled: 1-line block ×3, first 2 shown]
	ds_write2_b32 v106, v9, v10 offset1:1
	v_or3_b32 v9, v11, v12, v16
	v_or3_b32 v10, v13, v22, v21
	v_lshrrev_b32_e32 v13, 4, v27
	v_or3_b32 v12, v14, v23, v15
	v_lshrrev_b32_e32 v14, 12, v17
	v_lshrrev_b32_e32 v15, 5, v17
	s_waitcnt vmcnt(8)
	v_ashrrev_i32_e32 v21, v89, v46
	v_and_b32_e32 v13, 0xf0f0f0f, v13
	v_lshlrev_b32_e32 v11, 18, v17
	v_and_b32_e32 v14, 16, v14
	v_and_b32_e32 v15, 0x1000, v15
	v_lshlrev_b32_e32 v16, 25, v17
	v_lshlrev_b32_e32 v22, 2, v17
	;; [unrolled: 1-line block ×3, first 2 shown]
	v_and_b32_e32 v11, 0x100000, v11
	v_or3_b32 v13, v14, v13, v15
	v_lshlrev_b32_e32 v14, 4, v21
	v_lshlrev_b32_e32 v15, 11, v21
	v_and_b32_e32 v16, 0x10000000, v16
	v_and_b32_e32 v22, 0x100000, v22
	;; [unrolled: 1-line block ×3, first 2 shown]
	s_waitcnt vmcnt(7)
	v_and_b32_e32 v23, 0xf0f0f0f, v47
	v_and_b32_e32 v14, 16, v14
	;; [unrolled: 1-line block ×3, first 2 shown]
	ds_write2_b32 v107, v9, v10 offset1:1
	v_or3_b32 v9, v12, v11, v16
	v_or3_b32 v10, v13, v22, v17
	v_lshrrev_b32_e32 v13, 4, v47
	v_or3_b32 v12, v14, v23, v15
	v_lshrrev_b32_e32 v14, 12, v21
	v_lshrrev_b32_e32 v15, 5, v21
	v_ashrrev_i32_e32 v17, v89, v30
	v_and_b32_e32 v13, 0xf0f0f0f, v13
	v_lshlrev_b32_e32 v11, 18, v21
	v_and_b32_e32 v14, 16, v14
	v_and_b32_e32 v15, 0x1000, v15
	v_lshlrev_b32_e32 v16, 25, v21
	v_lshlrev_b32_e32 v22, 2, v21
	;; [unrolled: 1-line block ×3, first 2 shown]
	v_and_b32_e32 v11, 0x100000, v11
	v_or3_b32 v13, v14, v13, v15
	v_lshlrev_b32_e32 v14, 4, v17
	v_lshlrev_b32_e32 v15, 11, v17
	v_and_b32_e32 v16, 0x10000000, v16
	v_and_b32_e32 v22, 0x100000, v22
	v_and_b32_e32 v21, 0x10000000, v21
	s_waitcnt vmcnt(6)
	v_and_b32_e32 v23, 0xf0f0f0f, v6
	v_and_b32_e32 v14, 16, v14
	;; [unrolled: 1-line block ×3, first 2 shown]
	v_lshlrev_b32_e32 v24, 18, v17
	v_lshlrev_b32_e32 v25, 25, v17
	v_or3_b32 v11, v12, v11, v16
	v_or3_b32 v12, v13, v22, v21
	;; [unrolled: 1-line block ×3, first 2 shown]
	v_and_b32_e32 v14, 0x100000, v24
	v_and_b32_e32 v15, 0x10000000, v25
	v_lshrrev_b32_e32 v16, 12, v17
	v_lshrrev_b32_e32 v21, 5, v17
	v_ashrrev_i32_e32 v22, v89, v29
	v_lshrrev_b32_e32 v6, 4, v6
	v_or3_b32 v13, v13, v14, v15
	v_and_b32_e32 v14, 16, v16
	v_and_b32_e32 v15, 0x1000, v21
	v_lshlrev_b32_e32 v16, 4, v22
	v_lshlrev_b32_e32 v21, 11, v22
	s_waitcnt vmcnt(5)
	v_and_b32_e32 v24, 0xf0f0f0f, v2
	v_and_b32_e32 v6, 0xf0f0f0f, v6
	v_lshlrev_b32_e32 v23, 2, v17
	v_and_b32_e32 v16, 16, v16
	v_and_b32_e32 v21, 0x1000, v21
	v_lshrrev_b32_e32 v2, 4, v2
	v_or3_b32 v6, v14, v6, v15
	v_and_b32_e32 v14, 0x100000, v23
	v_lshrrev_b32_e32 v23, 5, v22
	v_or3_b32 v16, v16, v24, v21
	v_ashrrev_i32_e32 v24, v89, v28
	v_lshrrev_b32_e32 v21, 12, v22
	v_and_b32_e32 v2, 0xf0f0f0f, v2
	v_and_b32_e32 v23, 0x1000, v23
	s_waitcnt vmcnt(4)
	v_and_b32_e32 v29, 0xf0f0f0f, v3
	v_lshlrev_b32_e32 v26, 4, v24
	v_lshlrev_b32_e32 v27, 11, v24
	v_and_b32_e32 v21, 16, v21
	v_lshlrev_b32_e32 v17, 9, v17
	v_lshlrev_b32_e32 v25, 18, v22
	v_and_b32_e32 v26, 16, v26
	v_and_b32_e32 v27, 0x1000, v27
	v_lshlrev_b32_e32 v28, 2, v22
	v_or3_b32 v2, v21, v2, v23
	v_lshrrev_b32_e32 v3, 4, v3
	v_and_b32_e32 v15, 0x10000000, v17
	v_or3_b32 v23, v26, v29, v27
	v_lshrrev_b32_e32 v26, 12, v24
	v_lshrrev_b32_e32 v27, 5, v24
	v_and_b32_e32 v17, 0x100000, v25
	v_lshlrev_b32_e32 v25, 25, v22
	v_lshlrev_b32_e32 v22, 9, v22
	v_and_b32_e32 v21, 0x100000, v28
	v_lshlrev_b32_e32 v28, 18, v24
	v_lshlrev_b32_e32 v29, 25, v24
	v_and_b32_e32 v3, 0xf0f0f0f, v3
	v_and_b32_e32 v26, 16, v26
	;; [unrolled: 1-line block ×3, first 2 shown]
	v_lshlrev_b32_e32 v30, 2, v24
	v_lshlrev_b32_e32 v24, 9, v24
	v_and_b32_e32 v25, 0x10000000, v25
	v_and_b32_e32 v22, 0x10000000, v22
	;; [unrolled: 1-line block ×4, first 2 shown]
	v_or3_b32 v3, v26, v3, v27
	v_and_b32_e32 v26, 0x100000, v30
	v_and_b32_e32 v24, 0x10000000, v24
	v_or3_b32 v6, v6, v14, v15
	v_or3_b32 v14, v16, v17, v25
	;; [unrolled: 1-line block ×5, first 2 shown]
	ds_write2_b32 v108, v9, v10 offset1:1
	ds_write2_b32 v109, v11, v12 offset1:1
	;; [unrolled: 1-line block ×5, first 2 shown]
	s_waitcnt vmcnt(3)
	ds_write_b32 v146, v4
	s_waitcnt vmcnt(2)
	ds_write_b32 v147, v5
	s_waitcnt vmcnt(1)
	ds_write_b32 v148, v7
	s_waitcnt vmcnt(0)
	ds_write_b32 v149, v8
	s_cbranch_scc0 .LBB163_5
; %bb.7:                                ;   in Loop: Header=BB163_6 Depth=1
	v_add_nc_u32_e32 v14, s14, v82
	v_add_nc_u32_e32 v158, s14, v18
	v_mov_b32_e32 v159, v140
	v_mov_b32_e32 v160, v133
	;; [unrolled: 1-line block ×3, first 2 shown]
	v_add_nc_u32_e32 v2, v14, v125
	v_add_nc_u32_e32 v4, v14, v126
	v_add_nc_u32_e32 v6, v14, v127
	v_add_nc_u32_e32 v8, v14, v128
	v_add_nc_u32_e32 v10, v14, v129
	v_mad_u64_u32 v[12:13], null, v158, 36, s[2:3]
	v_mad_i64_i32 v[2:3], null, v2, 36, v[19:20]
	v_add_nc_u32_e32 v15, v14, v130
	v_mad_i64_i32 v[4:5], null, v4, 36, v[19:20]
	v_add_nc_u32_e32 v16, v14, v131
	;; [unrolled: 2-line block ×3, first 2 shown]
	v_mad_i64_i32 v[8:9], null, v8, 36, v[19:20]
	v_mad_i64_i32 v[10:11], null, v10, 36, v[19:20]
	;; [unrolled: 1-line block ×5, first 2 shown]
	s_clause 0x8
	global_load_dword v12, v[12:13], off
	global_load_dword v2, v[2:3], off offset:4
	global_load_dword v3, v[4:5], off offset:4
	;; [unrolled: 1-line block ×8, first 2 shown]
	v_mov_b32_e32 v162, v138
	v_mov_b32_e32 v163, v137
	;; [unrolled: 1-line block ×4, first 2 shown]
	s_mov_b32 s0, -4
	s_waitcnt vmcnt(8)
	ds_write_b32 v124, v12
	s_waitcnt vmcnt(7)
	ds_write_b32 v150, v2
	;; [unrolled: 2-line block ×9, first 2 shown]
	s_waitcnt lgkmcnt(0)
	s_barrier
	buffer_gl0_inv
.LBB163_8:                              ;   Parent Loop BB163_6 Depth=1
                                        ; =>  This Inner Loop Header: Depth=2
	v_add_nc_u32_e32 v10, 0x2080, v160
	ds_read_b128 v[6:9], v159
	ds_read2_b32 v[21:22], v160 offset1:1
	ds_read_b128 v[2:5], v159 offset:16
	v_mov_b32_e32 v167, 0
	v_mov_b32_e32 v166, 0
	ds_read2_b32 v[23:24], v10 offset1:1
	v_add_nc_u32_e32 v10, 0x4100, v160
	v_mov_b32_e32 v168, 0
	v_mov_b32_e32 v169, 0
	;; [unrolled: 1-line block ×3, first 2 shown]
	ds_read2_b32 v[31:32], v160 offset0:2 offset1:3
	ds_read2_b32 v[25:26], v10 offset1:1
	v_add_nc_u32_e32 v10, 0x6180, v160
	v_mov_b32_e32 v171, 0
	v_mov_b32_e32 v172, 0
	ds_read2_b32 v[41:42], v160 offset0:4 offset1:5
	v_mov_b32_e32 v173, 0
	ds_read2_b32 v[33:34], v10 offset1:1
	v_mov_b32_e32 v174, 0
	v_mov_b32_e32 v196, 0
	;; [unrolled: 1-line block ×3, first 2 shown]
	s_waitcnt lgkmcnt(6)
	v_dot4c_i32_i8 v167, v21, v6
	s_add_i32 s0, s0, 4
	ds_read_b128 v[13:16], v159 offset:2048
	s_cmp_lt_u32 s0, 12
	s_waitcnt lgkmcnt(5)
	v_dot4c_i32_i8 v166, v23, v6
	v_dot4c_i32_i8 v167, v22, v2
	ds_read_b128 v[175:178], v159 offset:3072
	ds_read_b128 v[180:183], v159 offset:4112
	;; [unrolled: 1-line block ×3, first 2 shown]
	v_dot4c_i32_i8 v166, v24, v2
	s_waitcnt lgkmcnt(6)
	v_dot4c_i32_i8 v168, v25, v6
	v_dot4c_i32_i8 v167, v31, v7
	ds_read_b128 v[188:191], v159 offset:6160
	ds_read_b128 v[192:195], v159 offset:7184
	v_dot4c_i32_i8 v168, v26, v2
	s_waitcnt lgkmcnt(6)
	v_dot4c_i32_i8 v169, v33, v6
	v_dot4c_i32_i8 v167, v32, v3
	v_dot4c_i32_i8 v169, v34, v2
	v_add_nc_u32_e32 v2, 0x2088, v160
	v_dot4c_i32_i8 v167, v41, v8
	s_waitcnt lgkmcnt(5)
	v_dot4c_i32_i8 v173, v33, v13
	s_waitcnt lgkmcnt(4)
	v_dot4c_i32_i8 v174, v33, v175
	ds_read2_b32 v[35:36], v2 offset1:1
	v_add_nc_u32_e32 v2, 0x4108, v160
	v_dot4c_i32_i8 v167, v42, v4
	ds_read2_b32 v[39:40], v2 offset1:1
	v_add_nc_u32_e32 v2, 0x6188, v160
	ds_read2_b32 v[43:44], v2 offset1:1
	v_add_nc_u32_e32 v2, 0x2090, v160
	;; [unrolled: 2-line block ×3, first 2 shown]
	s_waitcnt lgkmcnt(3)
	v_dot4c_i32_i8 v166, v35, v7
	ds_read2_b32 v[47:48], v2 offset1:1
	v_add_nc_u32_e32 v2, 0x6190, v160
	s_waitcnt lgkmcnt(3)
	v_dot4c_i32_i8 v168, v39, v7
	v_dot4c_i32_i8 v166, v36, v3
	ds_read2_b32 v[49:50], v2 offset1:1
	v_dot4c_i32_i8 v168, v40, v3
	s_waitcnt lgkmcnt(3)
	v_dot4c_i32_i8 v169, v43, v7
	v_dot4c_i32_i8 v169, v44, v3
	s_waitcnt lgkmcnt(2)
	v_dot4c_i32_i8 v166, v45, v8
	ds_read2_b32 v[2:3], v160 offset0:6 offset1:7
	v_dot4c_i32_i8 v166, v46, v4
	s_waitcnt lgkmcnt(2)
	v_dot4c_i32_i8 v168, v47, v8
	v_dot4c_i32_i8 v168, v48, v4
	s_waitcnt lgkmcnt(1)
	v_dot4c_i32_i8 v169, v49, v8
	v_dot4c_i32_i8 v169, v50, v4
	v_add_nc_u32_e32 v4, 0x2098, v160
	ds_read2_b32 v[27:28], v4 offset1:1
	v_add_nc_u32_e32 v4, 0x4118, v160
	s_waitcnt lgkmcnt(1)
	v_dot4c_i32_i8 v167, v2, v9
	ds_read2_b32 v[29:30], v4 offset1:1
	v_add_nc_u32_e32 v4, 0x6198, v160
	v_dot4c_i32_i8 v167, v3, v5
	v_add_nc_u32_e32 v160, 32, v160
	ds_read2_b32 v[37:38], v4 offset1:1
	v_mov_b32_e32 v4, 0
	s_waitcnt lgkmcnt(2)
	v_dot4c_i32_i8 v166, v27, v9
	v_dot4c_i32_i8 v166, v28, v5
	s_waitcnt lgkmcnt(1)
	v_dot4c_i32_i8 v168, v29, v9
	v_dot4c_i32_i8 v168, v30, v5
	s_waitcnt lgkmcnt(0)
	v_dot4c_i32_i8 v169, v37, v9
	ds_read_b128 v[9:12], v159 offset:1024
	v_dot4c_i32_i8 v169, v38, v5
	s_waitcnt lgkmcnt(0)
	v_dot4c_i32_i8 v4, v21, v9
	v_dot4c_i32_i8 v170, v23, v9
	;; [unrolled: 1-line block ×4, first 2 shown]
	ds_read_b128 v[6:9], v159 offset:1040
	s_waitcnt lgkmcnt(0)
	v_dot4c_i32_i8 v4, v22, v6
	v_dot4c_i32_i8 v170, v24, v6
	v_dot4c_i32_i8 v171, v26, v6
	v_dot4c_i32_i8 v172, v34, v6
	v_mov_b32_e32 v6, 0
	v_dot4c_i32_i8 v4, v31, v10
	v_dot4c_i32_i8 v170, v35, v10
	v_dot4c_i32_i8 v171, v39, v10
	v_dot4c_i32_i8 v172, v43, v10
	v_dot4c_i32_i8 v6, v21, v13
	v_dot4c_i32_i8 v4, v32, v7
	v_dot4c_i32_i8 v170, v36, v7
	v_dot4c_i32_i8 v171, v40, v7
	v_dot4c_i32_i8 v172, v44, v7
	v_mov_b32_e32 v7, 0
	v_dot4c_i32_i8 v4, v41, v11
	v_dot4c_i32_i8 v170, v45, v11
	v_dot4c_i32_i8 v171, v47, v11
	v_dot4c_i32_i8 v172, v49, v11
	v_dot4c_i32_i8 v7, v23, v13
	;; [unrolled: 10-line block ×3, first 2 shown]
	ds_read_b128 v[10:13], v159 offset:2064
	v_dot4c_i32_i8 v4, v3, v9
	v_dot4c_i32_i8 v170, v28, v9
	;; [unrolled: 1-line block ×4, first 2 shown]
	v_cvt_f32_i32_e32 v4, v4
	s_waitcnt lgkmcnt(0)
	v_dot4c_i32_i8 v6, v22, v10
	v_dot4c_i32_i8 v7, v24, v10
	;; [unrolled: 1-line block ×4, first 2 shown]
	v_mov_b32_e32 v10, 0
	v_dot4c_i32_i8 v6, v31, v14
	v_dot4c_i32_i8 v7, v35, v14
	;; [unrolled: 1-line block ×9, first 2 shown]
	v_mov_b32_e32 v11, 0
	v_dot4c_i32_i8 v6, v41, v15
	v_dot4c_i32_i8 v7, v45, v15
	;; [unrolled: 1-line block ×9, first 2 shown]
	v_mov_b32_e32 v12, 0
	v_dot4c_i32_i8 v6, v2, v16
	v_dot4c_i32_i8 v7, v27, v16
	;; [unrolled: 1-line block ×4, first 2 shown]
	ds_read_b128 v[14:17], v159 offset:3088
	v_dot4c_i32_i8 v12, v25, v175
	v_mov_b32_e32 v175, 0
	v_dot4c_i32_i8 v6, v3, v13
	v_dot4c_i32_i8 v7, v28, v13
	;; [unrolled: 1-line block ×4, first 2 shown]
	v_cvt_f32_i32_e32 v6, v6
	s_waitcnt lgkmcnt(0)
	v_dot4c_i32_i8 v10, v22, v14
	v_dot4c_i32_i8 v11, v24, v14
	v_dot4c_i32_i8 v12, v26, v14
	v_dot4c_i32_i8 v174, v34, v14
	v_mov_b32_e32 v14, 0
	v_dot4c_i32_i8 v10, v31, v176
	v_dot4c_i32_i8 v11, v35, v176
	v_dot4c_i32_i8 v12, v39, v176
	v_dot4c_i32_i8 v174, v43, v176
	v_dot4c_i32_i8 v10, v32, v15
	v_dot4c_i32_i8 v11, v36, v15
	v_dot4c_i32_i8 v12, v40, v15
	v_dot4c_i32_i8 v174, v44, v15
	v_mov_b32_e32 v15, 0
	v_dot4c_i32_i8 v10, v41, v177
	v_dot4c_i32_i8 v11, v45, v177
	v_dot4c_i32_i8 v12, v47, v177
	v_dot4c_i32_i8 v174, v49, v177
	;; [unrolled: 9-line block ×3, first 2 shown]
	ds_read_b128 v[176:179], v159 offset:4096
	v_dot4c_i32_i8 v10, v3, v17
	v_dot4c_i32_i8 v11, v28, v17
	;; [unrolled: 1-line block ×4, first 2 shown]
	v_cvt_f32_i32_e32 v10, v10
	s_waitcnt lgkmcnt(0)
	v_dot4c_i32_i8 v15, v21, v176
	v_dot4c_i32_i8 v14, v23, v176
	;; [unrolled: 1-line block ×4, first 2 shown]
	v_mov_b32_e32 v176, 0
	v_dot4c_i32_i8 v15, v22, v180
	v_dot4c_i32_i8 v14, v24, v180
	;; [unrolled: 1-line block ×12, first 2 shown]
	v_mov_b32_e32 v181, 0
	v_dot4c_i32_i8 v15, v41, v178
	v_dot4c_i32_i8 v14, v45, v178
	;; [unrolled: 1-line block ×8, first 2 shown]
	v_mov_b32_e32 v182, 0
	v_dot4c_i32_i8 v15, v2, v179
	v_dot4c_i32_i8 v14, v27, v179
	;; [unrolled: 1-line block ×4, first 2 shown]
	ds_read_b128 v[177:180], v159 offset:5120
	v_dot4c_i32_i8 v15, v3, v183
	v_dot4c_i32_i8 v14, v28, v183
	;; [unrolled: 1-line block ×4, first 2 shown]
	v_cvt_f32_i32_e32 v15, v15
	v_cvt_f32_i32_e32 v14, v14
	s_waitcnt lgkmcnt(0)
	v_dot4c_i32_i8 v181, v21, v177
	v_dot4c_i32_i8 v176, v23, v177
	v_dot4c_i32_i8 v182, v25, v177
	v_dot4c_i32_i8 v196, v33, v177
	v_dot4c_i32_i8 v181, v22, v184
	v_dot4c_i32_i8 v176, v24, v184
	v_dot4c_i32_i8 v182, v26, v184
	v_dot4c_i32_i8 v196, v34, v184
	v_mov_b32_e32 v184, 0
	v_dot4c_i32_i8 v181, v31, v178
	v_dot4c_i32_i8 v176, v35, v178
	v_dot4c_i32_i8 v182, v39, v178
	v_dot4c_i32_i8 v196, v43, v178
	v_dot4c_i32_i8 v181, v32, v185
	v_dot4c_i32_i8 v176, v36, v185
	v_dot4c_i32_i8 v182, v40, v185
	v_dot4c_i32_i8 v196, v44, v185
	v_mov_b32_e32 v185, 0
	;; [unrolled: 9-line block ×3, first 2 shown]
	v_dot4c_i32_i8 v181, v2, v180
	v_dot4c_i32_i8 v176, v27, v180
	;; [unrolled: 1-line block ×4, first 2 shown]
	ds_read_b128 v[177:180], v159 offset:6144
	v_dot4c_i32_i8 v181, v3, v187
	v_dot4c_i32_i8 v176, v28, v187
	;; [unrolled: 1-line block ×4, first 2 shown]
	s_waitcnt lgkmcnt(0)
	v_dot4c_i32_i8 v184, v21, v177
	v_dot4c_i32_i8 v185, v23, v177
	;; [unrolled: 1-line block ×8, first 2 shown]
	v_mov_b32_e32 v188, 0
	v_dot4c_i32_i8 v184, v31, v178
	v_dot4c_i32_i8 v185, v35, v178
	;; [unrolled: 1-line block ×20, first 2 shown]
	ds_read_b128 v[177:180], v159 offset:7168
	v_dot4c_i32_i8 v184, v3, v191
	v_dot4c_i32_i8 v185, v28, v191
	;; [unrolled: 1-line block ×4, first 2 shown]
	v_add_nc_u32_e32 v159, 32, v159
	s_waitcnt lgkmcnt(0)
	v_dot4c_i32_i8 v188, v21, v177
	v_mov_b32_e32 v21, 0
	v_dot4c_i32_i8 v188, v22, v192
	v_mov_b32_e32 v22, 0
	;; [unrolled: 2-line block ×3, first 2 shown]
	v_dot4c_i32_i8 v188, v31, v178
	v_dot4c_i32_i8 v22, v25, v177
	;; [unrolled: 1-line block ×21, first 2 shown]
	ds_read_b32 v5, v162
	ds_read_b32 v9, v163
	;; [unrolled: 1-line block ×4, first 2 shown]
	ds_read2_b32 v[2:3], v161 offset1:32
	v_dot4c_i32_i8 v22, v48, v194
	v_dot4c_i32_i8 v21, v27, v180
	v_dot4c_i32_i8 v23, v50, v194
	v_add_nc_u32_e32 v165, 4, v165
	v_add_nc_u32_e32 v164, 4, v164
	v_dot4c_i32_i8 v22, v29, v180
	v_dot4c_i32_i8 v21, v28, v195
	;; [unrolled: 1-line block ×3, first 2 shown]
	v_add_nc_u32_e32 v163, 4, v163
	v_add_nc_u32_e32 v162, 4, v162
	v_dot4c_i32_i8 v22, v30, v195
	v_dot4c_i32_i8 v23, v38, v195
	s_waitcnt lgkmcnt(0)
	v_pk_mul_f16 v24, v2, v5
	v_pk_mul_f16 v25, v2, v9
	;; [unrolled: 1-line block ×8, first 2 shown]
	ds_read2_b32 v[2:3], v161 offset0:64 offset1:96
	v_fma_mix_f32 v4, v4, v28, v28 op_sel:[0,0,1] op_sel_hi:[0,1,1]
	v_cvt_f32_i32_e32 v28, v184
	v_add_f32_e32 v84, v84, v4
	v_cvt_f32_i32_e32 v4, v170
	v_fma_mix_f32 v4, v4, v29, v29 op_sel:[0,0,1] op_sel_hi:[0,1,1]
	v_cvt_f32_i32_e32 v29, v172
	v_add_f32_e32 v80, v80, v4
	v_fma_mix_f32 v29, v29, v31, v31 op_sel:[0,0,1] op_sel_hi:[0,1,1]
	v_cvt_f32_i32_e32 v31, v196
	s_waitcnt lgkmcnt(0)
	v_pk_mul_f16 v32, v5, v2
	v_pk_mul_f16 v33, v9, v2
	;; [unrolled: 1-line block ×8, first 2 shown]
	ds_read2_b32 v[2:3], v161 offset0:128 offset1:160
	v_fma_mix_f32 v6, v6, v32, v32 op_sel:[0,0,1] op_sel_hi:[0,1,1]
	v_cvt_f32_i32_e32 v32, v188
	v_fma_mix_f32 v10, v10, v36, v36 op_sel:[0,0,1] op_sel_hi:[0,1,1]
	v_add_f32_e32 v77, v77, v29
	v_add_f32_e32 v76, v76, v6
	v_cvt_f32_i32_e32 v6, v7
	v_cvt_f32_i32_e32 v7, v8
	;; [unrolled: 1-line block ×3, first 2 shown]
	v_add_f32_e32 v70, v70, v10
	v_cvt_f32_i32_e32 v10, v11
	v_fma_mix_f32 v6, v6, v33, v33 op_sel:[0,0,1] op_sel_hi:[0,1,1]
	v_cvt_f32_i32_e32 v11, v12
	v_cvt_f32_i32_e32 v12, v174
	v_cvt_f32_i32_e32 v33, v197
	v_fma_mix_f32 v7, v7, v34, v34 op_sel:[0,0,1] op_sel_hi:[0,1,1]
	v_fma_mix_f32 v8, v8, v35, v35 op_sel:[0,0,1] op_sel_hi:[0,1,1]
	;; [unrolled: 1-line block ×4, first 2 shown]
	s_waitcnt lgkmcnt(0)
	v_pk_mul_f16 v40, v5, v2
	v_pk_mul_f16 v41, v9, v2
	v_pk_mul_f16 v42, v13, v2
	v_pk_mul_f16 v43, v17, v2
	v_pk_mul_f16 v44, v5, v3
	v_pk_mul_f16 v45, v9, v3
	v_pk_mul_f16 v46, v13, v3
	v_pk_mul_f16 v47, v17, v3
	ds_read2_b32 v[2:3], v161 offset0:192 offset1:224
	v_fma_mix_f32 v15, v15, v40, v40 op_sel:[0,0,1] op_sel_hi:[0,1,1]
	v_fma_mix_f32 v12, v12, v39, v39 op_sel:[0,0,1] op_sel_hi:[0,1,1]
	;; [unrolled: 1-line block ×4, first 2 shown]
	v_add_f32_e32 v75, v75, v6
	v_add_f32_e32 v66, v66, v15
	v_cvt_f32_i32_e32 v15, v16
	v_cvt_f32_i32_e32 v16, v175
	v_add_f32_e32 v73, v73, v7
	v_add_f32_e32 v71, v71, v8
	;; [unrolled: 1-line block ×3, first 2 shown]
	v_fma_mix_f32 v15, v15, v42, v42 op_sel:[0,0,1] op_sel_hi:[0,1,1]
	v_fma_mix_f32 v16, v16, v43, v43 op_sel:[0,0,1] op_sel_hi:[0,1,1]
	v_add_nc_u32_e32 v161, 4, v161
	v_add_f32_e32 v68, v68, v11
	v_add_f32_e32 v67, v67, v12
	;; [unrolled: 1-line block ×5, first 2 shown]
	s_waitcnt lgkmcnt(0)
	v_pk_mul_f16 v48, v5, v2
	v_pk_mul_f16 v5, v5, v3
	;; [unrolled: 1-line block ×8, first 2 shown]
	v_cvt_f32_i32_e32 v17, v167
	v_fma_mix_f32 v5, v32, v5, v5 op_sel:[0,0,1] op_sel_hi:[0,1,1]
	v_fma_mix_f32 v28, v28, v48, v48 op_sel:[0,0,1] op_sel_hi:[0,1,1]
	v_cvt_f32_i32_e32 v32, v186
	v_fma_mix_f32 v2, v33, v2, v2 op_sel:[0,0,1] op_sel_hi:[0,1,1]
	v_fma_mix_f32 v17, v24, v17, v24 op_sel:[0,0,1] op_sel_hi:[1,0,1]
	v_cvt_f32_i32_e32 v24, v181
	v_add_f32_e32 v54, v54, v5
	v_cvt_f32_i32_e32 v5, v21
	v_add_f32_e32 v58, v58, v28
	v_add_f32_e32 v74, v74, v17
	v_cvt_f32_i32_e32 v17, v166
	v_fma_mix_f32 v24, v24, v44, v44 op_sel:[0,0,1] op_sel_hi:[0,1,1]
	v_fma_mix_f32 v5, v5, v9, v9 op_sel:[0,0,1] op_sel_hi:[0,1,1]
	v_cvt_f32_i32_e32 v9, v22
	v_cvt_f32_i32_e32 v28, v185
	v_fma_mix_f32 v17, v25, v17, v25 op_sel:[0,0,1] op_sel_hi:[1,0,1]
	v_cvt_f32_i32_e32 v25, v168
	v_add_f32_e32 v62, v62, v24
	v_cvt_f32_i32_e32 v24, v176
	v_fma_mix_f32 v9, v9, v13, v13 op_sel:[0,0,1] op_sel_hi:[0,1,1]
	v_cvt_f32_i32_e32 v13, v23
	v_fma_mix_f32 v25, v26, v25, v26 op_sel:[0,0,1] op_sel_hi:[1,0,1]
	;; [unrolled: 2-line block ×3, first 2 shown]
	v_fma_mix_f32 v28, v28, v49, v49 op_sel:[0,0,1] op_sel_hi:[0,1,1]
	v_fma_mix_f32 v32, v32, v50, v50 op_sel:[0,0,1] op_sel_hi:[0,1,1]
	;; [unrolled: 1-line block ×4, first 2 shown]
	v_cvt_f32_i32_e32 v27, v171
	v_add_f32_e32 v99, v99, v17
	v_add_f32_e32 v88, v88, v25
	;; [unrolled: 1-line block ×4, first 2 shown]
	v_fma_mix_f32 v27, v27, v30, v30 op_sel:[0,0,1] op_sel_hi:[0,1,1]
	v_cvt_f32_i32_e32 v30, v182
	v_add_f32_e32 v59, v59, v31
	v_add_f32_e32 v57, v57, v28
	;; [unrolled: 1-line block ×4, first 2 shown]
	v_fma_mix_f32 v30, v30, v46, v46 op_sel:[0,0,1] op_sel_hi:[0,1,1]
	v_add_f32_e32 v55, v55, v2
	v_add_f32_e32 v53, v53, v5
	;; [unrolled: 1-line block ×5, first 2 shown]
	s_cbranch_scc1 .LBB163_8
; %bb.9:                                ;   in Loop: Header=BB163_6 Depth=1
	s_and_b32 s0, s11, -4
	s_cmp_eq_u32 s0, 4
	s_barrier
	buffer_gl0_inv
	s_cbranch_scc1 .LBB163_5
; %bb.10:                               ;   in Loop: Header=BB163_6 Depth=1
	v_add_nc_u32_e32 v14, s14, v134
	v_add_nc_u32_e32 v12, 4, v158
	v_mov_b32_e32 v158, v139
	v_mov_b32_e32 v159, v140
	;; [unrolled: 1-line block ×3, first 2 shown]
	v_add_nc_u32_e32 v2, v14, v125
	v_add_nc_u32_e32 v4, v14, v126
	;; [unrolled: 1-line block ×5, first 2 shown]
	v_mad_u64_u32 v[12:13], null, v12, 36, s[2:3]
	v_mad_i64_i32 v[2:3], null, v2, 36, v[19:20]
	v_add_nc_u32_e32 v15, v14, v130
	v_mad_i64_i32 v[4:5], null, v4, 36, v[19:20]
	v_add_nc_u32_e32 v16, v14, v131
	;; [unrolled: 2-line block ×3, first 2 shown]
	v_mad_i64_i32 v[8:9], null, v8, 36, v[19:20]
	v_mad_i64_i32 v[10:11], null, v10, 36, v[19:20]
	;; [unrolled: 1-line block ×5, first 2 shown]
	s_clause 0x8
	global_load_dword v12, v[12:13], off
	global_load_dword v2, v[2:3], off offset:4
	global_load_dword v3, v[4:5], off offset:4
	;; [unrolled: 1-line block ×8, first 2 shown]
	v_mov_b32_e32 v161, v144
	v_mov_b32_e32 v162, v143
	;; [unrolled: 1-line block ×4, first 2 shown]
	s_mov_b32 s0, 12
	s_waitcnt vmcnt(8)
	ds_write_b32 v124, v12
	s_waitcnt vmcnt(7)
	ds_write_b32 v150, v2
	;; [unrolled: 2-line block ×9, first 2 shown]
	s_waitcnt lgkmcnt(0)
	s_barrier
	buffer_gl0_inv
.LBB163_11:                             ;   Parent Loop BB163_6 Depth=1
                                        ; =>  This Inner Loop Header: Depth=2
	v_add_nc_u32_e32 v10, 0x2080, v160
	ds_read_b128 v[6:9], v159
	ds_read2_b32 v[21:22], v160 offset1:1
	ds_read_b128 v[2:5], v159 offset:16
	v_mov_b32_e32 v166, 0
	v_mov_b32_e32 v165, 0
	ds_read2_b32 v[23:24], v10 offset1:1
	v_add_nc_u32_e32 v10, 0x4100, v160
	v_mov_b32_e32 v167, 0
	v_mov_b32_e32 v168, 0
	;; [unrolled: 1-line block ×3, first 2 shown]
	ds_read2_b32 v[31:32], v160 offset0:2 offset1:3
	ds_read2_b32 v[25:26], v10 offset1:1
	v_add_nc_u32_e32 v10, 0x6180, v160
	v_mov_b32_e32 v170, 0
	v_mov_b32_e32 v171, 0
	ds_read2_b32 v[41:42], v160 offset0:4 offset1:5
	v_mov_b32_e32 v172, 0
	ds_read2_b32 v[33:34], v10 offset1:1
	v_mov_b32_e32 v173, 0
	v_mov_b32_e32 v195, 0
	;; [unrolled: 1-line block ×3, first 2 shown]
	s_waitcnt lgkmcnt(6)
	v_dot4c_i32_i8 v166, v21, v6
	s_add_i32 s0, s0, 4
	ds_read_b128 v[13:16], v159 offset:2048
	s_cmp_lt_u32 s0, 28
	s_waitcnt lgkmcnt(5)
	v_dot4c_i32_i8 v165, v23, v6
	v_dot4c_i32_i8 v166, v22, v2
	ds_read_b128 v[174:177], v159 offset:3072
	ds_read_b128 v[179:182], v159 offset:4112
	;; [unrolled: 1-line block ×3, first 2 shown]
	v_dot4c_i32_i8 v165, v24, v2
	s_waitcnt lgkmcnt(6)
	v_dot4c_i32_i8 v167, v25, v6
	v_dot4c_i32_i8 v166, v31, v7
	ds_read_b128 v[187:190], v159 offset:6160
	ds_read_b128 v[191:194], v159 offset:7184
	v_dot4c_i32_i8 v167, v26, v2
	s_waitcnt lgkmcnt(6)
	v_dot4c_i32_i8 v168, v33, v6
	v_dot4c_i32_i8 v166, v32, v3
	;; [unrolled: 1-line block ×3, first 2 shown]
	v_add_nc_u32_e32 v2, 0x2088, v160
	v_dot4c_i32_i8 v166, v41, v8
	s_waitcnt lgkmcnt(5)
	v_dot4c_i32_i8 v172, v33, v13
	s_waitcnt lgkmcnt(4)
	v_dot4c_i32_i8 v173, v33, v174
	ds_read2_b32 v[35:36], v2 offset1:1
	v_add_nc_u32_e32 v2, 0x4108, v160
	v_dot4c_i32_i8 v166, v42, v4
	ds_read2_b32 v[39:40], v2 offset1:1
	v_add_nc_u32_e32 v2, 0x6188, v160
	ds_read2_b32 v[43:44], v2 offset1:1
	v_add_nc_u32_e32 v2, 0x2090, v160
	ds_read2_b32 v[45:46], v2 offset1:1
	v_add_nc_u32_e32 v2, 0x4110, v160
	s_waitcnt lgkmcnt(3)
	v_dot4c_i32_i8 v165, v35, v7
	ds_read2_b32 v[47:48], v2 offset1:1
	v_add_nc_u32_e32 v2, 0x6190, v160
	s_waitcnt lgkmcnt(3)
	v_dot4c_i32_i8 v167, v39, v7
	v_dot4c_i32_i8 v165, v36, v3
	ds_read2_b32 v[49:50], v2 offset1:1
	v_dot4c_i32_i8 v167, v40, v3
	s_waitcnt lgkmcnt(3)
	v_dot4c_i32_i8 v168, v43, v7
	v_dot4c_i32_i8 v168, v44, v3
	s_waitcnt lgkmcnt(2)
	v_dot4c_i32_i8 v165, v45, v8
	ds_read2_b32 v[2:3], v160 offset0:6 offset1:7
	v_dot4c_i32_i8 v165, v46, v4
	s_waitcnt lgkmcnt(2)
	v_dot4c_i32_i8 v167, v47, v8
	v_dot4c_i32_i8 v167, v48, v4
	s_waitcnt lgkmcnt(1)
	v_dot4c_i32_i8 v168, v49, v8
	v_dot4c_i32_i8 v168, v50, v4
	v_add_nc_u32_e32 v4, 0x2098, v160
	ds_read2_b32 v[27:28], v4 offset1:1
	v_add_nc_u32_e32 v4, 0x4118, v160
	s_waitcnt lgkmcnt(1)
	v_dot4c_i32_i8 v166, v2, v9
	ds_read2_b32 v[29:30], v4 offset1:1
	v_add_nc_u32_e32 v4, 0x6198, v160
	v_dot4c_i32_i8 v166, v3, v5
	v_add_nc_u32_e32 v160, 32, v160
	ds_read2_b32 v[37:38], v4 offset1:1
	v_mov_b32_e32 v4, 0
	s_waitcnt lgkmcnt(2)
	v_dot4c_i32_i8 v165, v27, v9
	v_dot4c_i32_i8 v165, v28, v5
	s_waitcnt lgkmcnt(1)
	v_dot4c_i32_i8 v167, v29, v9
	v_dot4c_i32_i8 v167, v30, v5
	s_waitcnt lgkmcnt(0)
	v_dot4c_i32_i8 v168, v37, v9
	ds_read_b128 v[9:12], v159 offset:1024
	v_dot4c_i32_i8 v168, v38, v5
	s_waitcnt lgkmcnt(0)
	v_dot4c_i32_i8 v4, v21, v9
	v_dot4c_i32_i8 v169, v23, v9
	;; [unrolled: 1-line block ×4, first 2 shown]
	ds_read_b128 v[6:9], v159 offset:1040
	s_waitcnt lgkmcnt(0)
	v_dot4c_i32_i8 v4, v22, v6
	v_dot4c_i32_i8 v169, v24, v6
	v_dot4c_i32_i8 v170, v26, v6
	v_dot4c_i32_i8 v171, v34, v6
	v_mov_b32_e32 v6, 0
	v_dot4c_i32_i8 v4, v31, v10
	v_dot4c_i32_i8 v169, v35, v10
	v_dot4c_i32_i8 v170, v39, v10
	v_dot4c_i32_i8 v171, v43, v10
	v_dot4c_i32_i8 v6, v21, v13
	v_dot4c_i32_i8 v4, v32, v7
	v_dot4c_i32_i8 v169, v36, v7
	v_dot4c_i32_i8 v170, v40, v7
	v_dot4c_i32_i8 v171, v44, v7
	v_mov_b32_e32 v7, 0
	v_dot4c_i32_i8 v4, v41, v11
	v_dot4c_i32_i8 v169, v45, v11
	v_dot4c_i32_i8 v170, v47, v11
	v_dot4c_i32_i8 v171, v49, v11
	v_dot4c_i32_i8 v7, v23, v13
	;; [unrolled: 10-line block ×3, first 2 shown]
	ds_read_b128 v[10:13], v159 offset:2064
	v_dot4c_i32_i8 v4, v3, v9
	v_dot4c_i32_i8 v169, v28, v9
	;; [unrolled: 1-line block ×4, first 2 shown]
	v_cvt_f32_i32_e32 v4, v4
	s_waitcnt lgkmcnt(0)
	v_dot4c_i32_i8 v6, v22, v10
	v_dot4c_i32_i8 v7, v24, v10
	;; [unrolled: 1-line block ×4, first 2 shown]
	v_mov_b32_e32 v10, 0
	v_dot4c_i32_i8 v6, v31, v14
	v_dot4c_i32_i8 v7, v35, v14
	;; [unrolled: 1-line block ×9, first 2 shown]
	v_mov_b32_e32 v11, 0
	v_dot4c_i32_i8 v6, v41, v15
	v_dot4c_i32_i8 v7, v45, v15
	;; [unrolled: 1-line block ×9, first 2 shown]
	v_mov_b32_e32 v12, 0
	v_dot4c_i32_i8 v6, v2, v16
	v_dot4c_i32_i8 v7, v27, v16
	;; [unrolled: 1-line block ×4, first 2 shown]
	ds_read_b128 v[14:17], v159 offset:3088
	v_dot4c_i32_i8 v12, v25, v174
	v_mov_b32_e32 v174, 0
	v_dot4c_i32_i8 v6, v3, v13
	v_dot4c_i32_i8 v7, v28, v13
	;; [unrolled: 1-line block ×4, first 2 shown]
	v_cvt_f32_i32_e32 v6, v6
	s_waitcnt lgkmcnt(0)
	v_dot4c_i32_i8 v10, v22, v14
	v_dot4c_i32_i8 v11, v24, v14
	v_dot4c_i32_i8 v12, v26, v14
	v_dot4c_i32_i8 v173, v34, v14
	v_mov_b32_e32 v14, 0
	v_dot4c_i32_i8 v10, v31, v175
	v_dot4c_i32_i8 v11, v35, v175
	v_dot4c_i32_i8 v12, v39, v175
	v_dot4c_i32_i8 v173, v43, v175
	v_dot4c_i32_i8 v10, v32, v15
	v_dot4c_i32_i8 v11, v36, v15
	v_dot4c_i32_i8 v12, v40, v15
	v_dot4c_i32_i8 v173, v44, v15
	v_mov_b32_e32 v15, 0
	v_dot4c_i32_i8 v10, v41, v176
	v_dot4c_i32_i8 v11, v45, v176
	v_dot4c_i32_i8 v12, v47, v176
	v_dot4c_i32_i8 v173, v49, v176
	;; [unrolled: 9-line block ×3, first 2 shown]
	ds_read_b128 v[175:178], v159 offset:4096
	v_dot4c_i32_i8 v10, v3, v17
	v_dot4c_i32_i8 v11, v28, v17
	;; [unrolled: 1-line block ×4, first 2 shown]
	v_cvt_f32_i32_e32 v10, v10
	s_waitcnt lgkmcnt(0)
	v_dot4c_i32_i8 v15, v21, v175
	v_dot4c_i32_i8 v14, v23, v175
	;; [unrolled: 1-line block ×4, first 2 shown]
	v_mov_b32_e32 v175, 0
	v_dot4c_i32_i8 v15, v22, v179
	v_dot4c_i32_i8 v14, v24, v179
	;; [unrolled: 1-line block ×12, first 2 shown]
	v_mov_b32_e32 v180, 0
	v_dot4c_i32_i8 v15, v41, v177
	v_dot4c_i32_i8 v14, v45, v177
	;; [unrolled: 1-line block ×8, first 2 shown]
	v_mov_b32_e32 v181, 0
	v_dot4c_i32_i8 v15, v2, v178
	v_dot4c_i32_i8 v14, v27, v178
	;; [unrolled: 1-line block ×4, first 2 shown]
	ds_read_b128 v[176:179], v159 offset:5120
	v_dot4c_i32_i8 v15, v3, v182
	v_dot4c_i32_i8 v14, v28, v182
	;; [unrolled: 1-line block ×4, first 2 shown]
	v_cvt_f32_i32_e32 v15, v15
	v_cvt_f32_i32_e32 v14, v14
	s_waitcnt lgkmcnt(0)
	v_dot4c_i32_i8 v180, v21, v176
	v_dot4c_i32_i8 v175, v23, v176
	v_dot4c_i32_i8 v181, v25, v176
	v_dot4c_i32_i8 v195, v33, v176
	v_dot4c_i32_i8 v180, v22, v183
	v_dot4c_i32_i8 v175, v24, v183
	v_dot4c_i32_i8 v181, v26, v183
	v_dot4c_i32_i8 v195, v34, v183
	v_mov_b32_e32 v183, 0
	v_dot4c_i32_i8 v180, v31, v177
	v_dot4c_i32_i8 v175, v35, v177
	v_dot4c_i32_i8 v181, v39, v177
	v_dot4c_i32_i8 v195, v43, v177
	v_dot4c_i32_i8 v180, v32, v184
	v_dot4c_i32_i8 v175, v36, v184
	v_dot4c_i32_i8 v181, v40, v184
	v_dot4c_i32_i8 v195, v44, v184
	v_mov_b32_e32 v184, 0
	;; [unrolled: 9-line block ×3, first 2 shown]
	v_dot4c_i32_i8 v180, v2, v179
	v_dot4c_i32_i8 v175, v27, v179
	;; [unrolled: 1-line block ×4, first 2 shown]
	ds_read_b128 v[176:179], v159 offset:6144
	v_dot4c_i32_i8 v180, v3, v186
	v_dot4c_i32_i8 v175, v28, v186
	;; [unrolled: 1-line block ×4, first 2 shown]
	s_waitcnt lgkmcnt(0)
	v_dot4c_i32_i8 v183, v21, v176
	v_dot4c_i32_i8 v184, v23, v176
	;; [unrolled: 1-line block ×8, first 2 shown]
	v_mov_b32_e32 v187, 0
	v_dot4c_i32_i8 v183, v31, v177
	v_dot4c_i32_i8 v184, v35, v177
	;; [unrolled: 1-line block ×20, first 2 shown]
	ds_read_b128 v[176:179], v159 offset:7168
	v_dot4c_i32_i8 v183, v3, v190
	v_dot4c_i32_i8 v184, v28, v190
	v_dot4c_i32_i8 v185, v30, v190
	v_dot4c_i32_i8 v196, v38, v190
	v_add_nc_u32_e32 v159, 32, v159
	s_waitcnt lgkmcnt(0)
	v_dot4c_i32_i8 v187, v21, v176
	v_mov_b32_e32 v21, 0
	v_dot4c_i32_i8 v187, v22, v191
	v_mov_b32_e32 v22, 0
	;; [unrolled: 2-line block ×3, first 2 shown]
	v_dot4c_i32_i8 v187, v31, v177
	v_dot4c_i32_i8 v22, v25, v176
	;; [unrolled: 1-line block ×21, first 2 shown]
	ds_read_b32 v5, v161
	ds_read_b32 v9, v162
	ds_read_b32 v13, v163
	ds_read_b32 v17, v164
	ds_read2_b32 v[2:3], v158 offset1:32
	v_dot4c_i32_i8 v22, v48, v193
	v_dot4c_i32_i8 v21, v27, v179
	;; [unrolled: 1-line block ×3, first 2 shown]
	v_add_nc_u32_e32 v164, 4, v164
	v_add_nc_u32_e32 v163, 4, v163
	v_dot4c_i32_i8 v22, v29, v179
	v_dot4c_i32_i8 v21, v28, v194
	;; [unrolled: 1-line block ×3, first 2 shown]
	v_add_nc_u32_e32 v162, 4, v162
	v_add_nc_u32_e32 v161, 4, v161
	v_dot4c_i32_i8 v22, v30, v194
	v_dot4c_i32_i8 v23, v38, v194
	s_waitcnt lgkmcnt(0)
	v_pk_mul_f16 v24, v2, v5
	v_pk_mul_f16 v25, v2, v9
	;; [unrolled: 1-line block ×8, first 2 shown]
	ds_read2_b32 v[2:3], v158 offset0:64 offset1:96
	v_fma_mix_f32 v4, v4, v28, v28 op_sel:[0,0,1] op_sel_hi:[0,1,1]
	v_cvt_f32_i32_e32 v28, v183
	v_add_f32_e32 v84, v84, v4
	v_cvt_f32_i32_e32 v4, v169
	v_fma_mix_f32 v4, v4, v29, v29 op_sel:[0,0,1] op_sel_hi:[0,1,1]
	v_cvt_f32_i32_e32 v29, v171
	v_add_f32_e32 v80, v80, v4
	v_fma_mix_f32 v29, v29, v31, v31 op_sel:[0,0,1] op_sel_hi:[0,1,1]
	v_cvt_f32_i32_e32 v31, v195
	s_waitcnt lgkmcnt(0)
	v_pk_mul_f16 v32, v5, v2
	v_pk_mul_f16 v33, v9, v2
	v_pk_mul_f16 v34, v13, v2
	v_pk_mul_f16 v35, v17, v2
	v_pk_mul_f16 v36, v5, v3
	v_pk_mul_f16 v37, v9, v3
	v_pk_mul_f16 v38, v13, v3
	v_pk_mul_f16 v39, v17, v3
	ds_read2_b32 v[2:3], v158 offset0:128 offset1:160
	v_fma_mix_f32 v6, v6, v32, v32 op_sel:[0,0,1] op_sel_hi:[0,1,1]
	v_cvt_f32_i32_e32 v32, v187
	v_fma_mix_f32 v10, v10, v36, v36 op_sel:[0,0,1] op_sel_hi:[0,1,1]
	v_add_f32_e32 v77, v77, v29
	v_add_f32_e32 v76, v76, v6
	v_cvt_f32_i32_e32 v6, v7
	v_cvt_f32_i32_e32 v7, v8
	;; [unrolled: 1-line block ×3, first 2 shown]
	v_add_f32_e32 v70, v70, v10
	v_cvt_f32_i32_e32 v10, v11
	v_fma_mix_f32 v6, v6, v33, v33 op_sel:[0,0,1] op_sel_hi:[0,1,1]
	v_cvt_f32_i32_e32 v11, v12
	v_cvt_f32_i32_e32 v12, v173
	;; [unrolled: 1-line block ×3, first 2 shown]
	v_fma_mix_f32 v7, v7, v34, v34 op_sel:[0,0,1] op_sel_hi:[0,1,1]
	v_fma_mix_f32 v8, v8, v35, v35 op_sel:[0,0,1] op_sel_hi:[0,1,1]
	;; [unrolled: 1-line block ×4, first 2 shown]
	s_waitcnt lgkmcnt(0)
	v_pk_mul_f16 v40, v5, v2
	v_pk_mul_f16 v41, v9, v2
	v_pk_mul_f16 v42, v13, v2
	v_pk_mul_f16 v43, v17, v2
	v_pk_mul_f16 v44, v5, v3
	v_pk_mul_f16 v45, v9, v3
	v_pk_mul_f16 v46, v13, v3
	v_pk_mul_f16 v47, v17, v3
	ds_read2_b32 v[2:3], v158 offset0:192 offset1:224
	v_fma_mix_f32 v15, v15, v40, v40 op_sel:[0,0,1] op_sel_hi:[0,1,1]
	v_fma_mix_f32 v12, v12, v39, v39 op_sel:[0,0,1] op_sel_hi:[0,1,1]
	;; [unrolled: 1-line block ×4, first 2 shown]
	v_add_f32_e32 v75, v75, v6
	v_add_f32_e32 v66, v66, v15
	v_cvt_f32_i32_e32 v15, v16
	v_cvt_f32_i32_e32 v16, v174
	v_add_f32_e32 v73, v73, v7
	v_add_f32_e32 v71, v71, v8
	;; [unrolled: 1-line block ×3, first 2 shown]
	v_fma_mix_f32 v15, v15, v42, v42 op_sel:[0,0,1] op_sel_hi:[0,1,1]
	v_fma_mix_f32 v16, v16, v43, v43 op_sel:[0,0,1] op_sel_hi:[0,1,1]
	v_add_nc_u32_e32 v158, 4, v158
	v_add_f32_e32 v68, v68, v11
	v_add_f32_e32 v67, v67, v12
	;; [unrolled: 1-line block ×5, first 2 shown]
	s_waitcnt lgkmcnt(0)
	v_pk_mul_f16 v48, v5, v2
	v_pk_mul_f16 v5, v5, v3
	;; [unrolled: 1-line block ×8, first 2 shown]
	v_cvt_f32_i32_e32 v17, v166
	v_fma_mix_f32 v5, v32, v5, v5 op_sel:[0,0,1] op_sel_hi:[0,1,1]
	v_fma_mix_f32 v28, v28, v48, v48 op_sel:[0,0,1] op_sel_hi:[0,1,1]
	v_cvt_f32_i32_e32 v32, v185
	v_fma_mix_f32 v2, v33, v2, v2 op_sel:[0,0,1] op_sel_hi:[0,1,1]
	v_fma_mix_f32 v17, v24, v17, v24 op_sel:[0,0,1] op_sel_hi:[1,0,1]
	v_cvt_f32_i32_e32 v24, v180
	v_add_f32_e32 v54, v54, v5
	v_cvt_f32_i32_e32 v5, v21
	v_add_f32_e32 v58, v58, v28
	v_add_f32_e32 v74, v74, v17
	v_cvt_f32_i32_e32 v17, v165
	v_fma_mix_f32 v24, v24, v44, v44 op_sel:[0,0,1] op_sel_hi:[0,1,1]
	v_fma_mix_f32 v5, v5, v9, v9 op_sel:[0,0,1] op_sel_hi:[0,1,1]
	v_cvt_f32_i32_e32 v9, v22
	v_cvt_f32_i32_e32 v28, v184
	v_fma_mix_f32 v17, v25, v17, v25 op_sel:[0,0,1] op_sel_hi:[1,0,1]
	v_cvt_f32_i32_e32 v25, v167
	v_add_f32_e32 v62, v62, v24
	v_cvt_f32_i32_e32 v24, v175
	v_fma_mix_f32 v9, v9, v13, v13 op_sel:[0,0,1] op_sel_hi:[0,1,1]
	v_cvt_f32_i32_e32 v13, v23
	v_fma_mix_f32 v25, v26, v25, v26 op_sel:[0,0,1] op_sel_hi:[1,0,1]
	;; [unrolled: 2-line block ×3, first 2 shown]
	v_fma_mix_f32 v28, v28, v49, v49 op_sel:[0,0,1] op_sel_hi:[0,1,1]
	v_fma_mix_f32 v32, v32, v50, v50 op_sel:[0,0,1] op_sel_hi:[0,1,1]
	;; [unrolled: 1-line block ×4, first 2 shown]
	v_cvt_f32_i32_e32 v27, v170
	v_add_f32_e32 v99, v99, v17
	v_add_f32_e32 v88, v88, v25
	;; [unrolled: 1-line block ×4, first 2 shown]
	v_fma_mix_f32 v27, v27, v30, v30 op_sel:[0,0,1] op_sel_hi:[0,1,1]
	v_cvt_f32_i32_e32 v30, v181
	v_add_f32_e32 v59, v59, v31
	v_add_f32_e32 v57, v57, v28
	;; [unrolled: 1-line block ×4, first 2 shown]
	v_fma_mix_f32 v30, v30, v46, v46 op_sel:[0,0,1] op_sel_hi:[0,1,1]
	v_add_f32_e32 v55, v55, v2
	v_add_f32_e32 v53, v53, v5
	;; [unrolled: 1-line block ×5, first 2 shown]
	s_cbranch_scc1 .LBB163_11
; %bb.12:                               ;   in Loop: Header=BB163_6 Depth=1
	s_barrier
	buffer_gl0_inv
	s_branch .LBB163_5
.LBB163_13:
	v_mov_b32_e32 v2, v72
.LBB163_14:
	s_mov_b32 s0, exec_lo
	v_cmpx_gt_u32_e64 s8, v2
	s_cbranch_execz .LBB163_65
; %bb.15:
	v_add_nc_u32_e32 v0, s6, v0
	v_mul_lo_u32 v5, v2, s10
	v_cmp_gt_u32_e64 s0, s10, v0
	s_and_saveexec_b32 s1, s0
	s_cbranch_execz .LBB163_17
; %bb.16:
	v_add_nc_u32_e32 v2, v0, v5
	v_mov_b32_e32 v3, 0
	v_bfe_u32 v4, v74, 16, 1
	v_cmp_o_f32_e32 vcc_lo, v74, v74
	v_mov_b32_e32 v6, 0x7fc0
	v_lshlrev_b64 v[2:3], 1, v[2:3]
	v_add3_u32 v4, v74, v4, 0x7fff
	v_cndmask_b32_sdwa v4, v6, v4, vcc_lo dst_sel:DWORD dst_unused:UNUSED_PAD src0_sel:DWORD src1_sel:WORD_1
	s_waitcnt lgkmcnt(0)
	v_add_co_u32 v2, vcc_lo, s12, v2
	v_add_co_ci_u32_e64 v3, null, s13, v3, vcc_lo
	global_store_short v[2:3], v4, off
.LBB163_17:
	s_or_b32 exec_lo, exec_lo, s1
	v_add_nc_u32_e32 v2, 32, v0
	v_cmp_gt_u32_e64 s1, s10, v2
	s_and_saveexec_b32 s2, s1
	s_cbranch_execz .LBB163_19
; %bb.18:
	v_add_nc_u32_e32 v3, v2, v5
	v_mov_b32_e32 v4, 0
	v_bfe_u32 v6, v99, 16, 1
	v_cmp_o_f32_e32 vcc_lo, v99, v99
	v_mov_b32_e32 v7, 0x7fc0
	v_lshlrev_b64 v[3:4], 1, v[3:4]
	v_add3_u32 v6, v99, v6, 0x7fff
	v_cndmask_b32_sdwa v6, v7, v6, vcc_lo dst_sel:DWORD dst_unused:UNUSED_PAD src0_sel:DWORD src1_sel:WORD_1
	s_waitcnt lgkmcnt(0)
	v_add_co_u32 v3, vcc_lo, s12, v3
	v_add_co_ci_u32_e64 v4, null, s13, v4, vcc_lo
	global_store_short v[3:4], v6, off
.LBB163_19:
	s_or_b32 exec_lo, exec_lo, s2
	v_add_nc_u32_e32 v3, 64, v0
	;; [unrolled: 19-line block ×3, first 2 shown]
	v_cmp_gt_u32_e64 s3, s10, v4
	s_and_saveexec_b32 s4, s3
	s_cbranch_execz .LBB163_23
; %bb.22:
	v_add_nc_u32_e32 v5, v4, v5
	v_mov_b32_e32 v6, 0
	v_bfe_u32 v7, v85, 16, 1
	v_cmp_o_f32_e32 vcc_lo, v85, v85
	v_mov_b32_e32 v8, 0x7fc0
	v_lshlrev_b64 v[5:6], 1, v[5:6]
	v_add3_u32 v7, v85, v7, 0x7fff
	v_cndmask_b32_sdwa v7, v8, v7, vcc_lo dst_sel:DWORD dst_unused:UNUSED_PAD src0_sel:DWORD src1_sel:WORD_1
	s_waitcnt lgkmcnt(0)
	v_add_co_u32 v5, vcc_lo, s12, v5
	v_add_co_ci_u32_e64 v6, null, s13, v6, vcc_lo
	global_store_short v[5:6], v7, off
.LBB163_23:
	s_or_b32 exec_lo, exec_lo, s4
	v_add3_u32 v5, v1, s7, 8
	v_cmp_gt_u32_e32 vcc_lo, s8, v5
	s_and_b32 exec_lo, exec_lo, vcc_lo
	s_cbranch_execz .LBB163_65
; %bb.24:
	v_mul_lo_u32 v5, v5, s10
	s_and_saveexec_b32 s4, s0
	s_cbranch_execnz .LBB163_66
; %bb.25:
	s_or_b32 exec_lo, exec_lo, s4
	s_and_saveexec_b32 s4, s1
	s_cbranch_execnz .LBB163_67
.LBB163_26:
	s_or_b32 exec_lo, exec_lo, s4
	s_and_saveexec_b32 s4, s2
	s_cbranch_execnz .LBB163_68
.LBB163_27:
	s_or_b32 exec_lo, exec_lo, s4
	s_and_saveexec_b32 s4, s3
	s_cbranch_execz .LBB163_29
.LBB163_28:
	v_add_nc_u32_e32 v5, v5, v4
	v_mov_b32_e32 v6, 0
	v_bfe_u32 v7, v77, 16, 1
	v_cmp_o_f32_e32 vcc_lo, v77, v77
	v_mov_b32_e32 v8, 0x7fc0
	v_lshlrev_b64 v[5:6], 1, v[5:6]
	v_add3_u32 v7, v77, v7, 0x7fff
	v_cndmask_b32_sdwa v7, v8, v7, vcc_lo dst_sel:DWORD dst_unused:UNUSED_PAD src0_sel:DWORD src1_sel:WORD_1
	s_waitcnt lgkmcnt(0)
	v_add_co_u32 v5, vcc_lo, s12, v5
	v_add_co_ci_u32_e64 v6, null, s13, v6, vcc_lo
	global_store_short v[5:6], v7, off
.LBB163_29:
	s_or_b32 exec_lo, exec_lo, s4
	v_add3_u32 v5, v1, s7, 16
	v_cmp_gt_u32_e32 vcc_lo, s8, v5
	s_and_b32 exec_lo, exec_lo, vcc_lo
	s_cbranch_execz .LBB163_65
; %bb.30:
	v_mul_lo_u32 v5, v5, s10
	s_and_saveexec_b32 s4, s0
	s_cbranch_execnz .LBB163_69
; %bb.31:
	s_or_b32 exec_lo, exec_lo, s4
	s_and_saveexec_b32 s4, s1
	s_cbranch_execnz .LBB163_70
.LBB163_32:
	s_or_b32 exec_lo, exec_lo, s4
	s_and_saveexec_b32 s4, s2
	s_cbranch_execnz .LBB163_71
.LBB163_33:
	s_or_b32 exec_lo, exec_lo, s4
	s_and_saveexec_b32 s4, s3
	s_cbranch_execz .LBB163_35
.LBB163_34:
	v_add_nc_u32_e32 v5, v5, v4
	v_mov_b32_e32 v6, 0
	v_bfe_u32 v7, v71, 16, 1
	v_cmp_o_f32_e32 vcc_lo, v71, v71
	v_mov_b32_e32 v8, 0x7fc0
	v_lshlrev_b64 v[5:6], 1, v[5:6]
	v_add3_u32 v7, v71, v7, 0x7fff
	v_cndmask_b32_sdwa v7, v8, v7, vcc_lo dst_sel:DWORD dst_unused:UNUSED_PAD src0_sel:DWORD src1_sel:WORD_1
	s_waitcnt lgkmcnt(0)
	v_add_co_u32 v5, vcc_lo, s12, v5
	v_add_co_ci_u32_e64 v6, null, s13, v6, vcc_lo
	global_store_short v[5:6], v7, off
.LBB163_35:
	s_or_b32 exec_lo, exec_lo, s4
	v_add3_u32 v5, v1, s7, 24
	v_cmp_gt_u32_e32 vcc_lo, s8, v5
	s_and_b32 exec_lo, exec_lo, vcc_lo
	s_cbranch_execz .LBB163_65
; %bb.36:
	v_mul_lo_u32 v5, v5, s10
	s_and_saveexec_b32 s4, s0
	s_cbranch_execnz .LBB163_72
; %bb.37:
	s_or_b32 exec_lo, exec_lo, s4
	s_and_saveexec_b32 s4, s1
	s_cbranch_execnz .LBB163_73
.LBB163_38:
	s_or_b32 exec_lo, exec_lo, s4
	s_and_saveexec_b32 s4, s2
	s_cbranch_execnz .LBB163_74
.LBB163_39:
	s_or_b32 exec_lo, exec_lo, s4
	s_and_saveexec_b32 s4, s3
	s_cbranch_execz .LBB163_41
.LBB163_40:
	v_add_nc_u32_e32 v5, v5, v4
	v_mov_b32_e32 v6, 0
	v_bfe_u32 v7, v67, 16, 1
	v_cmp_o_f32_e32 vcc_lo, v67, v67
	v_mov_b32_e32 v8, 0x7fc0
	v_lshlrev_b64 v[5:6], 1, v[5:6]
	v_add3_u32 v7, v67, v7, 0x7fff
	v_cndmask_b32_sdwa v7, v8, v7, vcc_lo dst_sel:DWORD dst_unused:UNUSED_PAD src0_sel:DWORD src1_sel:WORD_1
	s_waitcnt lgkmcnt(0)
	v_add_co_u32 v5, vcc_lo, s12, v5
	v_add_co_ci_u32_e64 v6, null, s13, v6, vcc_lo
	global_store_short v[5:6], v7, off
.LBB163_41:
	s_or_b32 exec_lo, exec_lo, s4
	v_add3_u32 v5, v1, s7, 32
	v_cmp_gt_u32_e32 vcc_lo, s8, v5
	s_and_b32 exec_lo, exec_lo, vcc_lo
	s_cbranch_execz .LBB163_65
; %bb.42:
	v_mul_lo_u32 v5, v5, s10
	s_and_saveexec_b32 s4, s0
	s_cbranch_execnz .LBB163_75
; %bb.43:
	s_or_b32 exec_lo, exec_lo, s4
	s_and_saveexec_b32 s4, s1
	s_cbranch_execnz .LBB163_76
.LBB163_44:
	s_or_b32 exec_lo, exec_lo, s4
	s_and_saveexec_b32 s4, s2
	s_cbranch_execnz .LBB163_77
.LBB163_45:
	s_or_b32 exec_lo, exec_lo, s4
	s_and_saveexec_b32 s4, s3
	s_cbranch_execz .LBB163_47
.LBB163_46:
	v_add_nc_u32_e32 v5, v5, v4
	v_mov_b32_e32 v6, 0
	v_bfe_u32 v7, v63, 16, 1
	v_cmp_o_f32_e32 vcc_lo, v63, v63
	v_mov_b32_e32 v8, 0x7fc0
	v_lshlrev_b64 v[5:6], 1, v[5:6]
	v_add3_u32 v7, v63, v7, 0x7fff
	v_cndmask_b32_sdwa v7, v8, v7, vcc_lo dst_sel:DWORD dst_unused:UNUSED_PAD src0_sel:DWORD src1_sel:WORD_1
	s_waitcnt lgkmcnt(0)
	v_add_co_u32 v5, vcc_lo, s12, v5
	v_add_co_ci_u32_e64 v6, null, s13, v6, vcc_lo
	global_store_short v[5:6], v7, off
.LBB163_47:
	s_or_b32 exec_lo, exec_lo, s4
	v_add3_u32 v5, v1, s7, 40
	v_cmp_gt_u32_e32 vcc_lo, s8, v5
	s_and_b32 exec_lo, exec_lo, vcc_lo
	s_cbranch_execz .LBB163_65
; %bb.48:
	v_mul_lo_u32 v5, v5, s10
	s_and_saveexec_b32 s4, s0
	s_cbranch_execnz .LBB163_78
; %bb.49:
	s_or_b32 exec_lo, exec_lo, s4
	s_and_saveexec_b32 s4, s1
	s_cbranch_execnz .LBB163_79
.LBB163_50:
	s_or_b32 exec_lo, exec_lo, s4
	s_and_saveexec_b32 s4, s2
	s_cbranch_execnz .LBB163_80
.LBB163_51:
	s_or_b32 exec_lo, exec_lo, s4
	s_and_saveexec_b32 s4, s3
	s_cbranch_execz .LBB163_53
.LBB163_52:
	v_add_nc_u32_e32 v5, v5, v4
	v_mov_b32_e32 v6, 0
	v_bfe_u32 v7, v59, 16, 1
	v_cmp_o_f32_e32 vcc_lo, v59, v59
	v_mov_b32_e32 v8, 0x7fc0
	v_lshlrev_b64 v[5:6], 1, v[5:6]
	v_add3_u32 v7, v59, v7, 0x7fff
	v_cndmask_b32_sdwa v7, v8, v7, vcc_lo dst_sel:DWORD dst_unused:UNUSED_PAD src0_sel:DWORD src1_sel:WORD_1
	s_waitcnt lgkmcnt(0)
	v_add_co_u32 v5, vcc_lo, s12, v5
	v_add_co_ci_u32_e64 v6, null, s13, v6, vcc_lo
	global_store_short v[5:6], v7, off
.LBB163_53:
	s_or_b32 exec_lo, exec_lo, s4
	v_add3_u32 v5, v1, s7, 48
	v_cmp_gt_u32_e32 vcc_lo, s8, v5
	s_and_b32 exec_lo, exec_lo, vcc_lo
	s_cbranch_execz .LBB163_65
; %bb.54:
	v_mul_lo_u32 v5, v5, s10
	s_and_saveexec_b32 s4, s0
	s_cbranch_execnz .LBB163_81
; %bb.55:
	s_or_b32 exec_lo, exec_lo, s4
	s_and_saveexec_b32 s4, s1
	s_cbranch_execnz .LBB163_82
.LBB163_56:
	s_or_b32 exec_lo, exec_lo, s4
	s_and_saveexec_b32 s4, s2
	s_cbranch_execnz .LBB163_83
.LBB163_57:
	s_or_b32 exec_lo, exec_lo, s4
	s_and_saveexec_b32 s4, s3
	s_cbranch_execz .LBB163_59
.LBB163_58:
	v_add_nc_u32_e32 v5, v5, v4
	v_mov_b32_e32 v6, 0
	v_bfe_u32 v7, v55, 16, 1
	v_cmp_o_f32_e32 vcc_lo, v55, v55
	v_mov_b32_e32 v8, 0x7fc0
	v_lshlrev_b64 v[5:6], 1, v[5:6]
	v_add3_u32 v7, v55, v7, 0x7fff
	v_cndmask_b32_sdwa v7, v8, v7, vcc_lo dst_sel:DWORD dst_unused:UNUSED_PAD src0_sel:DWORD src1_sel:WORD_1
	s_waitcnt lgkmcnt(0)
	v_add_co_u32 v5, vcc_lo, s12, v5
	v_add_co_ci_u32_e64 v6, null, s13, v6, vcc_lo
	global_store_short v[5:6], v7, off
.LBB163_59:
	s_or_b32 exec_lo, exec_lo, s4
	v_add3_u32 v1, v1, s7, 56
	v_cmp_gt_u32_e32 vcc_lo, s8, v1
	s_and_b32 exec_lo, exec_lo, vcc_lo
	s_cbranch_execz .LBB163_65
; %bb.60:
	v_mul_lo_u32 v1, v1, s10
	s_and_saveexec_b32 s4, s0
	s_cbranch_execnz .LBB163_84
; %bb.61:
	s_or_b32 exec_lo, exec_lo, s4
	s_and_saveexec_b32 s0, s1
	s_cbranch_execnz .LBB163_85
.LBB163_62:
	s_or_b32 exec_lo, exec_lo, s0
	s_and_saveexec_b32 s0, s2
	s_cbranch_execnz .LBB163_86
.LBB163_63:
	s_or_b32 exec_lo, exec_lo, s0
	s_and_b32 exec_lo, exec_lo, s3
	s_cbranch_execz .LBB163_65
.LBB163_64:
	v_add_nc_u32_e32 v0, v1, v4
	v_mov_b32_e32 v1, 0
	v_bfe_u32 v2, v51, 16, 1
	v_cmp_o_f32_e32 vcc_lo, v51, v51
	v_mov_b32_e32 v3, 0x7fc0
	v_lshlrev_b64 v[0:1], 1, v[0:1]
	v_add3_u32 v2, v51, v2, 0x7fff
	v_cndmask_b32_sdwa v2, v3, v2, vcc_lo dst_sel:DWORD dst_unused:UNUSED_PAD src0_sel:DWORD src1_sel:WORD_1
	s_waitcnt lgkmcnt(0)
	v_add_co_u32 v0, vcc_lo, s12, v0
	v_add_co_ci_u32_e64 v1, null, s13, v1, vcc_lo
	global_store_short v[0:1], v2, off
.LBB163_65:
	s_endpgm
.LBB163_66:
	v_add_nc_u32_e32 v6, v5, v0
	v_mov_b32_e32 v7, 0
	v_bfe_u32 v8, v84, 16, 1
	v_cmp_o_f32_e32 vcc_lo, v84, v84
	v_mov_b32_e32 v9, 0x7fc0
	v_lshlrev_b64 v[6:7], 1, v[6:7]
	v_add3_u32 v8, v84, v8, 0x7fff
	v_cndmask_b32_sdwa v8, v9, v8, vcc_lo dst_sel:DWORD dst_unused:UNUSED_PAD src0_sel:DWORD src1_sel:WORD_1
	s_waitcnt lgkmcnt(0)
	v_add_co_u32 v6, vcc_lo, s12, v6
	v_add_co_ci_u32_e64 v7, null, s13, v7, vcc_lo
	global_store_short v[6:7], v8, off
	s_or_b32 exec_lo, exec_lo, s4
	s_and_saveexec_b32 s4, s1
	s_cbranch_execz .LBB163_26
.LBB163_67:
	v_add_nc_u32_e32 v6, v5, v2
	v_mov_b32_e32 v7, 0
	v_bfe_u32 v8, v80, 16, 1
	v_cmp_o_f32_e32 vcc_lo, v80, v80
	v_mov_b32_e32 v9, 0x7fc0
	v_lshlrev_b64 v[6:7], 1, v[6:7]
	v_add3_u32 v8, v80, v8, 0x7fff
	v_cndmask_b32_sdwa v8, v9, v8, vcc_lo dst_sel:DWORD dst_unused:UNUSED_PAD src0_sel:DWORD src1_sel:WORD_1
	s_waitcnt lgkmcnt(0)
	v_add_co_u32 v6, vcc_lo, s12, v6
	v_add_co_ci_u32_e64 v7, null, s13, v7, vcc_lo
	global_store_short v[6:7], v8, off
	s_or_b32 exec_lo, exec_lo, s4
	s_and_saveexec_b32 s4, s2
	s_cbranch_execz .LBB163_27
.LBB163_68:
	v_add_nc_u32_e32 v6, v5, v3
	v_mov_b32_e32 v7, 0
	v_bfe_u32 v8, v79, 16, 1
	v_cmp_o_f32_e32 vcc_lo, v79, v79
	v_mov_b32_e32 v9, 0x7fc0
	v_lshlrev_b64 v[6:7], 1, v[6:7]
	v_add3_u32 v8, v79, v8, 0x7fff
	v_cndmask_b32_sdwa v8, v9, v8, vcc_lo dst_sel:DWORD dst_unused:UNUSED_PAD src0_sel:DWORD src1_sel:WORD_1
	s_waitcnt lgkmcnt(0)
	v_add_co_u32 v6, vcc_lo, s12, v6
	v_add_co_ci_u32_e64 v7, null, s13, v7, vcc_lo
	global_store_short v[6:7], v8, off
	s_or_b32 exec_lo, exec_lo, s4
	s_and_saveexec_b32 s4, s3
	s_cbranch_execnz .LBB163_28
	s_branch .LBB163_29
.LBB163_69:
	v_add_nc_u32_e32 v6, v5, v0
	v_mov_b32_e32 v7, 0
	v_bfe_u32 v8, v76, 16, 1
	v_cmp_o_f32_e32 vcc_lo, v76, v76
	v_mov_b32_e32 v9, 0x7fc0
	v_lshlrev_b64 v[6:7], 1, v[6:7]
	v_add3_u32 v8, v76, v8, 0x7fff
	v_cndmask_b32_sdwa v8, v9, v8, vcc_lo dst_sel:DWORD dst_unused:UNUSED_PAD src0_sel:DWORD src1_sel:WORD_1
	s_waitcnt lgkmcnt(0)
	v_add_co_u32 v6, vcc_lo, s12, v6
	v_add_co_ci_u32_e64 v7, null, s13, v7, vcc_lo
	global_store_short v[6:7], v8, off
	s_or_b32 exec_lo, exec_lo, s4
	s_and_saveexec_b32 s4, s1
	s_cbranch_execz .LBB163_32
.LBB163_70:
	v_add_nc_u32_e32 v6, v5, v2
	v_mov_b32_e32 v7, 0
	v_bfe_u32 v8, v75, 16, 1
	v_cmp_o_f32_e32 vcc_lo, v75, v75
	v_mov_b32_e32 v9, 0x7fc0
	v_lshlrev_b64 v[6:7], 1, v[6:7]
	v_add3_u32 v8, v75, v8, 0x7fff
	v_cndmask_b32_sdwa v8, v9, v8, vcc_lo dst_sel:DWORD dst_unused:UNUSED_PAD src0_sel:DWORD src1_sel:WORD_1
	s_waitcnt lgkmcnt(0)
	v_add_co_u32 v6, vcc_lo, s12, v6
	v_add_co_ci_u32_e64 v7, null, s13, v7, vcc_lo
	global_store_short v[6:7], v8, off
	s_or_b32 exec_lo, exec_lo, s4
	s_and_saveexec_b32 s4, s2
	s_cbranch_execz .LBB163_33
.LBB163_71:
	v_add_nc_u32_e32 v6, v5, v3
	v_mov_b32_e32 v7, 0
	v_bfe_u32 v8, v73, 16, 1
	v_cmp_o_f32_e32 vcc_lo, v73, v73
	v_mov_b32_e32 v9, 0x7fc0
	v_lshlrev_b64 v[6:7], 1, v[6:7]
	v_add3_u32 v8, v73, v8, 0x7fff
	v_cndmask_b32_sdwa v8, v9, v8, vcc_lo dst_sel:DWORD dst_unused:UNUSED_PAD src0_sel:DWORD src1_sel:WORD_1
	s_waitcnt lgkmcnt(0)
	v_add_co_u32 v6, vcc_lo, s12, v6
	v_add_co_ci_u32_e64 v7, null, s13, v7, vcc_lo
	global_store_short v[6:7], v8, off
	s_or_b32 exec_lo, exec_lo, s4
	s_and_saveexec_b32 s4, s3
	s_cbranch_execnz .LBB163_34
	s_branch .LBB163_35
.LBB163_72:
	v_add_nc_u32_e32 v6, v5, v0
	v_mov_b32_e32 v7, 0
	v_bfe_u32 v8, v70, 16, 1
	v_cmp_o_f32_e32 vcc_lo, v70, v70
	v_mov_b32_e32 v9, 0x7fc0
	v_lshlrev_b64 v[6:7], 1, v[6:7]
	v_add3_u32 v8, v70, v8, 0x7fff
	v_cndmask_b32_sdwa v8, v9, v8, vcc_lo dst_sel:DWORD dst_unused:UNUSED_PAD src0_sel:DWORD src1_sel:WORD_1
	s_waitcnt lgkmcnt(0)
	v_add_co_u32 v6, vcc_lo, s12, v6
	v_add_co_ci_u32_e64 v7, null, s13, v7, vcc_lo
	global_store_short v[6:7], v8, off
	s_or_b32 exec_lo, exec_lo, s4
	s_and_saveexec_b32 s4, s1
	s_cbranch_execz .LBB163_38
.LBB163_73:
	v_add_nc_u32_e32 v6, v5, v2
	v_mov_b32_e32 v7, 0
	v_bfe_u32 v8, v69, 16, 1
	v_cmp_o_f32_e32 vcc_lo, v69, v69
	v_mov_b32_e32 v9, 0x7fc0
	v_lshlrev_b64 v[6:7], 1, v[6:7]
	v_add3_u32 v8, v69, v8, 0x7fff
	v_cndmask_b32_sdwa v8, v9, v8, vcc_lo dst_sel:DWORD dst_unused:UNUSED_PAD src0_sel:DWORD src1_sel:WORD_1
	s_waitcnt lgkmcnt(0)
	v_add_co_u32 v6, vcc_lo, s12, v6
	v_add_co_ci_u32_e64 v7, null, s13, v7, vcc_lo
	global_store_short v[6:7], v8, off
	s_or_b32 exec_lo, exec_lo, s4
	s_and_saveexec_b32 s4, s2
	s_cbranch_execz .LBB163_39
.LBB163_74:
	v_add_nc_u32_e32 v6, v5, v3
	v_mov_b32_e32 v7, 0
	v_bfe_u32 v8, v68, 16, 1
	v_cmp_o_f32_e32 vcc_lo, v68, v68
	v_mov_b32_e32 v9, 0x7fc0
	v_lshlrev_b64 v[6:7], 1, v[6:7]
	v_add3_u32 v8, v68, v8, 0x7fff
	v_cndmask_b32_sdwa v8, v9, v8, vcc_lo dst_sel:DWORD dst_unused:UNUSED_PAD src0_sel:DWORD src1_sel:WORD_1
	s_waitcnt lgkmcnt(0)
	v_add_co_u32 v6, vcc_lo, s12, v6
	v_add_co_ci_u32_e64 v7, null, s13, v7, vcc_lo
	global_store_short v[6:7], v8, off
	s_or_b32 exec_lo, exec_lo, s4
	s_and_saveexec_b32 s4, s3
	s_cbranch_execnz .LBB163_40
	s_branch .LBB163_41
.LBB163_75:
	v_add_nc_u32_e32 v6, v5, v0
	v_mov_b32_e32 v7, 0
	v_bfe_u32 v8, v66, 16, 1
	v_cmp_o_f32_e32 vcc_lo, v66, v66
	v_mov_b32_e32 v9, 0x7fc0
	v_lshlrev_b64 v[6:7], 1, v[6:7]
	v_add3_u32 v8, v66, v8, 0x7fff
	v_cndmask_b32_sdwa v8, v9, v8, vcc_lo dst_sel:DWORD dst_unused:UNUSED_PAD src0_sel:DWORD src1_sel:WORD_1
	s_waitcnt lgkmcnt(0)
	v_add_co_u32 v6, vcc_lo, s12, v6
	v_add_co_ci_u32_e64 v7, null, s13, v7, vcc_lo
	global_store_short v[6:7], v8, off
	s_or_b32 exec_lo, exec_lo, s4
	s_and_saveexec_b32 s4, s1
	s_cbranch_execz .LBB163_44
.LBB163_76:
	v_add_nc_u32_e32 v6, v5, v2
	v_mov_b32_e32 v7, 0
	v_bfe_u32 v8, v65, 16, 1
	v_cmp_o_f32_e32 vcc_lo, v65, v65
	v_mov_b32_e32 v9, 0x7fc0
	v_lshlrev_b64 v[6:7], 1, v[6:7]
	v_add3_u32 v8, v65, v8, 0x7fff
	v_cndmask_b32_sdwa v8, v9, v8, vcc_lo dst_sel:DWORD dst_unused:UNUSED_PAD src0_sel:DWORD src1_sel:WORD_1
	s_waitcnt lgkmcnt(0)
	v_add_co_u32 v6, vcc_lo, s12, v6
	v_add_co_ci_u32_e64 v7, null, s13, v7, vcc_lo
	global_store_short v[6:7], v8, off
	s_or_b32 exec_lo, exec_lo, s4
	s_and_saveexec_b32 s4, s2
	s_cbranch_execz .LBB163_45
.LBB163_77:
	v_add_nc_u32_e32 v6, v5, v3
	v_mov_b32_e32 v7, 0
	v_bfe_u32 v8, v64, 16, 1
	v_cmp_o_f32_e32 vcc_lo, v64, v64
	v_mov_b32_e32 v9, 0x7fc0
	v_lshlrev_b64 v[6:7], 1, v[6:7]
	v_add3_u32 v8, v64, v8, 0x7fff
	v_cndmask_b32_sdwa v8, v9, v8, vcc_lo dst_sel:DWORD dst_unused:UNUSED_PAD src0_sel:DWORD src1_sel:WORD_1
	s_waitcnt lgkmcnt(0)
	v_add_co_u32 v6, vcc_lo, s12, v6
	v_add_co_ci_u32_e64 v7, null, s13, v7, vcc_lo
	global_store_short v[6:7], v8, off
	s_or_b32 exec_lo, exec_lo, s4
	s_and_saveexec_b32 s4, s3
	s_cbranch_execnz .LBB163_46
	s_branch .LBB163_47
.LBB163_78:
	v_add_nc_u32_e32 v6, v5, v0
	v_mov_b32_e32 v7, 0
	v_bfe_u32 v8, v62, 16, 1
	v_cmp_o_f32_e32 vcc_lo, v62, v62
	v_mov_b32_e32 v9, 0x7fc0
	v_lshlrev_b64 v[6:7], 1, v[6:7]
	v_add3_u32 v8, v62, v8, 0x7fff
	v_cndmask_b32_sdwa v8, v9, v8, vcc_lo dst_sel:DWORD dst_unused:UNUSED_PAD src0_sel:DWORD src1_sel:WORD_1
	s_waitcnt lgkmcnt(0)
	v_add_co_u32 v6, vcc_lo, s12, v6
	v_add_co_ci_u32_e64 v7, null, s13, v7, vcc_lo
	global_store_short v[6:7], v8, off
	s_or_b32 exec_lo, exec_lo, s4
	s_and_saveexec_b32 s4, s1
	s_cbranch_execz .LBB163_50
.LBB163_79:
	v_add_nc_u32_e32 v6, v5, v2
	v_mov_b32_e32 v7, 0
	v_bfe_u32 v8, v61, 16, 1
	v_cmp_o_f32_e32 vcc_lo, v61, v61
	v_mov_b32_e32 v9, 0x7fc0
	v_lshlrev_b64 v[6:7], 1, v[6:7]
	v_add3_u32 v8, v61, v8, 0x7fff
	v_cndmask_b32_sdwa v8, v9, v8, vcc_lo dst_sel:DWORD dst_unused:UNUSED_PAD src0_sel:DWORD src1_sel:WORD_1
	s_waitcnt lgkmcnt(0)
	v_add_co_u32 v6, vcc_lo, s12, v6
	v_add_co_ci_u32_e64 v7, null, s13, v7, vcc_lo
	global_store_short v[6:7], v8, off
	s_or_b32 exec_lo, exec_lo, s4
	s_and_saveexec_b32 s4, s2
	s_cbranch_execz .LBB163_51
.LBB163_80:
	v_add_nc_u32_e32 v6, v5, v3
	v_mov_b32_e32 v7, 0
	v_bfe_u32 v8, v60, 16, 1
	v_cmp_o_f32_e32 vcc_lo, v60, v60
	v_mov_b32_e32 v9, 0x7fc0
	v_lshlrev_b64 v[6:7], 1, v[6:7]
	v_add3_u32 v8, v60, v8, 0x7fff
	v_cndmask_b32_sdwa v8, v9, v8, vcc_lo dst_sel:DWORD dst_unused:UNUSED_PAD src0_sel:DWORD src1_sel:WORD_1
	s_waitcnt lgkmcnt(0)
	v_add_co_u32 v6, vcc_lo, s12, v6
	v_add_co_ci_u32_e64 v7, null, s13, v7, vcc_lo
	global_store_short v[6:7], v8, off
	s_or_b32 exec_lo, exec_lo, s4
	s_and_saveexec_b32 s4, s3
	s_cbranch_execnz .LBB163_52
	s_branch .LBB163_53
.LBB163_81:
	v_add_nc_u32_e32 v6, v5, v0
	v_mov_b32_e32 v7, 0
	v_bfe_u32 v8, v58, 16, 1
	v_cmp_o_f32_e32 vcc_lo, v58, v58
	v_mov_b32_e32 v9, 0x7fc0
	v_lshlrev_b64 v[6:7], 1, v[6:7]
	v_add3_u32 v8, v58, v8, 0x7fff
	v_cndmask_b32_sdwa v8, v9, v8, vcc_lo dst_sel:DWORD dst_unused:UNUSED_PAD src0_sel:DWORD src1_sel:WORD_1
	s_waitcnt lgkmcnt(0)
	v_add_co_u32 v6, vcc_lo, s12, v6
	v_add_co_ci_u32_e64 v7, null, s13, v7, vcc_lo
	global_store_short v[6:7], v8, off
	s_or_b32 exec_lo, exec_lo, s4
	s_and_saveexec_b32 s4, s1
	s_cbranch_execz .LBB163_56
.LBB163_82:
	v_add_nc_u32_e32 v6, v5, v2
	v_mov_b32_e32 v7, 0
	v_bfe_u32 v8, v57, 16, 1
	v_cmp_o_f32_e32 vcc_lo, v57, v57
	v_mov_b32_e32 v9, 0x7fc0
	v_lshlrev_b64 v[6:7], 1, v[6:7]
	v_add3_u32 v8, v57, v8, 0x7fff
	v_cndmask_b32_sdwa v8, v9, v8, vcc_lo dst_sel:DWORD dst_unused:UNUSED_PAD src0_sel:DWORD src1_sel:WORD_1
	s_waitcnt lgkmcnt(0)
	v_add_co_u32 v6, vcc_lo, s12, v6
	v_add_co_ci_u32_e64 v7, null, s13, v7, vcc_lo
	global_store_short v[6:7], v8, off
	s_or_b32 exec_lo, exec_lo, s4
	s_and_saveexec_b32 s4, s2
	s_cbranch_execz .LBB163_57
.LBB163_83:
	v_add_nc_u32_e32 v6, v5, v3
	v_mov_b32_e32 v7, 0
	v_bfe_u32 v8, v56, 16, 1
	v_cmp_o_f32_e32 vcc_lo, v56, v56
	v_mov_b32_e32 v9, 0x7fc0
	v_lshlrev_b64 v[6:7], 1, v[6:7]
	v_add3_u32 v8, v56, v8, 0x7fff
	v_cndmask_b32_sdwa v8, v9, v8, vcc_lo dst_sel:DWORD dst_unused:UNUSED_PAD src0_sel:DWORD src1_sel:WORD_1
	s_waitcnt lgkmcnt(0)
	v_add_co_u32 v6, vcc_lo, s12, v6
	v_add_co_ci_u32_e64 v7, null, s13, v7, vcc_lo
	global_store_short v[6:7], v8, off
	s_or_b32 exec_lo, exec_lo, s4
	s_and_saveexec_b32 s4, s3
	s_cbranch_execnz .LBB163_58
	s_branch .LBB163_59
.LBB163_84:
	v_add_nc_u32_e32 v5, v1, v0
	v_mov_b32_e32 v6, 0
	v_bfe_u32 v7, v54, 16, 1
	v_cmp_o_f32_e32 vcc_lo, v54, v54
	v_mov_b32_e32 v0, 0x7fc0
	v_lshlrev_b64 v[5:6], 1, v[5:6]
	v_add3_u32 v7, v54, v7, 0x7fff
	v_cndmask_b32_sdwa v0, v0, v7, vcc_lo dst_sel:DWORD dst_unused:UNUSED_PAD src0_sel:DWORD src1_sel:WORD_1
	s_waitcnt lgkmcnt(0)
	v_add_co_u32 v5, vcc_lo, s12, v5
	v_add_co_ci_u32_e64 v6, null, s13, v6, vcc_lo
	global_store_short v[5:6], v0, off
	s_or_b32 exec_lo, exec_lo, s4
	s_and_saveexec_b32 s0, s1
	s_cbranch_execz .LBB163_62
.LBB163_85:
	v_add_nc_u32_e32 v5, v1, v2
	v_mov_b32_e32 v6, 0
	v_bfe_u32 v0, v53, 16, 1
	v_cmp_o_f32_e32 vcc_lo, v53, v53
	v_mov_b32_e32 v2, 0x7fc0
	v_lshlrev_b64 v[5:6], 1, v[5:6]
	v_add3_u32 v0, v53, v0, 0x7fff
	v_cndmask_b32_sdwa v0, v2, v0, vcc_lo dst_sel:DWORD dst_unused:UNUSED_PAD src0_sel:DWORD src1_sel:WORD_1
	s_waitcnt lgkmcnt(0)
	v_add_co_u32 v5, vcc_lo, s12, v5
	v_add_co_ci_u32_e64 v6, null, s13, v6, vcc_lo
	global_store_short v[5:6], v0, off
	s_or_b32 exec_lo, exec_lo, s0
	s_and_saveexec_b32 s0, s2
	s_cbranch_execz .LBB163_63
.LBB163_86:
	v_add_nc_u32_e32 v2, v1, v3
	v_mov_b32_e32 v3, 0
	v_bfe_u32 v0, v52, 16, 1
	v_cmp_o_f32_e32 vcc_lo, v52, v52
	v_mov_b32_e32 v5, 0x7fc0
	v_lshlrev_b64 v[2:3], 1, v[2:3]
	v_add3_u32 v0, v52, v0, 0x7fff
	v_cndmask_b32_sdwa v0, v5, v0, vcc_lo dst_sel:DWORD dst_unused:UNUSED_PAD src0_sel:DWORD src1_sel:WORD_1
	s_waitcnt lgkmcnt(0)
	v_add_co_u32 v2, vcc_lo, s12, v2
	v_add_co_ci_u32_e64 v3, null, s13, v3, vcc_lo
	global_store_short v[2:3], v0, off
	s_or_b32 exec_lo, exec_lo, s0
	s_and_b32 exec_lo, exec_lo, s3
	s_cbranch_execnz .LBB163_64
	s_branch .LBB163_65
	.section	.rodata,"a",@progbits
	.p2align	6, 0x0
	.amdhsa_kernel _ZL12mul_mat_q5_1IN3c108BFloat16ELb0EEvPKvS3_PT_iiiii
		.amdhsa_group_segment_fixed_size 46720
		.amdhsa_private_segment_fixed_size 0
		.amdhsa_kernarg_size 44
		.amdhsa_user_sgpr_count 6
		.amdhsa_user_sgpr_private_segment_buffer 1
		.amdhsa_user_sgpr_dispatch_ptr 0
		.amdhsa_user_sgpr_queue_ptr 0
		.amdhsa_user_sgpr_kernarg_segment_ptr 1
		.amdhsa_user_sgpr_dispatch_id 0
		.amdhsa_user_sgpr_flat_scratch_init 0
		.amdhsa_user_sgpr_private_segment_size 0
		.amdhsa_wavefront_size32 1
		.amdhsa_uses_dynamic_stack 0
		.amdhsa_system_sgpr_private_segment_wavefront_offset 0
		.amdhsa_system_sgpr_workgroup_id_x 1
		.amdhsa_system_sgpr_workgroup_id_y 1
		.amdhsa_system_sgpr_workgroup_id_z 0
		.amdhsa_system_sgpr_workgroup_info 0
		.amdhsa_system_vgpr_workitem_id 1
		.amdhsa_next_free_vgpr 222
		.amdhsa_next_free_sgpr 15
		.amdhsa_reserve_vcc 1
		.amdhsa_reserve_flat_scratch 0
		.amdhsa_float_round_mode_32 0
		.amdhsa_float_round_mode_16_64 0
		.amdhsa_float_denorm_mode_32 3
		.amdhsa_float_denorm_mode_16_64 3
		.amdhsa_dx10_clamp 1
		.amdhsa_ieee_mode 1
		.amdhsa_fp16_overflow 0
		.amdhsa_workgroup_processor_mode 1
		.amdhsa_memory_ordered 1
		.amdhsa_forward_progress 1
		.amdhsa_shared_vgpr_count 0
		.amdhsa_exception_fp_ieee_invalid_op 0
		.amdhsa_exception_fp_denorm_src 0
		.amdhsa_exception_fp_ieee_div_zero 0
		.amdhsa_exception_fp_ieee_overflow 0
		.amdhsa_exception_fp_ieee_underflow 0
		.amdhsa_exception_fp_ieee_inexact 0
		.amdhsa_exception_int_div_zero 0
	.end_amdhsa_kernel
	.section	.text._ZL12mul_mat_q5_1IN3c108BFloat16ELb0EEvPKvS3_PT_iiiii,"axG",@progbits,_ZL12mul_mat_q5_1IN3c108BFloat16ELb0EEvPKvS3_PT_iiiii,comdat
.Lfunc_end163:
	.size	_ZL12mul_mat_q5_1IN3c108BFloat16ELb0EEvPKvS3_PT_iiiii, .Lfunc_end163-_ZL12mul_mat_q5_1IN3c108BFloat16ELb0EEvPKvS3_PT_iiiii
                                        ; -- End function
	.set _ZL12mul_mat_q5_1IN3c108BFloat16ELb0EEvPKvS3_PT_iiiii.num_vgpr, 222
	.set _ZL12mul_mat_q5_1IN3c108BFloat16ELb0EEvPKvS3_PT_iiiii.num_agpr, 0
	.set _ZL12mul_mat_q5_1IN3c108BFloat16ELb0EEvPKvS3_PT_iiiii.numbered_sgpr, 15
	.set _ZL12mul_mat_q5_1IN3c108BFloat16ELb0EEvPKvS3_PT_iiiii.num_named_barrier, 0
	.set _ZL12mul_mat_q5_1IN3c108BFloat16ELb0EEvPKvS3_PT_iiiii.private_seg_size, 0
	.set _ZL12mul_mat_q5_1IN3c108BFloat16ELb0EEvPKvS3_PT_iiiii.uses_vcc, 1
	.set _ZL12mul_mat_q5_1IN3c108BFloat16ELb0EEvPKvS3_PT_iiiii.uses_flat_scratch, 0
	.set _ZL12mul_mat_q5_1IN3c108BFloat16ELb0EEvPKvS3_PT_iiiii.has_dyn_sized_stack, 0
	.set _ZL12mul_mat_q5_1IN3c108BFloat16ELb0EEvPKvS3_PT_iiiii.has_recursion, 0
	.set _ZL12mul_mat_q5_1IN3c108BFloat16ELb0EEvPKvS3_PT_iiiii.has_indirect_call, 0
	.section	.AMDGPU.csdata,"",@progbits
; Kernel info:
; codeLenInByte = 14064
; TotalNumSgprs: 17
; NumVgprs: 222
; ScratchSize: 0
; MemoryBound: 0
; FloatMode: 240
; IeeeMode: 1
; LDSByteSize: 46720 bytes/workgroup (compile time only)
; SGPRBlocks: 0
; VGPRBlocks: 27
; NumSGPRsForWavesPerEU: 17
; NumVGPRsForWavesPerEU: 222
; Occupancy: 4
; WaveLimiterHint : 0
; COMPUTE_PGM_RSRC2:SCRATCH_EN: 0
; COMPUTE_PGM_RSRC2:USER_SGPR: 6
; COMPUTE_PGM_RSRC2:TRAP_HANDLER: 0
; COMPUTE_PGM_RSRC2:TGID_X_EN: 1
; COMPUTE_PGM_RSRC2:TGID_Y_EN: 1
; COMPUTE_PGM_RSRC2:TGID_Z_EN: 0
; COMPUTE_PGM_RSRC2:TIDIG_COMP_CNT: 1
	.section	.text._ZL12mul_mat_q5_1IN3c108BFloat16ELb1EEvPKvS3_PT_iiiii,"axG",@progbits,_ZL12mul_mat_q5_1IN3c108BFloat16ELb1EEvPKvS3_PT_iiiii,comdat
	.globl	_ZL12mul_mat_q5_1IN3c108BFloat16ELb1EEvPKvS3_PT_iiiii ; -- Begin function _ZL12mul_mat_q5_1IN3c108BFloat16ELb1EEvPKvS3_PT_iiiii
	.p2align	8
	.type	_ZL12mul_mat_q5_1IN3c108BFloat16ELb1EEvPKvS3_PT_iiiii,@function
_ZL12mul_mat_q5_1IN3c108BFloat16ELb1EEvPKvS3_PT_iiiii: ; @_ZL12mul_mat_q5_1IN3c108BFloat16ELb1EEvPKvS3_PT_iiiii
; %bb.0:
	s_clause 0x1
	s_load_dwordx4 s[8:11], s[4:5], 0x18
	s_load_dword s14, s[4:5], 0x28
	s_lshl_b32 s7, s7, 6
	v_add_nc_u32_e32 v86, s7, v1
	s_waitcnt lgkmcnt(0)
	s_cmp_gt_i32 s8, 31
	s_cbranch_scc1 .LBB164_2
; %bb.1:
	v_add_nc_u32_e32 v2, s7, v1
	s_mov_b32 s0, 0
	s_branch .LBB164_3
.LBB164_2:
	s_mov_b32 s0, -1
                                        ; implicit-def: $vgpr2
.LBB164_3:
	s_load_dwordx2 s[12:13], s[4:5], 0x10
	v_mov_b32_e32 v67, 0
	v_mov_b32_e32 v71, 0
	;; [unrolled: 1-line block ×32, first 2 shown]
	s_andn2_b32 vcc_lo, exec_lo, s0
	s_lshl_b32 s6, s6, 7
	s_cbranch_vccnz .LBB164_14
; %bb.4:
	s_load_dwordx4 s[0:3], s[4:5], 0x0
	s_ashr_i32 s4, s8, 31
	s_ashr_i32 s5, s11, 31
	s_lshr_b32 s4, s4, 27
	s_lshr_b32 s5, s5, 27
	s_add_i32 s4, s8, s4
	s_add_i32 s5, s11, s5
	s_ashr_i32 s4, s4, 5
	s_ashr_i32 s11, s5, 5
	s_mul_i32 s8, s4, s6
	v_add_nc_u32_e32 v17, 8, v1
	s_mul_i32 s5, s8, 24
	s_mul_hi_i32 s8, s8, 24
	v_lshlrev_b32_e32 v3, 3, v0
	v_add_nc_u32_e32 v38, 16, v1
	v_add_nc_u32_e32 v39, 24, v1
	;; [unrolled: 1-line block ×6, first 2 shown]
	s_waitcnt lgkmcnt(0)
	s_add_u32 s5, s0, s5
	s_addc_u32 s8, s1, s8
	s_not_b32 s0, s6
	v_lshrrev_b32_e32 v109, 3, v0
	s_add_i32 s0, s9, s0
	v_and_b32_e32 v116, 7, v0
	v_min_i32_e32 v4, s0, v1
	v_min_i32_e32 v5, s0, v17
	;; [unrolled: 1-line block ×3, first 2 shown]
	v_lshl_add_u32 v44, v1, 2, v109
	v_lshlrev_b32_e32 v47, 2, v116
	v_mad_u64_u32 v[18:19], null, 0x104, v4, v[3:4]
	v_mul_lo_u32 v95, v4, s4
	v_mad_u64_u32 v[19:20], null, 0x104, v5, v[3:4]
	v_min_i32_e32 v4, s0, v39
	v_mul_lo_u32 v96, v5, s4
	v_min_i32_e32 v5, s0, v40
	v_mul_lo_u32 v97, v6, s4
	v_min_i32_e32 v45, s0, v44
	v_mad_u64_u32 v[20:21], null, 0x104, v6, v[3:4]
	v_mul_lo_u32 v99, v4, s4
	v_mad_u64_u32 v[21:22], null, 0x104, v4, v[3:4]
	v_min_i32_e32 v4, s0, v41
	v_mul_lo_u32 v100, v5, s4
	v_add_nc_u32_e32 v6, 64, v1
	v_ashrrev_i32_e32 v7, 31, v45
	v_add_nc_u32_e32 v9, 16, v86
	v_mad_u64_u32 v[22:23], null, 0x104, v5, v[3:4]
	v_mul_lo_u32 v101, v4, s4
	v_min_i32_e32 v5, s0, v42
	v_mad_u64_u32 v[23:24], null, 0x104, v4, v[3:4]
	v_min_i32_e32 v4, s0, v43
	v_add_nc_u32_e32 v11, 24, v86
	v_mul_lo_u32 v102, v5, s4
	v_add_nc_u32_e32 v13, 32, v86
	v_add_nc_u32_e32 v15, 40, v86
	v_mad_u64_u32 v[24:25], null, 0x104, v5, v[3:4]
	v_mul_lo_u32 v103, v4, s4
	v_min_i32_e32 v5, s0, v6
	v_add_nc_u32_e32 v6, 0x48, v1
	v_mad_u64_u32 v[25:26], null, 0x104, v4, v[3:4]
	v_add_nc_u32_e32 v4, 0x50, v1
	v_mul_lo_u32 v105, v5, s4
	v_min_i32_e32 v6, s0, v6
	v_add_nc_u32_e32 v35, 48, v86
	s_add_i32 s1, s10, -1
	v_mad_u64_u32 v[26:27], null, 0x104, v5, v[3:4]
	v_min_i32_e32 v4, s0, v4
	v_add_nc_u32_e32 v5, 0x58, v1
	v_mul_lo_u32 v106, v6, s4
	v_add_nc_u32_e32 v36, 64, v44
	v_add_nc_u32_e32 v37, 56, v86
	v_mad_u64_u32 v[27:28], null, 0x104, v6, v[3:4]
	v_add_nc_u32_e32 v6, 0x60, v1
	v_mul_lo_u32 v107, v4, s4
	v_min_i32_e32 v5, s0, v5
	v_mad_u64_u32 v[28:29], null, 0x104, v4, v[3:4]
	v_min_i32_e32 v4, s0, v6
	v_add_nc_u32_e32 v6, 0x68, v1
	v_mul_lo_u32 v110, v5, s4
	v_cvt_f64_u32_e32 v[9:10], v9
	v_cvt_f64_u32_e32 v[11:12], v11
	v_mad_u64_u32 v[29:30], null, 0x104, v5, v[3:4]
	v_min_i32_e32 v5, s0, v6
	v_add_nc_u32_e32 v6, 0x70, v1
	v_mul_lo_u32 v111, v4, s4
	v_mad_u64_u32 v[30:31], null, 0x104, v4, v[3:4]
	v_mul_lo_u32 v112, v5, s4
	v_min_i32_e32 v4, s0, v6
	v_add_nc_u32_e32 v6, 0x78, v1
	v_cvt_f64_u32_e32 v[13:14], v13
	v_cvt_f64_u32_e32 v[15:16], v15
	v_min_i32_e32 v50, s0, v36
	v_mad_u64_u32 v[31:32], null, 0x104, v5, v[3:4]
	v_min_i32_e32 v5, s0, v6
	v_lshrrev_b32_e32 v6, 30, v7
	v_mul_lo_u32 v114, v4, s4
	v_mad_u64_u32 v[32:33], null, 0x104, v4, v[3:4]
	v_add_nc_u32_e32 v7, 32, v44
	v_add_nc_u32_e32 v4, v45, v6
	v_mul_lo_u32 v115, v5, s4
	v_cvt_f64_u32_e32 v[36:37], v37
	v_ashrrev_i32_e32 v51, 31, v50
	v_min_i32_e32 v46, s0, v7
	v_mad_u64_u32 v[33:34], null, 0x104, v5, v[3:4]
	v_and_b32_e32 v34, -4, v4
	v_add_nc_u32_e32 v7, 8, v86
	v_cvt_f64_i32_e32 v[3:4], s1
	v_cvt_f64_u32_e32 v[5:6], v86
	v_lshrrev_b32_e32 v51, 30, v51
	v_add3_u32 v49, v34, v47, 0xa200
	v_cvt_f64_u32_e32 v[7:8], v7
	v_cvt_f64_u32_e32 v[34:35], v35
	v_ashrrev_i32_e32 v48, 31, v46
	v_add_nc_u32_e32 v51, v50, v51
	v_add_nc_u32_e32 v44, 0x60, v44
	v_lshrrev_b32_e32 v92, 2, v0
	v_mul_lo_u32 v121, v46, s4
	v_lshrrev_b32_e32 v48, 30, v48
	v_and_b32_e32 v51, -4, v51
	v_min_i32_e32 v44, s0, v44
	v_and_b32_e32 v2, 3, v0
	v_mul_lo_u32 v117, v45, s4
	v_add_nc_u32_e32 v48, v46, v48
	v_lshlrev_b32_e32 v45, 5, v45
	v_ashrrev_i32_e32 v52, 31, v44
	v_lshlrev_b32_e32 v94, 2, v2
	v_mul_lo_u32 v122, v50, s4
	v_and_b32_e32 v48, -4, v48
	v_min_f64 v[9:10], v[9:10], v[3:4]
	v_min_f64 v[5:6], v[5:6], v[3:4]
	;; [unrolled: 1-line block ×8, first 2 shown]
	v_lshlrev_b32_e32 v37, 5, v46
	v_add3_u32 v46, v51, v47, 0xa200
	v_lshl_add_u32 v51, v1, 3, v92
	v_lshrrev_b32_e32 v52, 30, v52
	v_add3_u32 v48, v48, v47, 0xa200
	v_lshlrev_b32_e32 v50, 5, v50
	v_mul_lo_u32 v123, v44, s4
	v_mov_b32_e32 v88, 0
	v_add_nc_u32_e32 v36, v44, v52
	v_mul_u32_u24_e32 v133, 0x104, v0
	v_lshl_add_u32 v139, v1, 4, 0xb280
	v_add_nc_u32_e32 v146, v49, v45
	v_add_nc_u32_e32 v147, v48, v37
	v_and_b32_e32 v36, -4, v36
	v_add_nc_u32_e32 v148, v46, v50
	v_cvt_i32_f64_e32 v5, v[5:6]
	v_mov_b32_e32 v113, 0
	v_mov_b32_e32 v93, 0
	v_cvt_i32_f64_e32 v6, v[7:8]
	v_cvt_i32_f64_e32 v8, v[9:10]
	;; [unrolled: 1-line block ×7, first 2 shown]
	v_and_b32_e32 v7, 63, v51
	v_lshlrev_b32_e32 v15, 2, v0
	v_and_b32_e32 v34, 31, v0
	v_add3_u32 v9, v36, v47, 0xa200
	v_and_b32_e32 v36, 0xfc, v0
	v_or_b32_e32 v13, s7, v7
	v_lshl_or_b32 v7, v7, 4, v94
	v_lshlrev_b32_e32 v11, 5, v44
	v_mov_b32_e32 v87, 0
	v_mov_b32_e32 v82, 0
	v_min_i32_e32 v4, s1, v13
	v_and_b32_e32 v13, 28, v15
	v_lshl_or_b32 v15, v34, 2, 0x8200
	v_add_nc_u32_e32 v124, 0xb280, v7
	v_mul_lo_u32 v125, s11, v5
	v_mul_lo_u32 v126, s11, v6
	;; [unrolled: 1-line block ×3, first 2 shown]
	v_lshlrev_b32_e32 v5, 7, v38
	v_mul_lo_u32 v129, s11, v12
	v_mul_lo_u32 v130, s11, v14
	;; [unrolled: 1-line block ×3, first 2 shown]
	v_add_nc_u32_e32 v12, 0x60, v0
	v_add_nc_u32_e32 v14, 64, v0
	;; [unrolled: 1-line block ×3, first 2 shown]
	v_mad_u64_u32 v[34:35], null, v4, s11, v[2:3]
	v_lshlrev_b32_e32 v4, 7, v17
	v_lshlrev_b32_e32 v17, 5, v0
	v_and_b32_e32 v12, 0x1fc, v12
	v_and_b32_e32 v14, 0x1fc, v14
	;; [unrolled: 1-line block ×3, first 2 shown]
	v_lshlrev_b32_e32 v2, 7, v1
	v_mul_lo_u32 v128, s11, v10
	v_lshlrev_b32_e32 v6, 7, v39
	v_lshlrev_b32_e32 v7, 7, v40
	;; [unrolled: 1-line block ×4, first 2 shown]
	v_mul_lo_u32 v132, s11, v3
	v_lshlrev_b32_e32 v3, 7, v43
	v_lshrrev_b32_e32 v134, 3, v16
	v_add_nc_u32_e32 v12, v17, v12
	v_add_nc_u32_e32 v14, v17, v14
	;; [unrolled: 1-line block ×4, first 2 shown]
	v_add_co_u32 v35, s0, s2, v13
	v_add_co_ci_u32_e64 v36, null, s3, 0, s0
	s_movk_i32 s0, 0x80
	v_add_nc_u32_e32 v135, 0xae00, v12
	v_add_nc_u32_e32 v136, 0xaa00, v14
	;; [unrolled: 1-line block ×9, first 2 shown]
	v_mad_u32_u24 v145, 0x104, v0, s0
	v_add_nc_u32_e32 v149, v9, v11
	v_add_nc_u32_e32 v150, v15, v2
	;; [unrolled: 1-line block ×9, first 2 shown]
	v_mov_b32_e32 v78, 0
	v_mov_b32_e32 v74, 0
	;; [unrolled: 1-line block ×27, first 2 shown]
	s_add_i32 s9, s4, 3
	s_mov_b32 s11, 0
	s_branch .LBB164_6
.LBB164_5:                              ;   in Loop: Header=BB164_6 Depth=1
	s_add_i32 s11, s11, 8
	s_add_i32 s9, s9, -8
	s_cmp_ge_i32 s11, s4
	s_cbranch_scc1 .LBB164_13
.LBB164_6:                              ; =>This Loop Header: Depth=1
                                        ;     Child Loop BB164_8 Depth 2
                                        ;     Child Loop BB164_11 Depth 2
	s_mul_i32 s0, s11, 24
	s_mul_hi_u32 s1, s11, 24
	s_add_u32 s0, s5, s0
	s_addc_u32 s1, s8, s1
	s_cmp_gt_u32 s9, 3
	v_mad_u64_u32 v[2:3], null, v92, 24, s[0:1]
	v_mad_i64_i32 v[4:5], null, v95, 24, v[2:3]
	v_mad_i64_i32 v[6:7], null, v96, 24, v[2:3]
	;; [unrolled: 1-line block ×4, first 2 shown]
	v_add_co_u32 v12, vcc_lo, v4, v94
	v_add_co_ci_u32_e64 v13, null, 0, v5, vcc_lo
	v_add_co_u32 v14, vcc_lo, v6, v94
	v_add_co_ci_u32_e64 v15, null, 0, v7, vcc_lo
	;; [unrolled: 2-line block ×4, first 2 shown]
	v_mad_i64_i32 v[39:40], null, v100, 24, v[2:3]
	s_clause 0x7
	global_load_dword v47, v[12:13], off offset:8
	global_load_dword v48, v[14:15], off offset:8
	;; [unrolled: 1-line block ×8, first 2 shown]
	v_mad_i64_i32 v[4:5], null, v101, 24, v[2:3]
	v_mad_i64_i32 v[8:9], null, v102, 24, v[2:3]
	;; [unrolled: 1-line block ×3, first 2 shown]
	v_add_co_u32 v6, vcc_lo, v39, v94
	v_add_co_ci_u32_e64 v7, null, 0, v40, vcc_lo
	v_add_co_u32 v12, vcc_lo, v4, v94
	v_add_co_ci_u32_e64 v13, null, 0, v5, vcc_lo
	v_add_co_u32 v14, vcc_lo, v8, v94
	v_mad_i64_i32 v[37:38], null, v105, 24, v[2:3]
	v_add_co_ci_u32_e64 v15, null, 0, v9, vcc_lo
	v_add_co_u32 v16, vcc_lo, v10, v94
	v_add_co_ci_u32_e64 v17, null, 0, v11, vcc_lo
	v_mad_i64_i32 v[45:46], null, v110, 24, v[2:3]
	s_clause 0x7
	global_load_dword v55, v[10:11], off offset:4
	global_load_dword v56, v[8:9], off offset:4
	;; [unrolled: 1-line block ×8, first 2 shown]
	v_mad_i64_i32 v[43:44], null, v107, 24, v[2:3]
	v_mad_i64_i32 v[41:42], null, v106, 24, v[2:3]
	v_add_co_u32 v4, vcc_lo, v37, v94
	v_add_co_ci_u32_e64 v5, null, 0, v38, vcc_lo
	s_clause 0x4
	global_load_dword v17, v[45:46], off offset:4
	global_load_dword v60, v[43:44], off offset:4
	;; [unrolled: 1-line block ×5, first 2 shown]
	v_mad_i64_i32 v[8:9], null, v115, 24, v[2:3]
	v_add_co_u32 v4, vcc_lo, v41, v94
	v_add_co_ci_u32_e64 v5, null, 0, v42, vcc_lo
	v_mad_i64_i32 v[6:7], null, v112, 24, v[2:3]
	v_mad_u64_u32 v[10:11], null, v116, 24, s[0:1]
	global_load_dword v41, v[4:5], off offset:8
	v_add_co_u32 v4, vcc_lo, v43, v94
	v_add_co_ci_u32_e64 v5, null, 0, v44, vcc_lo
	v_mad_i64_i32 v[14:15], null, v122, 24, v[10:11]
	global_load_dword v42, v[4:5], off offset:8
	v_add_co_u32 v4, vcc_lo, v45, v94
	v_add_co_ci_u32_e64 v5, null, 0, v46, vcc_lo
	global_load_dword v43, v[4:5], off offset:8
	v_mad_i64_i32 v[4:5], null, v111, 24, v[2:3]
	v_mad_i64_i32 v[2:3], null, v114, 24, v[2:3]
	v_add_co_u32 v12, vcc_lo, v4, v94
	v_add_co_ci_u32_e64 v13, null, 0, v5, vcc_lo
	s_clause 0x4
	global_load_dword v44, v[8:9], off offset:4
	global_load_dword v45, v[2:3], off offset:4
	;; [unrolled: 1-line block ×5, first 2 shown]
	v_add_co_u32 v6, vcc_lo, v6, v94
	v_add_co_ci_u32_e64 v7, null, 0, v7, vcc_lo
	v_add_co_u32 v2, vcc_lo, v2, v94
	v_mad_i64_i32 v[4:5], null, v117, 24, v[10:11]
	v_add_co_ci_u32_e64 v3, null, 0, v3, vcc_lo
	v_add_co_u32 v8, vcc_lo, v8, v94
	v_mad_i64_i32 v[12:13], null, v121, 24, v[10:11]
	v_add_co_ci_u32_e64 v9, null, 0, v9, vcc_lo
	v_mad_i64_i32 v[10:11], null, v123, 24, v[10:11]
	s_clause 0x6
	global_load_dword v6, v[6:7], off offset:8
	global_load_dword v2, v[2:3], off offset:8
	;; [unrolled: 1-line block ×3, first 2 shown]
	global_load_dword v4, v[4:5], off
	global_load_dword v5, v[12:13], off
	;; [unrolled: 1-line block ×4, first 2 shown]
	s_waitcnt vmcnt(35)
	v_and_b32_e32 v10, 0xf0f0f0f, v47
	v_lshrrev_b32_e32 v11, 4, v47
	s_waitcnt vmcnt(34)
	v_and_b32_e32 v13, 0xf0f0f0f, v48
	v_lshrrev_b32_e32 v14, 4, v48
	s_waitcnt vmcnt(33)
	v_and_b32_e32 v47, 0xf0f0f0f, v49
	s_waitcnt vmcnt(30)
	v_ashrrev_i32_e32 v15, v94, v52
	s_waitcnt vmcnt(29)
	v_ashrrev_i32_e32 v12, v94, v53
	;; [unrolled: 2-line block ×3, first 2 shown]
	v_lshrrev_b32_e32 v48, 4, v49
	v_ashrrev_i32_e32 v49, v94, v51
	v_lshlrev_b32_e32 v171, 4, v15
	v_lshlrev_b32_e32 v164, 4, v12
	;; [unrolled: 1-line block ×4, first 2 shown]
	v_lshrrev_b32_e32 v161, 12, v9
	v_lshrrev_b32_e32 v162, 5, v9
	v_lshlrev_b32_e32 v165, 11, v12
	v_lshrrev_b32_e32 v168, 12, v12
	v_lshrrev_b32_e32 v169, 5, v12
	v_lshlrev_b32_e32 v172, 11, v15
	v_lshrrev_b32_e32 v175, 12, v15
	v_lshrrev_b32_e32 v176, 5, v15
	v_and_b32_e32 v51, 0xf0f0f0f, v50
	v_lshrrev_b32_e32 v50, 4, v50
	v_lshlrev_b32_e32 v178, 4, v49
	v_lshlrev_b32_e32 v179, 11, v49
	v_lshrrev_b32_e32 v182, 12, v49
	v_lshrrev_b32_e32 v183, 5, v49
	s_waitcnt vmcnt(26)
	v_ashrrev_i32_e32 v56, v94, v56
	s_waitcnt vmcnt(25)
	v_ashrrev_i32_e32 v53, v94, v57
	s_waitcnt vmcnt(24)
	v_ashrrev_i32_e32 v39, v94, v39
	s_waitcnt vmcnt(23)
	v_and_b32_e32 v52, 0xf0f0f0f, v40
	v_lshrrev_b32_e32 v40, 4, v40
	s_waitcnt vmcnt(22)
	v_and_b32_e32 v54, 0xf0f0f0f, v58
	v_lshrrev_b32_e32 v57, 4, v58
	v_lshlrev_b32_e32 v185, 4, v39
	v_lshlrev_b32_e32 v186, 11, v39
	v_lshrrev_b32_e32 v189, 12, v39
	v_lshrrev_b32_e32 v190, 5, v39
	s_waitcnt vmcnt(21)
	v_and_b32_e32 v58, 0xf0f0f0f, v59
	v_lshrrev_b32_e32 v59, 4, v59
	v_lshlrev_b32_e32 v159, 18, v9
	v_lshlrev_b32_e32 v160, 25, v9
	v_and_b32_e32 v11, 0xf0f0f0f, v11
	v_lshlrev_b32_e32 v163, 2, v9
	v_lshlrev_b32_e32 v9, 9, v9
	v_lshlrev_b32_e32 v192, 4, v53
	v_lshlrev_b32_e32 v193, 11, v53
	v_lshrrev_b32_e32 v196, 12, v53
	v_lshrrev_b32_e32 v197, 5, v53
	v_lshlrev_b32_e32 v199, 4, v56
	v_lshlrev_b32_e32 v200, 11, v56
	v_lshrrev_b32_e32 v203, 12, v56
	v_lshrrev_b32_e32 v204, 5, v56
	v_and_b32_e32 v66, 16, v66
	v_and_b32_e32 v158, 0x1000, v158
	v_and_b32_e32 v161, 16, v161
	v_and_b32_e32 v162, 0x1000, v162
	v_lshlrev_b32_e32 v166, 18, v12
	v_lshlrev_b32_e32 v167, 25, v12
	v_and_b32_e32 v14, 0xf0f0f0f, v14
	v_lshlrev_b32_e32 v170, 2, v12
	v_lshlrev_b32_e32 v12, 9, v12
	v_and_b32_e32 v164, 16, v164
	v_and_b32_e32 v165, 0x1000, v165
	v_and_b32_e32 v168, 16, v168
	v_and_b32_e32 v169, 0x1000, v169
	v_lshlrev_b32_e32 v173, 18, v15
	v_lshlrev_b32_e32 v174, 25, v15
	v_and_b32_e32 v48, 0xf0f0f0f, v48
	v_lshlrev_b32_e32 v177, 2, v15
	v_lshlrev_b32_e32 v15, 9, v15
	;; [unrolled: 9-line block ×4, first 2 shown]
	v_and_b32_e32 v185, 16, v185
	v_and_b32_e32 v186, 0x1000, v186
	;; [unrolled: 1-line block ×4, first 2 shown]
	v_ashrrev_i32_e32 v55, v94, v55
	s_waitcnt vmcnt(16)
	v_ashrrev_i32_e32 v37, v94, v37
	v_ashrrev_i32_e32 v61, v94, v61
	v_lshlrev_b32_e32 v194, 18, v53
	v_lshlrev_b32_e32 v195, 25, v53
	v_and_b32_e32 v57, 0xf0f0f0f, v57
	v_lshlrev_b32_e32 v198, 2, v53
	v_lshlrev_b32_e32 v53, 9, v53
	;; [unrolled: 1-line block ×4, first 2 shown]
	v_and_b32_e32 v59, 0xf0f0f0f, v59
	v_lshlrev_b32_e32 v205, 2, v56
	v_lshlrev_b32_e32 v56, 9, v56
	v_and_b32_e32 v159, 0x100000, v159
	v_and_b32_e32 v160, 0x10000000, v160
	;; [unrolled: 1-line block ×12, first 2 shown]
	v_or3_b32 v10, v66, v10, v158
	v_or3_b32 v11, v161, v11, v162
	v_and_b32_e32 v166, 0x100000, v166
	v_and_b32_e32 v167, 0x10000000, v167
	v_and_b32_e32 v170, 0x100000, v170
	v_and_b32_e32 v12, 0x10000000, v12
	v_or3_b32 v13, v164, v13, v165
	v_or3_b32 v14, v168, v14, v169
	v_and_b32_e32 v173, 0x100000, v173
	v_and_b32_e32 v174, 0x10000000, v174
	v_and_b32_e32 v177, 0x100000, v177
	v_and_b32_e32 v15, 0x10000000, v15
	;; [unrolled: 6-line block ×4, first 2 shown]
	v_or3_b32 v52, v185, v52, v186
	v_or3_b32 v40, v189, v40, v190
	v_and_b32_e32 v64, 0xf0f0f0f, v16
	v_lshrrev_b32_e32 v16, 4, v16
	s_waitcnt vmcnt(15)
	v_and_b32_e32 v65, 0xf0f0f0f, v38
	v_lshrrev_b32_e32 v38, 4, v38
	v_lshlrev_b32_e32 v206, 4, v55
	v_lshlrev_b32_e32 v207, 11, v55
	v_lshrrev_b32_e32 v210, 12, v55
	v_lshrrev_b32_e32 v211, 5, v55
	;; [unrolled: 1-line block ×4, first 2 shown]
	v_lshlrev_b32_e32 v220, 4, v61
	v_lshlrev_b32_e32 v221, 11, v61
	v_and_b32_e32 v194, 0x100000, v194
	v_and_b32_e32 v195, 0x10000000, v195
	;; [unrolled: 1-line block ×8, first 2 shown]
	v_or3_b32 v54, v192, v54, v193
	v_or3_b32 v57, v196, v57, v197
	;; [unrolled: 1-line block ×14, first 2 shown]
	v_lshlrev_b32_e32 v208, 18, v55
	v_lshlrev_b32_e32 v209, 25, v55
	v_and_b32_e32 v16, 0xf0f0f0f, v16
	v_lshlrev_b32_e32 v212, 2, v55
	v_lshlrev_b32_e32 v55, 9, v55
	v_lshlrev_b32_e32 v213, 4, v37
	v_lshlrev_b32_e32 v214, 11, v37
	v_lshlrev_b32_e32 v215, 18, v37
	v_lshlrev_b32_e32 v216, 25, v37
	v_and_b32_e32 v38, 0xf0f0f0f, v38
	v_lshlrev_b32_e32 v219, 2, v37
	v_lshlrev_b32_e32 v37, 9, v37
	v_and_b32_e32 v206, 16, v206
	v_and_b32_e32 v207, 0x1000, v207
	;; [unrolled: 1-line block ×6, first 2 shown]
	v_or3_b32 v40, v54, v194, v195
	v_or3_b32 v49, v57, v198, v53
	;; [unrolled: 1-line block ×4, first 2 shown]
	ds_write2_b32 v18, v10, v9 offset1:1
	ds_write2_b32 v19, v11, v12 offset1:1
	;; [unrolled: 1-line block ×7, first 2 shown]
	s_waitcnt vmcnt(14)
	v_and_b32_e32 v9, 0xf0f0f0f, v41
	v_and_b32_e32 v10, 16, v220
	;; [unrolled: 1-line block ×9, first 2 shown]
	v_or3_b32 v64, v206, v64, v207
	v_or3_b32 v16, v210, v16, v211
	;; [unrolled: 1-line block ×4, first 2 shown]
	v_lshrrev_b32_e32 v10, 4, v41
	v_lshrrev_b32_e32 v11, 12, v61
	;; [unrolled: 1-line block ×3, first 2 shown]
	v_and_b32_e32 v213, 16, v213
	v_and_b32_e32 v214, 0x1000, v214
	v_or3_b32 v52, v64, v208, v209
	v_or3_b32 v16, v16, v212, v55
	;; [unrolled: 1-line block ×3, first 2 shown]
	v_and_b32_e32 v10, 0xf0f0f0f, v10
	v_and_b32_e32 v11, 16, v11
	v_and_b32_e32 v15, 0x1000, v15
	v_ashrrev_i32_e32 v37, v94, v60
	v_and_b32_e32 v215, 0x100000, v215
	v_and_b32_e32 v216, 0x10000000, v216
	v_or3_b32 v65, v213, v65, v214
	ds_write2_b32 v25, v52, v16 offset1:1
	v_lshlrev_b32_e32 v14, 18, v61
	v_lshlrev_b32_e32 v16, 25, v61
	v_or3_b32 v10, v11, v10, v15
	v_lshlrev_b32_e32 v11, 4, v37
	v_lshlrev_b32_e32 v15, 11, v37
	v_or3_b32 v12, v65, v215, v216
	v_and_b32_e32 v14, 0x100000, v14
	v_and_b32_e32 v16, 0x10000000, v16
	s_waitcnt vmcnt(13)
	v_and_b32_e32 v40, 0xf0f0f0f, v42
	v_and_b32_e32 v11, 16, v11
	;; [unrolled: 1-line block ×3, first 2 shown]
	v_lshlrev_b32_e32 v38, 2, v61
	v_lshlrev_b32_e32 v39, 9, v61
	ds_write2_b32 v26, v12, v13 offset1:1
	v_or3_b32 v9, v9, v14, v16
	v_or3_b32 v11, v11, v40, v15
	v_lshrrev_b32_e32 v13, 4, v42
	v_lshrrev_b32_e32 v14, 12, v37
	;; [unrolled: 1-line block ×3, first 2 shown]
	v_and_b32_e32 v38, 0x100000, v38
	v_and_b32_e32 v39, 0x10000000, v39
	;; [unrolled: 1-line block ×5, first 2 shown]
	v_ashrrev_i32_e32 v17, v94, v17
	v_or3_b32 v10, v10, v38, v39
	v_lshlrev_b32_e32 v12, 18, v37
	v_lshlrev_b32_e32 v16, 25, v37
	;; [unrolled: 1-line block ×4, first 2 shown]
	v_or3_b32 v13, v14, v13, v15
	v_lshlrev_b32_e32 v14, 4, v17
	v_lshlrev_b32_e32 v15, 11, v17
	v_and_b32_e32 v12, 0x100000, v12
	v_and_b32_e32 v16, 0x10000000, v16
	v_and_b32_e32 v38, 0x100000, v38
	v_and_b32_e32 v37, 0x10000000, v37
	s_waitcnt vmcnt(12)
	v_and_b32_e32 v39, 0xf0f0f0f, v43
	v_and_b32_e32 v14, 16, v14
	;; [unrolled: 1-line block ×3, first 2 shown]
	ds_write2_b32 v27, v9, v10 offset1:1
	v_or3_b32 v9, v11, v12, v16
	v_or3_b32 v10, v13, v38, v37
	v_lshrrev_b32_e32 v13, 4, v43
	v_or3_b32 v12, v14, v39, v15
	v_lshrrev_b32_e32 v14, 12, v17
	v_lshrrev_b32_e32 v15, 5, v17
	s_waitcnt vmcnt(8)
	v_ashrrev_i32_e32 v37, v94, v62
	v_and_b32_e32 v13, 0xf0f0f0f, v13
	v_lshlrev_b32_e32 v11, 18, v17
	v_and_b32_e32 v14, 16, v14
	v_and_b32_e32 v15, 0x1000, v15
	v_lshlrev_b32_e32 v16, 25, v17
	v_lshlrev_b32_e32 v38, 2, v17
	;; [unrolled: 1-line block ×3, first 2 shown]
	v_and_b32_e32 v11, 0x100000, v11
	v_or3_b32 v13, v14, v13, v15
	v_lshlrev_b32_e32 v14, 4, v37
	v_lshlrev_b32_e32 v15, 11, v37
	v_and_b32_e32 v16, 0x10000000, v16
	v_and_b32_e32 v38, 0x100000, v38
	v_and_b32_e32 v17, 0x10000000, v17
	s_waitcnt vmcnt(7)
	v_and_b32_e32 v39, 0xf0f0f0f, v63
	v_and_b32_e32 v14, 16, v14
	v_and_b32_e32 v15, 0x1000, v15
	ds_write2_b32 v28, v9, v10 offset1:1
	v_or3_b32 v9, v12, v11, v16
	v_or3_b32 v10, v13, v38, v17
	v_lshrrev_b32_e32 v13, 4, v63
	v_or3_b32 v12, v14, v39, v15
	v_lshrrev_b32_e32 v14, 12, v37
	v_lshrrev_b32_e32 v15, 5, v37
	v_ashrrev_i32_e32 v17, v94, v46
	v_and_b32_e32 v13, 0xf0f0f0f, v13
	v_lshlrev_b32_e32 v11, 18, v37
	v_and_b32_e32 v14, 16, v14
	v_and_b32_e32 v15, 0x1000, v15
	v_lshlrev_b32_e32 v16, 25, v37
	v_lshlrev_b32_e32 v38, 2, v37
	;; [unrolled: 1-line block ×3, first 2 shown]
	v_and_b32_e32 v11, 0x100000, v11
	v_or3_b32 v13, v14, v13, v15
	v_lshlrev_b32_e32 v14, 4, v17
	v_lshlrev_b32_e32 v15, 11, v17
	v_and_b32_e32 v16, 0x10000000, v16
	v_and_b32_e32 v38, 0x100000, v38
	;; [unrolled: 1-line block ×3, first 2 shown]
	s_waitcnt vmcnt(6)
	v_and_b32_e32 v39, 0xf0f0f0f, v6
	v_and_b32_e32 v14, 16, v14
	;; [unrolled: 1-line block ×3, first 2 shown]
	v_lshlrev_b32_e32 v40, 18, v17
	v_lshlrev_b32_e32 v41, 25, v17
	v_or3_b32 v11, v12, v11, v16
	v_or3_b32 v12, v13, v38, v37
	;; [unrolled: 1-line block ×3, first 2 shown]
	v_and_b32_e32 v14, 0x100000, v40
	v_and_b32_e32 v15, 0x10000000, v41
	v_lshrrev_b32_e32 v16, 12, v17
	v_lshrrev_b32_e32 v37, 5, v17
	v_ashrrev_i32_e32 v38, v94, v45
	v_lshrrev_b32_e32 v6, 4, v6
	v_or3_b32 v13, v13, v14, v15
	v_and_b32_e32 v14, 16, v16
	v_and_b32_e32 v15, 0x1000, v37
	v_lshlrev_b32_e32 v16, 4, v38
	v_lshlrev_b32_e32 v37, 11, v38
	s_waitcnt vmcnt(5)
	v_and_b32_e32 v40, 0xf0f0f0f, v2
	v_and_b32_e32 v6, 0xf0f0f0f, v6
	v_lshlrev_b32_e32 v39, 2, v17
	v_and_b32_e32 v16, 16, v16
	v_and_b32_e32 v37, 0x1000, v37
	v_lshrrev_b32_e32 v2, 4, v2
	v_or3_b32 v6, v14, v6, v15
	v_and_b32_e32 v14, 0x100000, v39
	v_lshrrev_b32_e32 v39, 5, v38
	v_or3_b32 v16, v16, v40, v37
	v_ashrrev_i32_e32 v40, v94, v44
	v_lshrrev_b32_e32 v37, 12, v38
	v_and_b32_e32 v2, 0xf0f0f0f, v2
	v_and_b32_e32 v39, 0x1000, v39
	s_waitcnt vmcnt(4)
	v_and_b32_e32 v45, 0xf0f0f0f, v3
	v_lshlrev_b32_e32 v42, 4, v40
	v_lshlrev_b32_e32 v43, 11, v40
	v_and_b32_e32 v37, 16, v37
	v_lshlrev_b32_e32 v17, 9, v17
	v_lshlrev_b32_e32 v41, 18, v38
	v_and_b32_e32 v42, 16, v42
	v_and_b32_e32 v43, 0x1000, v43
	v_lshlrev_b32_e32 v44, 2, v38
	v_or3_b32 v2, v37, v2, v39
	v_lshrrev_b32_e32 v3, 4, v3
	v_and_b32_e32 v15, 0x10000000, v17
	v_or3_b32 v39, v42, v45, v43
	v_lshrrev_b32_e32 v42, 12, v40
	v_lshrrev_b32_e32 v43, 5, v40
	v_and_b32_e32 v17, 0x100000, v41
	v_lshlrev_b32_e32 v41, 25, v38
	v_lshlrev_b32_e32 v38, 9, v38
	v_and_b32_e32 v37, 0x100000, v44
	v_lshlrev_b32_e32 v44, 18, v40
	v_lshlrev_b32_e32 v45, 25, v40
	v_and_b32_e32 v3, 0xf0f0f0f, v3
	v_and_b32_e32 v42, 16, v42
	;; [unrolled: 1-line block ×3, first 2 shown]
	v_lshlrev_b32_e32 v46, 2, v40
	v_lshlrev_b32_e32 v40, 9, v40
	v_and_b32_e32 v41, 0x10000000, v41
	v_and_b32_e32 v38, 0x10000000, v38
	;; [unrolled: 1-line block ×4, first 2 shown]
	v_or3_b32 v3, v42, v3, v43
	v_and_b32_e32 v42, 0x100000, v46
	v_and_b32_e32 v40, 0x10000000, v40
	v_or3_b32 v6, v6, v14, v15
	v_or3_b32 v14, v16, v17, v41
	v_or3_b32 v2, v2, v37, v38
	v_or3_b32 v15, v39, v44, v45
	v_or3_b32 v3, v3, v42, v40
	ds_write2_b32 v29, v9, v10 offset1:1
	ds_write2_b32 v30, v11, v12 offset1:1
	;; [unrolled: 1-line block ×5, first 2 shown]
	s_waitcnt vmcnt(3)
	ds_write_b32 v146, v4
	s_waitcnt vmcnt(2)
	ds_write_b32 v147, v5
	;; [unrolled: 2-line block ×4, first 2 shown]
	s_cbranch_scc0 .LBB164_5
; %bb.7:                                ;   in Loop: Header=BB164_6 Depth=1
	v_add_nc_u32_e32 v14, s11, v109
	v_add_nc_u32_e32 v158, s11, v34
	v_mov_b32_e32 v159, v140
	v_mov_b32_e32 v160, v133
	;; [unrolled: 1-line block ×3, first 2 shown]
	v_add_nc_u32_e32 v2, v14, v125
	v_add_nc_u32_e32 v4, v14, v126
	;; [unrolled: 1-line block ×5, first 2 shown]
	v_mad_u64_u32 v[12:13], null, v158, 36, s[2:3]
	v_mad_i64_i32 v[2:3], null, v2, 36, v[35:36]
	v_add_nc_u32_e32 v15, v14, v130
	v_mad_i64_i32 v[4:5], null, v4, 36, v[35:36]
	v_add_nc_u32_e32 v16, v14, v131
	;; [unrolled: 2-line block ×3, first 2 shown]
	v_mad_i64_i32 v[8:9], null, v8, 36, v[35:36]
	v_mad_i64_i32 v[10:11], null, v10, 36, v[35:36]
	;; [unrolled: 1-line block ×5, first 2 shown]
	s_clause 0x8
	global_load_dword v12, v[12:13], off
	global_load_dword v2, v[2:3], off offset:4
	global_load_dword v3, v[4:5], off offset:4
	;; [unrolled: 1-line block ×8, first 2 shown]
	v_mov_b32_e32 v162, v138
	v_mov_b32_e32 v163, v137
	;; [unrolled: 1-line block ×4, first 2 shown]
	s_mov_b32 s0, -4
	s_waitcnt vmcnt(8)
	ds_write_b32 v124, v12
	s_waitcnt vmcnt(7)
	ds_write_b32 v150, v2
	;; [unrolled: 2-line block ×9, first 2 shown]
	s_waitcnt lgkmcnt(0)
	s_barrier
	buffer_gl0_inv
.LBB164_8:                              ;   Parent Loop BB164_6 Depth=1
                                        ; =>  This Inner Loop Header: Depth=2
	v_add_nc_u32_e32 v10, 0x2080, v160
	ds_read_b128 v[6:9], v159
	ds_read2_b32 v[37:38], v160 offset1:1
	ds_read_b128 v[2:5], v159 offset:16
	v_mov_b32_e32 v167, 0
	v_mov_b32_e32 v166, 0
	ds_read2_b32 v[39:40], v10 offset1:1
	v_add_nc_u32_e32 v10, 0x4100, v160
	v_mov_b32_e32 v168, 0
	v_mov_b32_e32 v169, 0
	;; [unrolled: 1-line block ×3, first 2 shown]
	ds_read2_b32 v[47:48], v160 offset0:2 offset1:3
	ds_read2_b32 v[41:42], v10 offset1:1
	v_add_nc_u32_e32 v10, 0x6180, v160
	v_mov_b32_e32 v171, 0
	v_mov_b32_e32 v172, 0
	ds_read2_b32 v[57:58], v160 offset0:4 offset1:5
	v_mov_b32_e32 v173, 0
	ds_read2_b32 v[49:50], v10 offset1:1
	v_mov_b32_e32 v174, 0
	v_mov_b32_e32 v196, 0
	;; [unrolled: 1-line block ×3, first 2 shown]
	s_waitcnt lgkmcnt(6)
	v_dot4c_i32_i8 v167, v37, v6
	s_add_i32 s0, s0, 4
	ds_read_b128 v[13:16], v159 offset:2048
	s_cmp_lt_u32 s0, 12
	s_waitcnt lgkmcnt(5)
	v_dot4c_i32_i8 v166, v39, v6
	v_dot4c_i32_i8 v167, v38, v2
	ds_read_b128 v[175:178], v159 offset:3072
	ds_read_b128 v[180:183], v159 offset:4112
	;; [unrolled: 1-line block ×3, first 2 shown]
	v_dot4c_i32_i8 v166, v40, v2
	s_waitcnt lgkmcnt(6)
	v_dot4c_i32_i8 v168, v41, v6
	v_dot4c_i32_i8 v167, v47, v7
	ds_read_b128 v[188:191], v159 offset:6160
	ds_read_b128 v[192:195], v159 offset:7184
	v_dot4c_i32_i8 v168, v42, v2
	s_waitcnt lgkmcnt(6)
	v_dot4c_i32_i8 v169, v49, v6
	v_dot4c_i32_i8 v167, v48, v3
	;; [unrolled: 1-line block ×3, first 2 shown]
	v_add_nc_u32_e32 v2, 0x2088, v160
	v_dot4c_i32_i8 v167, v57, v8
	s_waitcnt lgkmcnt(5)
	v_dot4c_i32_i8 v173, v49, v13
	s_waitcnt lgkmcnt(4)
	v_dot4c_i32_i8 v174, v49, v175
	ds_read2_b32 v[51:52], v2 offset1:1
	v_add_nc_u32_e32 v2, 0x4108, v160
	v_dot4c_i32_i8 v167, v58, v4
	ds_read2_b32 v[55:56], v2 offset1:1
	v_add_nc_u32_e32 v2, 0x6188, v160
	ds_read2_b32 v[59:60], v2 offset1:1
	v_add_nc_u32_e32 v2, 0x2090, v160
	ds_read2_b32 v[61:62], v2 offset1:1
	v_add_nc_u32_e32 v2, 0x4110, v160
	s_waitcnt lgkmcnt(3)
	v_dot4c_i32_i8 v166, v51, v7
	ds_read2_b32 v[63:64], v2 offset1:1
	v_add_nc_u32_e32 v2, 0x6190, v160
	s_waitcnt lgkmcnt(3)
	v_dot4c_i32_i8 v168, v55, v7
	v_dot4c_i32_i8 v166, v52, v3
	ds_read2_b32 v[65:66], v2 offset1:1
	v_dot4c_i32_i8 v168, v56, v3
	s_waitcnt lgkmcnt(3)
	v_dot4c_i32_i8 v169, v59, v7
	v_dot4c_i32_i8 v169, v60, v3
	s_waitcnt lgkmcnt(2)
	v_dot4c_i32_i8 v166, v61, v8
	ds_read2_b32 v[2:3], v160 offset0:6 offset1:7
	v_dot4c_i32_i8 v166, v62, v4
	s_waitcnt lgkmcnt(2)
	v_dot4c_i32_i8 v168, v63, v8
	v_dot4c_i32_i8 v168, v64, v4
	s_waitcnt lgkmcnt(1)
	v_dot4c_i32_i8 v169, v65, v8
	v_dot4c_i32_i8 v169, v66, v4
	v_add_nc_u32_e32 v4, 0x2098, v160
	ds_read2_b32 v[43:44], v4 offset1:1
	v_add_nc_u32_e32 v4, 0x4118, v160
	s_waitcnt lgkmcnt(1)
	v_dot4c_i32_i8 v167, v2, v9
	ds_read2_b32 v[45:46], v4 offset1:1
	v_add_nc_u32_e32 v4, 0x6198, v160
	v_dot4c_i32_i8 v167, v3, v5
	v_add_nc_u32_e32 v160, 32, v160
	ds_read2_b32 v[53:54], v4 offset1:1
	v_mov_b32_e32 v4, 0
	s_waitcnt lgkmcnt(2)
	v_dot4c_i32_i8 v166, v43, v9
	v_dot4c_i32_i8 v166, v44, v5
	s_waitcnt lgkmcnt(1)
	v_dot4c_i32_i8 v168, v45, v9
	v_dot4c_i32_i8 v168, v46, v5
	s_waitcnt lgkmcnt(0)
	v_dot4c_i32_i8 v169, v53, v9
	ds_read_b128 v[9:12], v159 offset:1024
	v_dot4c_i32_i8 v169, v54, v5
	s_waitcnt lgkmcnt(0)
	v_dot4c_i32_i8 v4, v37, v9
	v_dot4c_i32_i8 v170, v39, v9
	;; [unrolled: 1-line block ×4, first 2 shown]
	ds_read_b128 v[6:9], v159 offset:1040
	s_waitcnt lgkmcnt(0)
	v_dot4c_i32_i8 v4, v38, v6
	v_dot4c_i32_i8 v170, v40, v6
	v_dot4c_i32_i8 v171, v42, v6
	v_dot4c_i32_i8 v172, v50, v6
	v_mov_b32_e32 v6, 0
	v_dot4c_i32_i8 v4, v47, v10
	v_dot4c_i32_i8 v170, v51, v10
	v_dot4c_i32_i8 v171, v55, v10
	v_dot4c_i32_i8 v172, v59, v10
	v_dot4c_i32_i8 v6, v37, v13
	v_dot4c_i32_i8 v4, v48, v7
	v_dot4c_i32_i8 v170, v52, v7
	v_dot4c_i32_i8 v171, v56, v7
	v_dot4c_i32_i8 v172, v60, v7
	v_mov_b32_e32 v7, 0
	v_dot4c_i32_i8 v4, v57, v11
	v_dot4c_i32_i8 v170, v61, v11
	v_dot4c_i32_i8 v171, v63, v11
	v_dot4c_i32_i8 v172, v65, v11
	v_dot4c_i32_i8 v7, v39, v13
	;; [unrolled: 10-line block ×3, first 2 shown]
	ds_read_b128 v[10:13], v159 offset:2064
	v_dot4c_i32_i8 v4, v3, v9
	v_dot4c_i32_i8 v170, v44, v9
	v_dot4c_i32_i8 v171, v46, v9
	v_dot4c_i32_i8 v172, v54, v9
	v_cvt_f32_i32_e32 v4, v4
	s_waitcnt lgkmcnt(0)
	v_dot4c_i32_i8 v6, v38, v10
	v_dot4c_i32_i8 v7, v40, v10
	;; [unrolled: 1-line block ×4, first 2 shown]
	v_mov_b32_e32 v10, 0
	v_dot4c_i32_i8 v6, v47, v14
	v_dot4c_i32_i8 v7, v51, v14
	;; [unrolled: 1-line block ×9, first 2 shown]
	v_mov_b32_e32 v11, 0
	v_dot4c_i32_i8 v6, v57, v15
	v_dot4c_i32_i8 v7, v61, v15
	;; [unrolled: 1-line block ×9, first 2 shown]
	v_mov_b32_e32 v12, 0
	v_dot4c_i32_i8 v6, v2, v16
	v_dot4c_i32_i8 v7, v43, v16
	;; [unrolled: 1-line block ×4, first 2 shown]
	ds_read_b128 v[14:17], v159 offset:3088
	v_dot4c_i32_i8 v12, v41, v175
	v_mov_b32_e32 v175, 0
	v_dot4c_i32_i8 v6, v3, v13
	v_dot4c_i32_i8 v7, v44, v13
	;; [unrolled: 1-line block ×4, first 2 shown]
	v_cvt_f32_i32_e32 v6, v6
	s_waitcnt lgkmcnt(0)
	v_dot4c_i32_i8 v10, v38, v14
	v_dot4c_i32_i8 v11, v40, v14
	v_dot4c_i32_i8 v12, v42, v14
	v_dot4c_i32_i8 v174, v50, v14
	v_mov_b32_e32 v14, 0
	v_dot4c_i32_i8 v10, v47, v176
	v_dot4c_i32_i8 v11, v51, v176
	v_dot4c_i32_i8 v12, v55, v176
	v_dot4c_i32_i8 v174, v59, v176
	v_dot4c_i32_i8 v10, v48, v15
	v_dot4c_i32_i8 v11, v52, v15
	v_dot4c_i32_i8 v12, v56, v15
	v_dot4c_i32_i8 v174, v60, v15
	v_mov_b32_e32 v15, 0
	v_dot4c_i32_i8 v10, v57, v177
	v_dot4c_i32_i8 v11, v61, v177
	v_dot4c_i32_i8 v12, v63, v177
	v_dot4c_i32_i8 v174, v65, v177
	v_dot4c_i32_i8 v10, v58, v16
	v_dot4c_i32_i8 v11, v62, v16
	v_dot4c_i32_i8 v12, v64, v16
	v_dot4c_i32_i8 v174, v66, v16
	v_mov_b32_e32 v16, 0
	v_dot4c_i32_i8 v10, v2, v178
	v_dot4c_i32_i8 v11, v43, v178
	v_dot4c_i32_i8 v12, v45, v178
	v_dot4c_i32_i8 v174, v53, v178
	ds_read_b128 v[176:179], v159 offset:4096
	v_dot4c_i32_i8 v10, v3, v17
	v_dot4c_i32_i8 v11, v44, v17
	;; [unrolled: 1-line block ×4, first 2 shown]
	v_cvt_f32_i32_e32 v10, v10
	s_waitcnt lgkmcnt(0)
	v_dot4c_i32_i8 v15, v37, v176
	v_dot4c_i32_i8 v14, v39, v176
	;; [unrolled: 1-line block ×4, first 2 shown]
	v_mov_b32_e32 v176, 0
	v_dot4c_i32_i8 v15, v38, v180
	v_dot4c_i32_i8 v14, v40, v180
	;; [unrolled: 1-line block ×12, first 2 shown]
	v_mov_b32_e32 v181, 0
	v_dot4c_i32_i8 v15, v57, v178
	v_dot4c_i32_i8 v14, v61, v178
	;; [unrolled: 1-line block ×8, first 2 shown]
	v_mov_b32_e32 v182, 0
	v_dot4c_i32_i8 v15, v2, v179
	v_dot4c_i32_i8 v14, v43, v179
	;; [unrolled: 1-line block ×4, first 2 shown]
	ds_read_b128 v[177:180], v159 offset:5120
	v_dot4c_i32_i8 v15, v3, v183
	v_dot4c_i32_i8 v14, v44, v183
	;; [unrolled: 1-line block ×4, first 2 shown]
	v_cvt_f32_i32_e32 v15, v15
	v_cvt_f32_i32_e32 v14, v14
	s_waitcnt lgkmcnt(0)
	v_dot4c_i32_i8 v181, v37, v177
	v_dot4c_i32_i8 v176, v39, v177
	v_dot4c_i32_i8 v182, v41, v177
	v_dot4c_i32_i8 v196, v49, v177
	v_dot4c_i32_i8 v181, v38, v184
	v_dot4c_i32_i8 v176, v40, v184
	v_dot4c_i32_i8 v182, v42, v184
	v_dot4c_i32_i8 v196, v50, v184
	v_mov_b32_e32 v184, 0
	v_dot4c_i32_i8 v181, v47, v178
	v_dot4c_i32_i8 v176, v51, v178
	v_dot4c_i32_i8 v182, v55, v178
	v_dot4c_i32_i8 v196, v59, v178
	v_dot4c_i32_i8 v181, v48, v185
	v_dot4c_i32_i8 v176, v52, v185
	v_dot4c_i32_i8 v182, v56, v185
	v_dot4c_i32_i8 v196, v60, v185
	v_mov_b32_e32 v185, 0
	;; [unrolled: 9-line block ×3, first 2 shown]
	v_dot4c_i32_i8 v181, v2, v180
	v_dot4c_i32_i8 v176, v43, v180
	;; [unrolled: 1-line block ×4, first 2 shown]
	ds_read_b128 v[177:180], v159 offset:6144
	v_dot4c_i32_i8 v181, v3, v187
	v_dot4c_i32_i8 v176, v44, v187
	v_dot4c_i32_i8 v182, v46, v187
	v_dot4c_i32_i8 v196, v54, v187
	s_waitcnt lgkmcnt(0)
	v_dot4c_i32_i8 v184, v37, v177
	v_dot4c_i32_i8 v185, v39, v177
	;; [unrolled: 1-line block ×8, first 2 shown]
	v_mov_b32_e32 v188, 0
	v_dot4c_i32_i8 v184, v47, v178
	v_dot4c_i32_i8 v185, v51, v178
	;; [unrolled: 1-line block ×20, first 2 shown]
	ds_read_b128 v[177:180], v159 offset:7168
	v_dot4c_i32_i8 v184, v3, v191
	v_dot4c_i32_i8 v185, v44, v191
	;; [unrolled: 1-line block ×4, first 2 shown]
	v_add_nc_u32_e32 v159, 32, v159
	s_waitcnt lgkmcnt(0)
	v_dot4c_i32_i8 v188, v37, v177
	v_mov_b32_e32 v37, 0
	v_dot4c_i32_i8 v188, v38, v192
	v_mov_b32_e32 v38, 0
	;; [unrolled: 2-line block ×3, first 2 shown]
	v_dot4c_i32_i8 v188, v47, v178
	v_dot4c_i32_i8 v38, v41, v177
	;; [unrolled: 1-line block ×21, first 2 shown]
	ds_read_b32 v5, v162
	ds_read_b32 v9, v163
	;; [unrolled: 1-line block ×4, first 2 shown]
	ds_read2_b32 v[2:3], v161 offset1:32
	v_dot4c_i32_i8 v38, v64, v194
	v_dot4c_i32_i8 v37, v43, v180
	;; [unrolled: 1-line block ×3, first 2 shown]
	v_add_nc_u32_e32 v165, 4, v165
	v_add_nc_u32_e32 v164, 4, v164
	v_dot4c_i32_i8 v38, v45, v180
	v_dot4c_i32_i8 v37, v44, v195
	;; [unrolled: 1-line block ×3, first 2 shown]
	v_add_nc_u32_e32 v163, 4, v163
	v_add_nc_u32_e32 v162, 4, v162
	v_dot4c_i32_i8 v38, v46, v195
	v_dot4c_i32_i8 v39, v54, v195
	s_waitcnt lgkmcnt(0)
	v_pk_mul_f16 v40, v2, v5
	v_pk_mul_f16 v41, v2, v9
	;; [unrolled: 1-line block ×8, first 2 shown]
	ds_read2_b32 v[2:3], v161 offset0:64 offset1:96
	v_fma_mix_f32 v4, v4, v44, v44 op_sel:[0,0,1] op_sel_hi:[0,1,1]
	v_cvt_f32_i32_e32 v44, v184
	v_add_f32_e32 v113, v113, v4
	v_cvt_f32_i32_e32 v4, v170
	v_fma_mix_f32 v4, v4, v45, v45 op_sel:[0,0,1] op_sel_hi:[0,1,1]
	v_cvt_f32_i32_e32 v45, v172
	v_add_f32_e32 v108, v108, v4
	v_fma_mix_f32 v45, v45, v47, v47 op_sel:[0,0,1] op_sel_hi:[0,1,1]
	v_cvt_f32_i32_e32 v47, v196
	s_waitcnt lgkmcnt(0)
	v_pk_mul_f16 v48, v5, v2
	v_pk_mul_f16 v49, v9, v2
	v_pk_mul_f16 v50, v13, v2
	v_pk_mul_f16 v51, v17, v2
	v_pk_mul_f16 v52, v5, v3
	v_pk_mul_f16 v53, v9, v3
	v_pk_mul_f16 v54, v13, v3
	v_pk_mul_f16 v55, v17, v3
	ds_read2_b32 v[2:3], v161 offset0:128 offset1:160
	v_fma_mix_f32 v6, v6, v48, v48 op_sel:[0,0,1] op_sel_hi:[0,1,1]
	v_cvt_f32_i32_e32 v48, v188
	v_fma_mix_f32 v10, v10, v52, v52 op_sel:[0,0,1] op_sel_hi:[0,1,1]
	v_add_f32_e32 v98, v98, v45
	v_add_f32_e32 v93, v93, v6
	v_cvt_f32_i32_e32 v6, v7
	v_cvt_f32_i32_e32 v7, v8
	;; [unrolled: 1-line block ×3, first 2 shown]
	v_add_f32_e32 v87, v87, v10
	v_cvt_f32_i32_e32 v10, v11
	v_fma_mix_f32 v6, v6, v49, v49 op_sel:[0,0,1] op_sel_hi:[0,1,1]
	v_cvt_f32_i32_e32 v11, v12
	v_cvt_f32_i32_e32 v12, v174
	;; [unrolled: 1-line block ×3, first 2 shown]
	v_fma_mix_f32 v7, v7, v50, v50 op_sel:[0,0,1] op_sel_hi:[0,1,1]
	v_fma_mix_f32 v8, v8, v51, v51 op_sel:[0,0,1] op_sel_hi:[0,1,1]
	v_fma_mix_f32 v10, v10, v53, v53 op_sel:[0,0,1] op_sel_hi:[0,1,1]
	v_fma_mix_f32 v11, v11, v54, v54 op_sel:[0,0,1] op_sel_hi:[0,1,1]
	s_waitcnt lgkmcnt(0)
	v_pk_mul_f16 v56, v5, v2
	v_pk_mul_f16 v57, v9, v2
	;; [unrolled: 1-line block ×8, first 2 shown]
	ds_read2_b32 v[2:3], v161 offset0:192 offset1:224
	v_fma_mix_f32 v15, v15, v56, v56 op_sel:[0,0,1] op_sel_hi:[0,1,1]
	v_fma_mix_f32 v12, v12, v55, v55 op_sel:[0,0,1] op_sel_hi:[0,1,1]
	;; [unrolled: 1-line block ×4, first 2 shown]
	v_add_f32_e32 v91, v91, v6
	v_add_f32_e32 v82, v82, v15
	v_cvt_f32_i32_e32 v15, v16
	v_cvt_f32_i32_e32 v16, v175
	v_add_f32_e32 v90, v90, v7
	v_add_f32_e32 v89, v89, v8
	;; [unrolled: 1-line block ×3, first 2 shown]
	v_fma_mix_f32 v15, v15, v58, v58 op_sel:[0,0,1] op_sel_hi:[0,1,1]
	v_fma_mix_f32 v16, v16, v59, v59 op_sel:[0,0,1] op_sel_hi:[0,1,1]
	v_add_nc_u32_e32 v161, 4, v161
	v_add_f32_e32 v84, v84, v11
	v_add_f32_e32 v83, v83, v12
	;; [unrolled: 1-line block ×5, first 2 shown]
	s_waitcnt lgkmcnt(0)
	v_pk_mul_f16 v64, v5, v2
	v_pk_mul_f16 v5, v5, v3
	;; [unrolled: 1-line block ×8, first 2 shown]
	v_cvt_f32_i32_e32 v17, v167
	v_fma_mix_f32 v5, v48, v5, v5 op_sel:[0,0,1] op_sel_hi:[0,1,1]
	v_fma_mix_f32 v44, v44, v64, v64 op_sel:[0,0,1] op_sel_hi:[0,1,1]
	v_cvt_f32_i32_e32 v48, v186
	v_fma_mix_f32 v2, v49, v2, v2 op_sel:[0,0,1] op_sel_hi:[0,1,1]
	v_fma_mix_f32 v17, v40, v17, v40 op_sel:[0,0,1] op_sel_hi:[1,0,1]
	v_cvt_f32_i32_e32 v40, v181
	v_add_f32_e32 v70, v70, v5
	v_cvt_f32_i32_e32 v5, v37
	v_add_f32_e32 v74, v74, v44
	v_add_f32_e32 v88, v88, v17
	v_cvt_f32_i32_e32 v17, v166
	v_fma_mix_f32 v40, v40, v60, v60 op_sel:[0,0,1] op_sel_hi:[0,1,1]
	v_fma_mix_f32 v5, v5, v9, v9 op_sel:[0,0,1] op_sel_hi:[0,1,1]
	v_cvt_f32_i32_e32 v9, v38
	v_cvt_f32_i32_e32 v44, v185
	v_fma_mix_f32 v17, v41, v17, v41 op_sel:[0,0,1] op_sel_hi:[1,0,1]
	v_cvt_f32_i32_e32 v41, v168
	v_add_f32_e32 v78, v78, v40
	v_cvt_f32_i32_e32 v40, v176
	v_fma_mix_f32 v9, v9, v13, v13 op_sel:[0,0,1] op_sel_hi:[0,1,1]
	v_cvt_f32_i32_e32 v13, v39
	v_fma_mix_f32 v41, v42, v41, v42 op_sel:[0,0,1] op_sel_hi:[1,0,1]
	;; [unrolled: 2-line block ×3, first 2 shown]
	v_fma_mix_f32 v44, v44, v65, v65 op_sel:[0,0,1] op_sel_hi:[0,1,1]
	v_fma_mix_f32 v48, v48, v66, v66 op_sel:[0,0,1] op_sel_hi:[0,1,1]
	;; [unrolled: 1-line block ×4, first 2 shown]
	v_cvt_f32_i32_e32 v43, v171
	v_add_f32_e32 v120, v120, v17
	v_add_f32_e32 v119, v119, v41
	;; [unrolled: 1-line block ×4, first 2 shown]
	v_fma_mix_f32 v43, v43, v46, v46 op_sel:[0,0,1] op_sel_hi:[0,1,1]
	v_cvt_f32_i32_e32 v46, v182
	v_add_f32_e32 v75, v75, v47
	v_add_f32_e32 v73, v73, v44
	;; [unrolled: 1-line block ×4, first 2 shown]
	v_fma_mix_f32 v46, v46, v62, v62 op_sel:[0,0,1] op_sel_hi:[0,1,1]
	v_add_f32_e32 v71, v71, v2
	v_add_f32_e32 v69, v69, v5
	;; [unrolled: 1-line block ×5, first 2 shown]
	s_cbranch_scc1 .LBB164_8
; %bb.9:                                ;   in Loop: Header=BB164_6 Depth=1
	s_and_b32 s0, s9, -4
	s_cmp_eq_u32 s0, 4
	s_barrier
	buffer_gl0_inv
	s_cbranch_scc1 .LBB164_5
; %bb.10:                               ;   in Loop: Header=BB164_6 Depth=1
	v_add_nc_u32_e32 v14, s11, v134
	v_add_nc_u32_e32 v12, 4, v158
	v_mov_b32_e32 v158, v139
	v_mov_b32_e32 v159, v140
	;; [unrolled: 1-line block ×3, first 2 shown]
	v_add_nc_u32_e32 v2, v14, v125
	v_add_nc_u32_e32 v4, v14, v126
	;; [unrolled: 1-line block ×5, first 2 shown]
	v_mad_u64_u32 v[12:13], null, v12, 36, s[2:3]
	v_mad_i64_i32 v[2:3], null, v2, 36, v[35:36]
	v_add_nc_u32_e32 v15, v14, v130
	v_mad_i64_i32 v[4:5], null, v4, 36, v[35:36]
	v_add_nc_u32_e32 v16, v14, v131
	;; [unrolled: 2-line block ×3, first 2 shown]
	v_mad_i64_i32 v[8:9], null, v8, 36, v[35:36]
	v_mad_i64_i32 v[10:11], null, v10, 36, v[35:36]
	v_mad_i64_i32 v[14:15], null, v15, 36, v[35:36]
	v_mad_i64_i32 v[16:17], null, v16, 36, v[35:36]
	v_mad_i64_i32 v[37:38], null, v37, 36, v[35:36]
	s_clause 0x8
	global_load_dword v12, v[12:13], off
	global_load_dword v2, v[2:3], off offset:4
	global_load_dword v3, v[4:5], off offset:4
	;; [unrolled: 1-line block ×8, first 2 shown]
	v_mov_b32_e32 v161, v144
	v_mov_b32_e32 v162, v143
	;; [unrolled: 1-line block ×4, first 2 shown]
	s_mov_b32 s0, 12
	s_waitcnt vmcnt(8)
	ds_write_b32 v124, v12
	s_waitcnt vmcnt(7)
	ds_write_b32 v150, v2
	;; [unrolled: 2-line block ×9, first 2 shown]
	s_waitcnt lgkmcnt(0)
	s_barrier
	buffer_gl0_inv
.LBB164_11:                             ;   Parent Loop BB164_6 Depth=1
                                        ; =>  This Inner Loop Header: Depth=2
	v_add_nc_u32_e32 v10, 0x2080, v160
	ds_read_b128 v[6:9], v159
	ds_read2_b32 v[37:38], v160 offset1:1
	ds_read_b128 v[2:5], v159 offset:16
	v_mov_b32_e32 v166, 0
	v_mov_b32_e32 v165, 0
	ds_read2_b32 v[39:40], v10 offset1:1
	v_add_nc_u32_e32 v10, 0x4100, v160
	v_mov_b32_e32 v167, 0
	v_mov_b32_e32 v168, 0
	;; [unrolled: 1-line block ×3, first 2 shown]
	ds_read2_b32 v[47:48], v160 offset0:2 offset1:3
	ds_read2_b32 v[41:42], v10 offset1:1
	v_add_nc_u32_e32 v10, 0x6180, v160
	v_mov_b32_e32 v170, 0
	v_mov_b32_e32 v171, 0
	ds_read2_b32 v[57:58], v160 offset0:4 offset1:5
	v_mov_b32_e32 v172, 0
	ds_read2_b32 v[49:50], v10 offset1:1
	v_mov_b32_e32 v173, 0
	v_mov_b32_e32 v195, 0
	;; [unrolled: 1-line block ×3, first 2 shown]
	s_waitcnt lgkmcnt(6)
	v_dot4c_i32_i8 v166, v37, v6
	s_add_i32 s0, s0, 4
	ds_read_b128 v[13:16], v159 offset:2048
	s_cmp_lt_u32 s0, 28
	s_waitcnt lgkmcnt(5)
	v_dot4c_i32_i8 v165, v39, v6
	v_dot4c_i32_i8 v166, v38, v2
	ds_read_b128 v[174:177], v159 offset:3072
	ds_read_b128 v[179:182], v159 offset:4112
	;; [unrolled: 1-line block ×3, first 2 shown]
	v_dot4c_i32_i8 v165, v40, v2
	s_waitcnt lgkmcnt(6)
	v_dot4c_i32_i8 v167, v41, v6
	v_dot4c_i32_i8 v166, v47, v7
	ds_read_b128 v[187:190], v159 offset:6160
	ds_read_b128 v[191:194], v159 offset:7184
	v_dot4c_i32_i8 v167, v42, v2
	s_waitcnt lgkmcnt(6)
	v_dot4c_i32_i8 v168, v49, v6
	v_dot4c_i32_i8 v166, v48, v3
	;; [unrolled: 1-line block ×3, first 2 shown]
	v_add_nc_u32_e32 v2, 0x2088, v160
	v_dot4c_i32_i8 v166, v57, v8
	s_waitcnt lgkmcnt(5)
	v_dot4c_i32_i8 v172, v49, v13
	s_waitcnt lgkmcnt(4)
	v_dot4c_i32_i8 v173, v49, v174
	ds_read2_b32 v[51:52], v2 offset1:1
	v_add_nc_u32_e32 v2, 0x4108, v160
	v_dot4c_i32_i8 v166, v58, v4
	ds_read2_b32 v[55:56], v2 offset1:1
	v_add_nc_u32_e32 v2, 0x6188, v160
	ds_read2_b32 v[59:60], v2 offset1:1
	v_add_nc_u32_e32 v2, 0x2090, v160
	;; [unrolled: 2-line block ×3, first 2 shown]
	s_waitcnt lgkmcnt(3)
	v_dot4c_i32_i8 v165, v51, v7
	ds_read2_b32 v[63:64], v2 offset1:1
	v_add_nc_u32_e32 v2, 0x6190, v160
	s_waitcnt lgkmcnt(3)
	v_dot4c_i32_i8 v167, v55, v7
	v_dot4c_i32_i8 v165, v52, v3
	ds_read2_b32 v[65:66], v2 offset1:1
	v_dot4c_i32_i8 v167, v56, v3
	s_waitcnt lgkmcnt(3)
	v_dot4c_i32_i8 v168, v59, v7
	v_dot4c_i32_i8 v168, v60, v3
	s_waitcnt lgkmcnt(2)
	v_dot4c_i32_i8 v165, v61, v8
	ds_read2_b32 v[2:3], v160 offset0:6 offset1:7
	v_dot4c_i32_i8 v165, v62, v4
	s_waitcnt lgkmcnt(2)
	v_dot4c_i32_i8 v167, v63, v8
	v_dot4c_i32_i8 v167, v64, v4
	s_waitcnt lgkmcnt(1)
	v_dot4c_i32_i8 v168, v65, v8
	v_dot4c_i32_i8 v168, v66, v4
	v_add_nc_u32_e32 v4, 0x2098, v160
	ds_read2_b32 v[43:44], v4 offset1:1
	v_add_nc_u32_e32 v4, 0x4118, v160
	s_waitcnt lgkmcnt(1)
	v_dot4c_i32_i8 v166, v2, v9
	ds_read2_b32 v[45:46], v4 offset1:1
	v_add_nc_u32_e32 v4, 0x6198, v160
	v_dot4c_i32_i8 v166, v3, v5
	v_add_nc_u32_e32 v160, 32, v160
	ds_read2_b32 v[53:54], v4 offset1:1
	v_mov_b32_e32 v4, 0
	s_waitcnt lgkmcnt(2)
	v_dot4c_i32_i8 v165, v43, v9
	v_dot4c_i32_i8 v165, v44, v5
	s_waitcnt lgkmcnt(1)
	v_dot4c_i32_i8 v167, v45, v9
	v_dot4c_i32_i8 v167, v46, v5
	s_waitcnt lgkmcnt(0)
	v_dot4c_i32_i8 v168, v53, v9
	ds_read_b128 v[9:12], v159 offset:1024
	v_dot4c_i32_i8 v168, v54, v5
	s_waitcnt lgkmcnt(0)
	v_dot4c_i32_i8 v4, v37, v9
	v_dot4c_i32_i8 v169, v39, v9
	;; [unrolled: 1-line block ×4, first 2 shown]
	ds_read_b128 v[6:9], v159 offset:1040
	s_waitcnt lgkmcnt(0)
	v_dot4c_i32_i8 v4, v38, v6
	v_dot4c_i32_i8 v169, v40, v6
	v_dot4c_i32_i8 v170, v42, v6
	v_dot4c_i32_i8 v171, v50, v6
	v_mov_b32_e32 v6, 0
	v_dot4c_i32_i8 v4, v47, v10
	v_dot4c_i32_i8 v169, v51, v10
	v_dot4c_i32_i8 v170, v55, v10
	v_dot4c_i32_i8 v171, v59, v10
	v_dot4c_i32_i8 v6, v37, v13
	v_dot4c_i32_i8 v4, v48, v7
	v_dot4c_i32_i8 v169, v52, v7
	v_dot4c_i32_i8 v170, v56, v7
	v_dot4c_i32_i8 v171, v60, v7
	v_mov_b32_e32 v7, 0
	v_dot4c_i32_i8 v4, v57, v11
	v_dot4c_i32_i8 v169, v61, v11
	v_dot4c_i32_i8 v170, v63, v11
	v_dot4c_i32_i8 v171, v65, v11
	v_dot4c_i32_i8 v7, v39, v13
	;; [unrolled: 10-line block ×3, first 2 shown]
	ds_read_b128 v[10:13], v159 offset:2064
	v_dot4c_i32_i8 v4, v3, v9
	v_dot4c_i32_i8 v169, v44, v9
	;; [unrolled: 1-line block ×4, first 2 shown]
	v_cvt_f32_i32_e32 v4, v4
	s_waitcnt lgkmcnt(0)
	v_dot4c_i32_i8 v6, v38, v10
	v_dot4c_i32_i8 v7, v40, v10
	;; [unrolled: 1-line block ×4, first 2 shown]
	v_mov_b32_e32 v10, 0
	v_dot4c_i32_i8 v6, v47, v14
	v_dot4c_i32_i8 v7, v51, v14
	;; [unrolled: 1-line block ×9, first 2 shown]
	v_mov_b32_e32 v11, 0
	v_dot4c_i32_i8 v6, v57, v15
	v_dot4c_i32_i8 v7, v61, v15
	v_dot4c_i32_i8 v8, v63, v15
	v_dot4c_i32_i8 v172, v65, v15
	v_dot4c_i32_i8 v11, v39, v174
	v_dot4c_i32_i8 v6, v58, v12
	v_dot4c_i32_i8 v7, v62, v12
	v_dot4c_i32_i8 v8, v64, v12
	v_dot4c_i32_i8 v172, v66, v12
	v_mov_b32_e32 v12, 0
	v_dot4c_i32_i8 v6, v2, v16
	v_dot4c_i32_i8 v7, v43, v16
	;; [unrolled: 1-line block ×4, first 2 shown]
	ds_read_b128 v[14:17], v159 offset:3088
	v_dot4c_i32_i8 v12, v41, v174
	v_mov_b32_e32 v174, 0
	v_dot4c_i32_i8 v6, v3, v13
	v_dot4c_i32_i8 v7, v44, v13
	;; [unrolled: 1-line block ×4, first 2 shown]
	v_cvt_f32_i32_e32 v6, v6
	s_waitcnt lgkmcnt(0)
	v_dot4c_i32_i8 v10, v38, v14
	v_dot4c_i32_i8 v11, v40, v14
	v_dot4c_i32_i8 v12, v42, v14
	v_dot4c_i32_i8 v173, v50, v14
	v_mov_b32_e32 v14, 0
	v_dot4c_i32_i8 v10, v47, v175
	v_dot4c_i32_i8 v11, v51, v175
	v_dot4c_i32_i8 v12, v55, v175
	v_dot4c_i32_i8 v173, v59, v175
	v_dot4c_i32_i8 v10, v48, v15
	v_dot4c_i32_i8 v11, v52, v15
	v_dot4c_i32_i8 v12, v56, v15
	v_dot4c_i32_i8 v173, v60, v15
	v_mov_b32_e32 v15, 0
	v_dot4c_i32_i8 v10, v57, v176
	v_dot4c_i32_i8 v11, v61, v176
	v_dot4c_i32_i8 v12, v63, v176
	v_dot4c_i32_i8 v173, v65, v176
	;; [unrolled: 9-line block ×3, first 2 shown]
	ds_read_b128 v[175:178], v159 offset:4096
	v_dot4c_i32_i8 v10, v3, v17
	v_dot4c_i32_i8 v11, v44, v17
	v_dot4c_i32_i8 v12, v46, v17
	v_dot4c_i32_i8 v173, v54, v17
	v_cvt_f32_i32_e32 v10, v10
	s_waitcnt lgkmcnt(0)
	v_dot4c_i32_i8 v15, v37, v175
	v_dot4c_i32_i8 v14, v39, v175
	v_dot4c_i32_i8 v16, v41, v175
	v_dot4c_i32_i8 v174, v49, v175
	v_mov_b32_e32 v175, 0
	v_dot4c_i32_i8 v15, v38, v179
	v_dot4c_i32_i8 v14, v40, v179
	;; [unrolled: 1-line block ×12, first 2 shown]
	v_mov_b32_e32 v180, 0
	v_dot4c_i32_i8 v15, v57, v177
	v_dot4c_i32_i8 v14, v61, v177
	;; [unrolled: 1-line block ×8, first 2 shown]
	v_mov_b32_e32 v181, 0
	v_dot4c_i32_i8 v15, v2, v178
	v_dot4c_i32_i8 v14, v43, v178
	;; [unrolled: 1-line block ×4, first 2 shown]
	ds_read_b128 v[176:179], v159 offset:5120
	v_dot4c_i32_i8 v15, v3, v182
	v_dot4c_i32_i8 v14, v44, v182
	;; [unrolled: 1-line block ×4, first 2 shown]
	v_cvt_f32_i32_e32 v15, v15
	v_cvt_f32_i32_e32 v14, v14
	s_waitcnt lgkmcnt(0)
	v_dot4c_i32_i8 v180, v37, v176
	v_dot4c_i32_i8 v175, v39, v176
	v_dot4c_i32_i8 v181, v41, v176
	v_dot4c_i32_i8 v195, v49, v176
	v_dot4c_i32_i8 v180, v38, v183
	v_dot4c_i32_i8 v175, v40, v183
	v_dot4c_i32_i8 v181, v42, v183
	v_dot4c_i32_i8 v195, v50, v183
	v_mov_b32_e32 v183, 0
	v_dot4c_i32_i8 v180, v47, v177
	v_dot4c_i32_i8 v175, v51, v177
	v_dot4c_i32_i8 v181, v55, v177
	v_dot4c_i32_i8 v195, v59, v177
	v_dot4c_i32_i8 v180, v48, v184
	v_dot4c_i32_i8 v175, v52, v184
	v_dot4c_i32_i8 v181, v56, v184
	v_dot4c_i32_i8 v195, v60, v184
	v_mov_b32_e32 v184, 0
	;; [unrolled: 9-line block ×3, first 2 shown]
	v_dot4c_i32_i8 v180, v2, v179
	v_dot4c_i32_i8 v175, v43, v179
	;; [unrolled: 1-line block ×4, first 2 shown]
	ds_read_b128 v[176:179], v159 offset:6144
	v_dot4c_i32_i8 v180, v3, v186
	v_dot4c_i32_i8 v175, v44, v186
	;; [unrolled: 1-line block ×4, first 2 shown]
	s_waitcnt lgkmcnt(0)
	v_dot4c_i32_i8 v183, v37, v176
	v_dot4c_i32_i8 v184, v39, v176
	;; [unrolled: 1-line block ×8, first 2 shown]
	v_mov_b32_e32 v187, 0
	v_dot4c_i32_i8 v183, v47, v177
	v_dot4c_i32_i8 v184, v51, v177
	;; [unrolled: 1-line block ×20, first 2 shown]
	ds_read_b128 v[176:179], v159 offset:7168
	v_dot4c_i32_i8 v183, v3, v190
	v_dot4c_i32_i8 v184, v44, v190
	;; [unrolled: 1-line block ×4, first 2 shown]
	v_add_nc_u32_e32 v159, 32, v159
	s_waitcnt lgkmcnt(0)
	v_dot4c_i32_i8 v187, v37, v176
	v_mov_b32_e32 v37, 0
	v_dot4c_i32_i8 v187, v38, v191
	v_mov_b32_e32 v38, 0
	v_dot4c_i32_i8 v37, v39, v176
	v_mov_b32_e32 v39, 0
	v_dot4c_i32_i8 v187, v47, v177
	v_dot4c_i32_i8 v38, v41, v176
	;; [unrolled: 1-line block ×21, first 2 shown]
	ds_read_b32 v5, v161
	ds_read_b32 v9, v162
	;; [unrolled: 1-line block ×4, first 2 shown]
	ds_read2_b32 v[2:3], v158 offset1:32
	v_dot4c_i32_i8 v38, v64, v193
	v_dot4c_i32_i8 v37, v43, v179
	;; [unrolled: 1-line block ×3, first 2 shown]
	v_add_nc_u32_e32 v164, 4, v164
	v_add_nc_u32_e32 v163, 4, v163
	v_dot4c_i32_i8 v38, v45, v179
	v_dot4c_i32_i8 v37, v44, v194
	v_dot4c_i32_i8 v39, v53, v179
	v_add_nc_u32_e32 v162, 4, v162
	v_add_nc_u32_e32 v161, 4, v161
	v_dot4c_i32_i8 v38, v46, v194
	v_dot4c_i32_i8 v39, v54, v194
	s_waitcnt lgkmcnt(0)
	v_pk_mul_f16 v40, v2, v5
	v_pk_mul_f16 v41, v2, v9
	;; [unrolled: 1-line block ×8, first 2 shown]
	ds_read2_b32 v[2:3], v158 offset0:64 offset1:96
	v_fma_mix_f32 v4, v4, v44, v44 op_sel:[0,0,1] op_sel_hi:[0,1,1]
	v_cvt_f32_i32_e32 v44, v183
	v_add_f32_e32 v113, v113, v4
	v_cvt_f32_i32_e32 v4, v169
	v_fma_mix_f32 v4, v4, v45, v45 op_sel:[0,0,1] op_sel_hi:[0,1,1]
	v_cvt_f32_i32_e32 v45, v171
	v_add_f32_e32 v108, v108, v4
	v_fma_mix_f32 v45, v45, v47, v47 op_sel:[0,0,1] op_sel_hi:[0,1,1]
	v_cvt_f32_i32_e32 v47, v195
	s_waitcnt lgkmcnt(0)
	v_pk_mul_f16 v48, v5, v2
	v_pk_mul_f16 v49, v9, v2
	;; [unrolled: 1-line block ×8, first 2 shown]
	ds_read2_b32 v[2:3], v158 offset0:128 offset1:160
	v_fma_mix_f32 v6, v6, v48, v48 op_sel:[0,0,1] op_sel_hi:[0,1,1]
	v_cvt_f32_i32_e32 v48, v187
	v_fma_mix_f32 v10, v10, v52, v52 op_sel:[0,0,1] op_sel_hi:[0,1,1]
	v_add_f32_e32 v98, v98, v45
	v_add_f32_e32 v93, v93, v6
	v_cvt_f32_i32_e32 v6, v7
	v_cvt_f32_i32_e32 v7, v8
	;; [unrolled: 1-line block ×3, first 2 shown]
	v_add_f32_e32 v87, v87, v10
	v_cvt_f32_i32_e32 v10, v11
	v_fma_mix_f32 v6, v6, v49, v49 op_sel:[0,0,1] op_sel_hi:[0,1,1]
	v_cvt_f32_i32_e32 v11, v12
	v_cvt_f32_i32_e32 v12, v173
	v_cvt_f32_i32_e32 v49, v196
	v_fma_mix_f32 v7, v7, v50, v50 op_sel:[0,0,1] op_sel_hi:[0,1,1]
	v_fma_mix_f32 v8, v8, v51, v51 op_sel:[0,0,1] op_sel_hi:[0,1,1]
	;; [unrolled: 1-line block ×4, first 2 shown]
	s_waitcnt lgkmcnt(0)
	v_pk_mul_f16 v56, v5, v2
	v_pk_mul_f16 v57, v9, v2
	;; [unrolled: 1-line block ×8, first 2 shown]
	ds_read2_b32 v[2:3], v158 offset0:192 offset1:224
	v_fma_mix_f32 v15, v15, v56, v56 op_sel:[0,0,1] op_sel_hi:[0,1,1]
	v_fma_mix_f32 v12, v12, v55, v55 op_sel:[0,0,1] op_sel_hi:[0,1,1]
	;; [unrolled: 1-line block ×4, first 2 shown]
	v_add_f32_e32 v91, v91, v6
	v_add_f32_e32 v82, v82, v15
	v_cvt_f32_i32_e32 v15, v16
	v_cvt_f32_i32_e32 v16, v174
	v_add_f32_e32 v90, v90, v7
	v_add_f32_e32 v89, v89, v8
	;; [unrolled: 1-line block ×3, first 2 shown]
	v_fma_mix_f32 v15, v15, v58, v58 op_sel:[0,0,1] op_sel_hi:[0,1,1]
	v_fma_mix_f32 v16, v16, v59, v59 op_sel:[0,0,1] op_sel_hi:[0,1,1]
	v_add_nc_u32_e32 v158, 4, v158
	v_add_f32_e32 v84, v84, v11
	v_add_f32_e32 v83, v83, v12
	;; [unrolled: 1-line block ×5, first 2 shown]
	s_waitcnt lgkmcnt(0)
	v_pk_mul_f16 v64, v5, v2
	v_pk_mul_f16 v5, v5, v3
	;; [unrolled: 1-line block ×8, first 2 shown]
	v_cvt_f32_i32_e32 v17, v166
	v_fma_mix_f32 v5, v48, v5, v5 op_sel:[0,0,1] op_sel_hi:[0,1,1]
	v_fma_mix_f32 v44, v44, v64, v64 op_sel:[0,0,1] op_sel_hi:[0,1,1]
	v_cvt_f32_i32_e32 v48, v185
	v_fma_mix_f32 v2, v49, v2, v2 op_sel:[0,0,1] op_sel_hi:[0,1,1]
	v_fma_mix_f32 v17, v40, v17, v40 op_sel:[0,0,1] op_sel_hi:[1,0,1]
	v_cvt_f32_i32_e32 v40, v180
	v_add_f32_e32 v70, v70, v5
	v_cvt_f32_i32_e32 v5, v37
	v_add_f32_e32 v74, v74, v44
	v_add_f32_e32 v88, v88, v17
	v_cvt_f32_i32_e32 v17, v165
	v_fma_mix_f32 v40, v40, v60, v60 op_sel:[0,0,1] op_sel_hi:[0,1,1]
	v_fma_mix_f32 v5, v5, v9, v9 op_sel:[0,0,1] op_sel_hi:[0,1,1]
	v_cvt_f32_i32_e32 v9, v38
	v_cvt_f32_i32_e32 v44, v184
	v_fma_mix_f32 v17, v41, v17, v41 op_sel:[0,0,1] op_sel_hi:[1,0,1]
	v_cvt_f32_i32_e32 v41, v167
	v_add_f32_e32 v78, v78, v40
	v_cvt_f32_i32_e32 v40, v175
	v_fma_mix_f32 v9, v9, v13, v13 op_sel:[0,0,1] op_sel_hi:[0,1,1]
	v_cvt_f32_i32_e32 v13, v39
	v_fma_mix_f32 v41, v42, v41, v42 op_sel:[0,0,1] op_sel_hi:[1,0,1]
	;; [unrolled: 2-line block ×3, first 2 shown]
	v_fma_mix_f32 v44, v44, v65, v65 op_sel:[0,0,1] op_sel_hi:[0,1,1]
	v_fma_mix_f32 v48, v48, v66, v66 op_sel:[0,0,1] op_sel_hi:[0,1,1]
	v_fma_mix_f32 v3, v13, v3, v3 op_sel:[0,0,1] op_sel_hi:[0,1,1]
	v_fma_mix_f32 v42, v43, v42, v43 op_sel:[0,0,1] op_sel_hi:[1,0,1]
	v_cvt_f32_i32_e32 v43, v170
	v_add_f32_e32 v120, v120, v17
	v_add_f32_e32 v119, v119, v41
	;; [unrolled: 1-line block ×4, first 2 shown]
	v_fma_mix_f32 v43, v43, v46, v46 op_sel:[0,0,1] op_sel_hi:[0,1,1]
	v_cvt_f32_i32_e32 v46, v181
	v_add_f32_e32 v75, v75, v47
	v_add_f32_e32 v73, v73, v44
	;; [unrolled: 1-line block ×4, first 2 shown]
	v_fma_mix_f32 v46, v46, v62, v62 op_sel:[0,0,1] op_sel_hi:[0,1,1]
	v_add_f32_e32 v71, v71, v2
	v_add_f32_e32 v69, v69, v5
	;; [unrolled: 1-line block ×5, first 2 shown]
	s_cbranch_scc1 .LBB164_11
; %bb.12:                               ;   in Loop: Header=BB164_6 Depth=1
	s_barrier
	buffer_gl0_inv
	s_branch .LBB164_5
.LBB164_13:
	v_mov_b32_e32 v2, v86
.LBB164_14:
	s_mov_b32 s0, exec_lo
	v_cmpx_gt_u32_e64 s10, v2
	s_cbranch_execz .LBB164_65
; %bb.15:
	v_add_nc_u32_e32 v0, s6, v0
	v_mul_lo_u32 v5, v2, s14
	v_cmp_gt_u32_e64 s0, s14, v0
	s_and_saveexec_b32 s1, s0
	s_cbranch_execz .LBB164_17
; %bb.16:
	v_add_nc_u32_e32 v2, v0, v5
	v_mov_b32_e32 v3, 0
	v_bfe_u32 v4, v88, 16, 1
	v_cmp_o_f32_e32 vcc_lo, v88, v88
	v_mov_b32_e32 v6, 0x7fc0
	v_lshlrev_b64 v[2:3], 1, v[2:3]
	v_add3_u32 v4, v88, v4, 0x7fff
	v_cndmask_b32_sdwa v4, v6, v4, vcc_lo dst_sel:DWORD dst_unused:UNUSED_PAD src0_sel:DWORD src1_sel:WORD_1
	s_waitcnt lgkmcnt(0)
	v_add_co_u32 v2, vcc_lo, s12, v2
	v_add_co_ci_u32_e64 v3, null, s13, v3, vcc_lo
	global_store_short v[2:3], v4, off
.LBB164_17:
	s_or_b32 exec_lo, exec_lo, s1
	v_add_nc_u32_e32 v2, 32, v0
	v_cmp_gt_u32_e64 s1, s14, v2
	s_and_saveexec_b32 s2, s1
	s_cbranch_execz .LBB164_19
; %bb.18:
	v_add_nc_u32_e32 v3, v2, v5
	v_mov_b32_e32 v4, 0
	v_bfe_u32 v6, v120, 16, 1
	v_cmp_o_f32_e32 vcc_lo, v120, v120
	v_mov_b32_e32 v7, 0x7fc0
	v_lshlrev_b64 v[3:4], 1, v[3:4]
	v_add3_u32 v6, v120, v6, 0x7fff
	v_cndmask_b32_sdwa v6, v7, v6, vcc_lo dst_sel:DWORD dst_unused:UNUSED_PAD src0_sel:DWORD src1_sel:WORD_1
	s_waitcnt lgkmcnt(0)
	v_add_co_u32 v3, vcc_lo, s12, v3
	v_add_co_ci_u32_e64 v4, null, s13, v4, vcc_lo
	global_store_short v[3:4], v6, off
.LBB164_19:
	s_or_b32 exec_lo, exec_lo, s2
	v_add_nc_u32_e32 v3, 64, v0
	;; [unrolled: 19-line block ×3, first 2 shown]
	v_cmp_gt_u32_e64 s3, s14, v4
	s_and_saveexec_b32 s4, s3
	s_cbranch_execz .LBB164_23
; %bb.22:
	v_add_nc_u32_e32 v5, v4, v5
	v_mov_b32_e32 v6, 0
	v_bfe_u32 v7, v118, 16, 1
	v_cmp_o_f32_e32 vcc_lo, v118, v118
	v_mov_b32_e32 v8, 0x7fc0
	v_lshlrev_b64 v[5:6], 1, v[5:6]
	v_add3_u32 v7, v118, v7, 0x7fff
	v_cndmask_b32_sdwa v7, v8, v7, vcc_lo dst_sel:DWORD dst_unused:UNUSED_PAD src0_sel:DWORD src1_sel:WORD_1
	s_waitcnt lgkmcnt(0)
	v_add_co_u32 v5, vcc_lo, s12, v5
	v_add_co_ci_u32_e64 v6, null, s13, v6, vcc_lo
	global_store_short v[5:6], v7, off
.LBB164_23:
	s_or_b32 exec_lo, exec_lo, s4
	v_add3_u32 v5, v1, s7, 8
	v_cmp_gt_u32_e32 vcc_lo, s10, v5
	s_and_b32 exec_lo, exec_lo, vcc_lo
	s_cbranch_execz .LBB164_65
; %bb.24:
	v_mul_lo_u32 v5, v5, s14
	s_and_saveexec_b32 s4, s0
	s_cbranch_execnz .LBB164_66
; %bb.25:
	s_or_b32 exec_lo, exec_lo, s4
	s_and_saveexec_b32 s4, s1
	s_cbranch_execnz .LBB164_67
.LBB164_26:
	s_or_b32 exec_lo, exec_lo, s4
	s_and_saveexec_b32 s4, s2
	s_cbranch_execnz .LBB164_68
.LBB164_27:
	s_or_b32 exec_lo, exec_lo, s4
	s_and_saveexec_b32 s4, s3
	s_cbranch_execz .LBB164_29
.LBB164_28:
	v_add_nc_u32_e32 v5, v5, v4
	v_mov_b32_e32 v6, 0
	v_bfe_u32 v7, v98, 16, 1
	v_cmp_o_f32_e32 vcc_lo, v98, v98
	v_mov_b32_e32 v8, 0x7fc0
	v_lshlrev_b64 v[5:6], 1, v[5:6]
	v_add3_u32 v7, v98, v7, 0x7fff
	v_cndmask_b32_sdwa v7, v8, v7, vcc_lo dst_sel:DWORD dst_unused:UNUSED_PAD src0_sel:DWORD src1_sel:WORD_1
	s_waitcnt lgkmcnt(0)
	v_add_co_u32 v5, vcc_lo, s12, v5
	v_add_co_ci_u32_e64 v6, null, s13, v6, vcc_lo
	global_store_short v[5:6], v7, off
.LBB164_29:
	s_or_b32 exec_lo, exec_lo, s4
	v_add3_u32 v5, v1, s7, 16
	v_cmp_gt_u32_e32 vcc_lo, s10, v5
	s_and_b32 exec_lo, exec_lo, vcc_lo
	s_cbranch_execz .LBB164_65
; %bb.30:
	v_mul_lo_u32 v5, v5, s14
	s_and_saveexec_b32 s4, s0
	s_cbranch_execnz .LBB164_69
; %bb.31:
	s_or_b32 exec_lo, exec_lo, s4
	s_and_saveexec_b32 s4, s1
	s_cbranch_execnz .LBB164_70
.LBB164_32:
	s_or_b32 exec_lo, exec_lo, s4
	s_and_saveexec_b32 s4, s2
	s_cbranch_execnz .LBB164_71
.LBB164_33:
	s_or_b32 exec_lo, exec_lo, s4
	s_and_saveexec_b32 s4, s3
	s_cbranch_execz .LBB164_35
.LBB164_34:
	v_add_nc_u32_e32 v5, v5, v4
	v_mov_b32_e32 v6, 0
	v_bfe_u32 v7, v89, 16, 1
	v_cmp_o_f32_e32 vcc_lo, v89, v89
	v_mov_b32_e32 v8, 0x7fc0
	v_lshlrev_b64 v[5:6], 1, v[5:6]
	v_add3_u32 v7, v89, v7, 0x7fff
	v_cndmask_b32_sdwa v7, v8, v7, vcc_lo dst_sel:DWORD dst_unused:UNUSED_PAD src0_sel:DWORD src1_sel:WORD_1
	s_waitcnt lgkmcnt(0)
	v_add_co_u32 v5, vcc_lo, s12, v5
	v_add_co_ci_u32_e64 v6, null, s13, v6, vcc_lo
	global_store_short v[5:6], v7, off
.LBB164_35:
	s_or_b32 exec_lo, exec_lo, s4
	v_add3_u32 v5, v1, s7, 24
	v_cmp_gt_u32_e32 vcc_lo, s10, v5
	s_and_b32 exec_lo, exec_lo, vcc_lo
	s_cbranch_execz .LBB164_65
; %bb.36:
	v_mul_lo_u32 v5, v5, s14
	s_and_saveexec_b32 s4, s0
	s_cbranch_execnz .LBB164_72
; %bb.37:
	s_or_b32 exec_lo, exec_lo, s4
	s_and_saveexec_b32 s4, s1
	s_cbranch_execnz .LBB164_73
.LBB164_38:
	s_or_b32 exec_lo, exec_lo, s4
	s_and_saveexec_b32 s4, s2
	s_cbranch_execnz .LBB164_74
.LBB164_39:
	s_or_b32 exec_lo, exec_lo, s4
	s_and_saveexec_b32 s4, s3
	s_cbranch_execz .LBB164_41
.LBB164_40:
	v_add_nc_u32_e32 v5, v5, v4
	v_mov_b32_e32 v6, 0
	v_bfe_u32 v7, v83, 16, 1
	v_cmp_o_f32_e32 vcc_lo, v83, v83
	v_mov_b32_e32 v8, 0x7fc0
	v_lshlrev_b64 v[5:6], 1, v[5:6]
	v_add3_u32 v7, v83, v7, 0x7fff
	v_cndmask_b32_sdwa v7, v8, v7, vcc_lo dst_sel:DWORD dst_unused:UNUSED_PAD src0_sel:DWORD src1_sel:WORD_1
	s_waitcnt lgkmcnt(0)
	v_add_co_u32 v5, vcc_lo, s12, v5
	v_add_co_ci_u32_e64 v6, null, s13, v6, vcc_lo
	global_store_short v[5:6], v7, off
.LBB164_41:
	s_or_b32 exec_lo, exec_lo, s4
	v_add3_u32 v5, v1, s7, 32
	v_cmp_gt_u32_e32 vcc_lo, s10, v5
	s_and_b32 exec_lo, exec_lo, vcc_lo
	s_cbranch_execz .LBB164_65
; %bb.42:
	v_mul_lo_u32 v5, v5, s14
	s_and_saveexec_b32 s4, s0
	s_cbranch_execnz .LBB164_75
; %bb.43:
	s_or_b32 exec_lo, exec_lo, s4
	s_and_saveexec_b32 s4, s1
	s_cbranch_execnz .LBB164_76
.LBB164_44:
	s_or_b32 exec_lo, exec_lo, s4
	s_and_saveexec_b32 s4, s2
	s_cbranch_execnz .LBB164_77
.LBB164_45:
	s_or_b32 exec_lo, exec_lo, s4
	s_and_saveexec_b32 s4, s3
	s_cbranch_execz .LBB164_47
.LBB164_46:
	v_add_nc_u32_e32 v5, v5, v4
	v_mov_b32_e32 v6, 0
	v_bfe_u32 v7, v79, 16, 1
	v_cmp_o_f32_e32 vcc_lo, v79, v79
	v_mov_b32_e32 v8, 0x7fc0
	v_lshlrev_b64 v[5:6], 1, v[5:6]
	v_add3_u32 v7, v79, v7, 0x7fff
	v_cndmask_b32_sdwa v7, v8, v7, vcc_lo dst_sel:DWORD dst_unused:UNUSED_PAD src0_sel:DWORD src1_sel:WORD_1
	s_waitcnt lgkmcnt(0)
	v_add_co_u32 v5, vcc_lo, s12, v5
	v_add_co_ci_u32_e64 v6, null, s13, v6, vcc_lo
	global_store_short v[5:6], v7, off
.LBB164_47:
	s_or_b32 exec_lo, exec_lo, s4
	v_add3_u32 v5, v1, s7, 40
	v_cmp_gt_u32_e32 vcc_lo, s10, v5
	s_and_b32 exec_lo, exec_lo, vcc_lo
	s_cbranch_execz .LBB164_65
; %bb.48:
	v_mul_lo_u32 v5, v5, s14
	s_and_saveexec_b32 s4, s0
	s_cbranch_execnz .LBB164_78
; %bb.49:
	s_or_b32 exec_lo, exec_lo, s4
	s_and_saveexec_b32 s4, s1
	s_cbranch_execnz .LBB164_79
.LBB164_50:
	s_or_b32 exec_lo, exec_lo, s4
	s_and_saveexec_b32 s4, s2
	s_cbranch_execnz .LBB164_80
.LBB164_51:
	s_or_b32 exec_lo, exec_lo, s4
	s_and_saveexec_b32 s4, s3
	s_cbranch_execz .LBB164_53
.LBB164_52:
	v_add_nc_u32_e32 v5, v5, v4
	v_mov_b32_e32 v6, 0
	v_bfe_u32 v7, v75, 16, 1
	v_cmp_o_f32_e32 vcc_lo, v75, v75
	v_mov_b32_e32 v8, 0x7fc0
	v_lshlrev_b64 v[5:6], 1, v[5:6]
	v_add3_u32 v7, v75, v7, 0x7fff
	v_cndmask_b32_sdwa v7, v8, v7, vcc_lo dst_sel:DWORD dst_unused:UNUSED_PAD src0_sel:DWORD src1_sel:WORD_1
	s_waitcnt lgkmcnt(0)
	v_add_co_u32 v5, vcc_lo, s12, v5
	v_add_co_ci_u32_e64 v6, null, s13, v6, vcc_lo
	global_store_short v[5:6], v7, off
.LBB164_53:
	s_or_b32 exec_lo, exec_lo, s4
	v_add3_u32 v5, v1, s7, 48
	v_cmp_gt_u32_e32 vcc_lo, s10, v5
	s_and_b32 exec_lo, exec_lo, vcc_lo
	s_cbranch_execz .LBB164_65
; %bb.54:
	v_mul_lo_u32 v5, v5, s14
	s_and_saveexec_b32 s4, s0
	s_cbranch_execnz .LBB164_81
; %bb.55:
	s_or_b32 exec_lo, exec_lo, s4
	s_and_saveexec_b32 s4, s1
	s_cbranch_execnz .LBB164_82
.LBB164_56:
	s_or_b32 exec_lo, exec_lo, s4
	s_and_saveexec_b32 s4, s2
	s_cbranch_execnz .LBB164_83
.LBB164_57:
	s_or_b32 exec_lo, exec_lo, s4
	s_and_saveexec_b32 s4, s3
	s_cbranch_execz .LBB164_59
.LBB164_58:
	v_add_nc_u32_e32 v5, v5, v4
	v_mov_b32_e32 v6, 0
	v_bfe_u32 v7, v71, 16, 1
	v_cmp_o_f32_e32 vcc_lo, v71, v71
	v_mov_b32_e32 v8, 0x7fc0
	v_lshlrev_b64 v[5:6], 1, v[5:6]
	v_add3_u32 v7, v71, v7, 0x7fff
	v_cndmask_b32_sdwa v7, v8, v7, vcc_lo dst_sel:DWORD dst_unused:UNUSED_PAD src0_sel:DWORD src1_sel:WORD_1
	s_waitcnt lgkmcnt(0)
	v_add_co_u32 v5, vcc_lo, s12, v5
	v_add_co_ci_u32_e64 v6, null, s13, v6, vcc_lo
	global_store_short v[5:6], v7, off
.LBB164_59:
	s_or_b32 exec_lo, exec_lo, s4
	v_add3_u32 v1, v1, s7, 56
	v_cmp_gt_u32_e32 vcc_lo, s10, v1
	s_and_b32 exec_lo, exec_lo, vcc_lo
	s_cbranch_execz .LBB164_65
; %bb.60:
	v_mul_lo_u32 v1, v1, s14
	s_and_saveexec_b32 s4, s0
	s_cbranch_execnz .LBB164_84
; %bb.61:
	s_or_b32 exec_lo, exec_lo, s4
	s_and_saveexec_b32 s0, s1
	s_cbranch_execnz .LBB164_85
.LBB164_62:
	s_or_b32 exec_lo, exec_lo, s0
	s_and_saveexec_b32 s0, s2
	s_cbranch_execnz .LBB164_86
.LBB164_63:
	s_or_b32 exec_lo, exec_lo, s0
	s_and_b32 exec_lo, exec_lo, s3
	s_cbranch_execz .LBB164_65
.LBB164_64:
	v_add_nc_u32_e32 v0, v1, v4
	v_mov_b32_e32 v1, 0
	v_bfe_u32 v2, v67, 16, 1
	v_cmp_o_f32_e32 vcc_lo, v67, v67
	v_mov_b32_e32 v3, 0x7fc0
	v_lshlrev_b64 v[0:1], 1, v[0:1]
	v_add3_u32 v2, v67, v2, 0x7fff
	v_cndmask_b32_sdwa v2, v3, v2, vcc_lo dst_sel:DWORD dst_unused:UNUSED_PAD src0_sel:DWORD src1_sel:WORD_1
	s_waitcnt lgkmcnt(0)
	v_add_co_u32 v0, vcc_lo, s12, v0
	v_add_co_ci_u32_e64 v1, null, s13, v1, vcc_lo
	global_store_short v[0:1], v2, off
.LBB164_65:
	s_endpgm
.LBB164_66:
	v_add_nc_u32_e32 v6, v5, v0
	v_mov_b32_e32 v7, 0
	v_bfe_u32 v8, v113, 16, 1
	v_cmp_o_f32_e32 vcc_lo, v113, v113
	v_mov_b32_e32 v9, 0x7fc0
	v_lshlrev_b64 v[6:7], 1, v[6:7]
	v_add3_u32 v8, v113, v8, 0x7fff
	v_cndmask_b32_sdwa v8, v9, v8, vcc_lo dst_sel:DWORD dst_unused:UNUSED_PAD src0_sel:DWORD src1_sel:WORD_1
	s_waitcnt lgkmcnt(0)
	v_add_co_u32 v6, vcc_lo, s12, v6
	v_add_co_ci_u32_e64 v7, null, s13, v7, vcc_lo
	global_store_short v[6:7], v8, off
	s_or_b32 exec_lo, exec_lo, s4
	s_and_saveexec_b32 s4, s1
	s_cbranch_execz .LBB164_26
.LBB164_67:
	v_add_nc_u32_e32 v6, v5, v2
	v_mov_b32_e32 v7, 0
	v_bfe_u32 v8, v108, 16, 1
	v_cmp_o_f32_e32 vcc_lo, v108, v108
	v_mov_b32_e32 v9, 0x7fc0
	v_lshlrev_b64 v[6:7], 1, v[6:7]
	v_add3_u32 v8, v108, v8, 0x7fff
	v_cndmask_b32_sdwa v8, v9, v8, vcc_lo dst_sel:DWORD dst_unused:UNUSED_PAD src0_sel:DWORD src1_sel:WORD_1
	s_waitcnt lgkmcnt(0)
	v_add_co_u32 v6, vcc_lo, s12, v6
	v_add_co_ci_u32_e64 v7, null, s13, v7, vcc_lo
	global_store_short v[6:7], v8, off
	s_or_b32 exec_lo, exec_lo, s4
	s_and_saveexec_b32 s4, s2
	s_cbranch_execz .LBB164_27
.LBB164_68:
	v_add_nc_u32_e32 v6, v5, v3
	v_mov_b32_e32 v7, 0
	v_bfe_u32 v8, v104, 16, 1
	v_cmp_o_f32_e32 vcc_lo, v104, v104
	v_mov_b32_e32 v9, 0x7fc0
	v_lshlrev_b64 v[6:7], 1, v[6:7]
	v_add3_u32 v8, v104, v8, 0x7fff
	v_cndmask_b32_sdwa v8, v9, v8, vcc_lo dst_sel:DWORD dst_unused:UNUSED_PAD src0_sel:DWORD src1_sel:WORD_1
	s_waitcnt lgkmcnt(0)
	v_add_co_u32 v6, vcc_lo, s12, v6
	v_add_co_ci_u32_e64 v7, null, s13, v7, vcc_lo
	global_store_short v[6:7], v8, off
	s_or_b32 exec_lo, exec_lo, s4
	s_and_saveexec_b32 s4, s3
	s_cbranch_execnz .LBB164_28
	s_branch .LBB164_29
.LBB164_69:
	v_add_nc_u32_e32 v6, v5, v0
	v_mov_b32_e32 v7, 0
	v_bfe_u32 v8, v93, 16, 1
	v_cmp_o_f32_e32 vcc_lo, v93, v93
	v_mov_b32_e32 v9, 0x7fc0
	v_lshlrev_b64 v[6:7], 1, v[6:7]
	v_add3_u32 v8, v93, v8, 0x7fff
	v_cndmask_b32_sdwa v8, v9, v8, vcc_lo dst_sel:DWORD dst_unused:UNUSED_PAD src0_sel:DWORD src1_sel:WORD_1
	s_waitcnt lgkmcnt(0)
	v_add_co_u32 v6, vcc_lo, s12, v6
	v_add_co_ci_u32_e64 v7, null, s13, v7, vcc_lo
	global_store_short v[6:7], v8, off
	s_or_b32 exec_lo, exec_lo, s4
	s_and_saveexec_b32 s4, s1
	s_cbranch_execz .LBB164_32
.LBB164_70:
	v_add_nc_u32_e32 v6, v5, v2
	v_mov_b32_e32 v7, 0
	v_bfe_u32 v8, v91, 16, 1
	v_cmp_o_f32_e32 vcc_lo, v91, v91
	v_mov_b32_e32 v9, 0x7fc0
	v_lshlrev_b64 v[6:7], 1, v[6:7]
	v_add3_u32 v8, v91, v8, 0x7fff
	v_cndmask_b32_sdwa v8, v9, v8, vcc_lo dst_sel:DWORD dst_unused:UNUSED_PAD src0_sel:DWORD src1_sel:WORD_1
	s_waitcnt lgkmcnt(0)
	v_add_co_u32 v6, vcc_lo, s12, v6
	v_add_co_ci_u32_e64 v7, null, s13, v7, vcc_lo
	global_store_short v[6:7], v8, off
	s_or_b32 exec_lo, exec_lo, s4
	s_and_saveexec_b32 s4, s2
	s_cbranch_execz .LBB164_33
.LBB164_71:
	v_add_nc_u32_e32 v6, v5, v3
	v_mov_b32_e32 v7, 0
	v_bfe_u32 v8, v90, 16, 1
	v_cmp_o_f32_e32 vcc_lo, v90, v90
	v_mov_b32_e32 v9, 0x7fc0
	v_lshlrev_b64 v[6:7], 1, v[6:7]
	v_add3_u32 v8, v90, v8, 0x7fff
	v_cndmask_b32_sdwa v8, v9, v8, vcc_lo dst_sel:DWORD dst_unused:UNUSED_PAD src0_sel:DWORD src1_sel:WORD_1
	s_waitcnt lgkmcnt(0)
	v_add_co_u32 v6, vcc_lo, s12, v6
	v_add_co_ci_u32_e64 v7, null, s13, v7, vcc_lo
	global_store_short v[6:7], v8, off
	s_or_b32 exec_lo, exec_lo, s4
	s_and_saveexec_b32 s4, s3
	s_cbranch_execnz .LBB164_34
	s_branch .LBB164_35
.LBB164_72:
	v_add_nc_u32_e32 v6, v5, v0
	v_mov_b32_e32 v7, 0
	v_bfe_u32 v8, v87, 16, 1
	v_cmp_o_f32_e32 vcc_lo, v87, v87
	v_mov_b32_e32 v9, 0x7fc0
	v_lshlrev_b64 v[6:7], 1, v[6:7]
	v_add3_u32 v8, v87, v8, 0x7fff
	v_cndmask_b32_sdwa v8, v9, v8, vcc_lo dst_sel:DWORD dst_unused:UNUSED_PAD src0_sel:DWORD src1_sel:WORD_1
	s_waitcnt lgkmcnt(0)
	v_add_co_u32 v6, vcc_lo, s12, v6
	v_add_co_ci_u32_e64 v7, null, s13, v7, vcc_lo
	global_store_short v[6:7], v8, off
	s_or_b32 exec_lo, exec_lo, s4
	s_and_saveexec_b32 s4, s1
	s_cbranch_execz .LBB164_38
.LBB164_73:
	v_add_nc_u32_e32 v6, v5, v2
	v_mov_b32_e32 v7, 0
	v_bfe_u32 v8, v85, 16, 1
	v_cmp_o_f32_e32 vcc_lo, v85, v85
	v_mov_b32_e32 v9, 0x7fc0
	v_lshlrev_b64 v[6:7], 1, v[6:7]
	v_add3_u32 v8, v85, v8, 0x7fff
	v_cndmask_b32_sdwa v8, v9, v8, vcc_lo dst_sel:DWORD dst_unused:UNUSED_PAD src0_sel:DWORD src1_sel:WORD_1
	s_waitcnt lgkmcnt(0)
	v_add_co_u32 v6, vcc_lo, s12, v6
	v_add_co_ci_u32_e64 v7, null, s13, v7, vcc_lo
	global_store_short v[6:7], v8, off
	s_or_b32 exec_lo, exec_lo, s4
	s_and_saveexec_b32 s4, s2
	s_cbranch_execz .LBB164_39
.LBB164_74:
	v_add_nc_u32_e32 v6, v5, v3
	v_mov_b32_e32 v7, 0
	v_bfe_u32 v8, v84, 16, 1
	v_cmp_o_f32_e32 vcc_lo, v84, v84
	v_mov_b32_e32 v9, 0x7fc0
	v_lshlrev_b64 v[6:7], 1, v[6:7]
	v_add3_u32 v8, v84, v8, 0x7fff
	v_cndmask_b32_sdwa v8, v9, v8, vcc_lo dst_sel:DWORD dst_unused:UNUSED_PAD src0_sel:DWORD src1_sel:WORD_1
	s_waitcnt lgkmcnt(0)
	v_add_co_u32 v6, vcc_lo, s12, v6
	v_add_co_ci_u32_e64 v7, null, s13, v7, vcc_lo
	global_store_short v[6:7], v8, off
	s_or_b32 exec_lo, exec_lo, s4
	s_and_saveexec_b32 s4, s3
	s_cbranch_execnz .LBB164_40
	s_branch .LBB164_41
.LBB164_75:
	v_add_nc_u32_e32 v6, v5, v0
	v_mov_b32_e32 v7, 0
	v_bfe_u32 v8, v82, 16, 1
	v_cmp_o_f32_e32 vcc_lo, v82, v82
	v_mov_b32_e32 v9, 0x7fc0
	v_lshlrev_b64 v[6:7], 1, v[6:7]
	v_add3_u32 v8, v82, v8, 0x7fff
	v_cndmask_b32_sdwa v8, v9, v8, vcc_lo dst_sel:DWORD dst_unused:UNUSED_PAD src0_sel:DWORD src1_sel:WORD_1
	s_waitcnt lgkmcnt(0)
	v_add_co_u32 v6, vcc_lo, s12, v6
	v_add_co_ci_u32_e64 v7, null, s13, v7, vcc_lo
	global_store_short v[6:7], v8, off
	s_or_b32 exec_lo, exec_lo, s4
	s_and_saveexec_b32 s4, s1
	s_cbranch_execz .LBB164_44
.LBB164_76:
	v_add_nc_u32_e32 v6, v5, v2
	v_mov_b32_e32 v7, 0
	v_bfe_u32 v8, v81, 16, 1
	v_cmp_o_f32_e32 vcc_lo, v81, v81
	v_mov_b32_e32 v9, 0x7fc0
	v_lshlrev_b64 v[6:7], 1, v[6:7]
	v_add3_u32 v8, v81, v8, 0x7fff
	v_cndmask_b32_sdwa v8, v9, v8, vcc_lo dst_sel:DWORD dst_unused:UNUSED_PAD src0_sel:DWORD src1_sel:WORD_1
	s_waitcnt lgkmcnt(0)
	v_add_co_u32 v6, vcc_lo, s12, v6
	v_add_co_ci_u32_e64 v7, null, s13, v7, vcc_lo
	global_store_short v[6:7], v8, off
	s_or_b32 exec_lo, exec_lo, s4
	s_and_saveexec_b32 s4, s2
	s_cbranch_execz .LBB164_45
.LBB164_77:
	v_add_nc_u32_e32 v6, v5, v3
	v_mov_b32_e32 v7, 0
	v_bfe_u32 v8, v80, 16, 1
	v_cmp_o_f32_e32 vcc_lo, v80, v80
	v_mov_b32_e32 v9, 0x7fc0
	v_lshlrev_b64 v[6:7], 1, v[6:7]
	v_add3_u32 v8, v80, v8, 0x7fff
	v_cndmask_b32_sdwa v8, v9, v8, vcc_lo dst_sel:DWORD dst_unused:UNUSED_PAD src0_sel:DWORD src1_sel:WORD_1
	s_waitcnt lgkmcnt(0)
	v_add_co_u32 v6, vcc_lo, s12, v6
	v_add_co_ci_u32_e64 v7, null, s13, v7, vcc_lo
	global_store_short v[6:7], v8, off
	s_or_b32 exec_lo, exec_lo, s4
	s_and_saveexec_b32 s4, s3
	s_cbranch_execnz .LBB164_46
	s_branch .LBB164_47
.LBB164_78:
	v_add_nc_u32_e32 v6, v5, v0
	v_mov_b32_e32 v7, 0
	v_bfe_u32 v8, v78, 16, 1
	v_cmp_o_f32_e32 vcc_lo, v78, v78
	v_mov_b32_e32 v9, 0x7fc0
	v_lshlrev_b64 v[6:7], 1, v[6:7]
	v_add3_u32 v8, v78, v8, 0x7fff
	v_cndmask_b32_sdwa v8, v9, v8, vcc_lo dst_sel:DWORD dst_unused:UNUSED_PAD src0_sel:DWORD src1_sel:WORD_1
	s_waitcnt lgkmcnt(0)
	v_add_co_u32 v6, vcc_lo, s12, v6
	v_add_co_ci_u32_e64 v7, null, s13, v7, vcc_lo
	global_store_short v[6:7], v8, off
	s_or_b32 exec_lo, exec_lo, s4
	s_and_saveexec_b32 s4, s1
	s_cbranch_execz .LBB164_50
.LBB164_79:
	v_add_nc_u32_e32 v6, v5, v2
	v_mov_b32_e32 v7, 0
	v_bfe_u32 v8, v77, 16, 1
	v_cmp_o_f32_e32 vcc_lo, v77, v77
	v_mov_b32_e32 v9, 0x7fc0
	v_lshlrev_b64 v[6:7], 1, v[6:7]
	v_add3_u32 v8, v77, v8, 0x7fff
	v_cndmask_b32_sdwa v8, v9, v8, vcc_lo dst_sel:DWORD dst_unused:UNUSED_PAD src0_sel:DWORD src1_sel:WORD_1
	s_waitcnt lgkmcnt(0)
	v_add_co_u32 v6, vcc_lo, s12, v6
	v_add_co_ci_u32_e64 v7, null, s13, v7, vcc_lo
	global_store_short v[6:7], v8, off
	s_or_b32 exec_lo, exec_lo, s4
	s_and_saveexec_b32 s4, s2
	s_cbranch_execz .LBB164_51
.LBB164_80:
	v_add_nc_u32_e32 v6, v5, v3
	v_mov_b32_e32 v7, 0
	v_bfe_u32 v8, v76, 16, 1
	v_cmp_o_f32_e32 vcc_lo, v76, v76
	v_mov_b32_e32 v9, 0x7fc0
	v_lshlrev_b64 v[6:7], 1, v[6:7]
	v_add3_u32 v8, v76, v8, 0x7fff
	v_cndmask_b32_sdwa v8, v9, v8, vcc_lo dst_sel:DWORD dst_unused:UNUSED_PAD src0_sel:DWORD src1_sel:WORD_1
	s_waitcnt lgkmcnt(0)
	v_add_co_u32 v6, vcc_lo, s12, v6
	v_add_co_ci_u32_e64 v7, null, s13, v7, vcc_lo
	global_store_short v[6:7], v8, off
	s_or_b32 exec_lo, exec_lo, s4
	s_and_saveexec_b32 s4, s3
	s_cbranch_execnz .LBB164_52
	s_branch .LBB164_53
.LBB164_81:
	v_add_nc_u32_e32 v6, v5, v0
	v_mov_b32_e32 v7, 0
	v_bfe_u32 v8, v74, 16, 1
	v_cmp_o_f32_e32 vcc_lo, v74, v74
	v_mov_b32_e32 v9, 0x7fc0
	v_lshlrev_b64 v[6:7], 1, v[6:7]
	v_add3_u32 v8, v74, v8, 0x7fff
	v_cndmask_b32_sdwa v8, v9, v8, vcc_lo dst_sel:DWORD dst_unused:UNUSED_PAD src0_sel:DWORD src1_sel:WORD_1
	s_waitcnt lgkmcnt(0)
	v_add_co_u32 v6, vcc_lo, s12, v6
	v_add_co_ci_u32_e64 v7, null, s13, v7, vcc_lo
	global_store_short v[6:7], v8, off
	s_or_b32 exec_lo, exec_lo, s4
	s_and_saveexec_b32 s4, s1
	s_cbranch_execz .LBB164_56
.LBB164_82:
	v_add_nc_u32_e32 v6, v5, v2
	v_mov_b32_e32 v7, 0
	v_bfe_u32 v8, v73, 16, 1
	v_cmp_o_f32_e32 vcc_lo, v73, v73
	v_mov_b32_e32 v9, 0x7fc0
	v_lshlrev_b64 v[6:7], 1, v[6:7]
	v_add3_u32 v8, v73, v8, 0x7fff
	v_cndmask_b32_sdwa v8, v9, v8, vcc_lo dst_sel:DWORD dst_unused:UNUSED_PAD src0_sel:DWORD src1_sel:WORD_1
	s_waitcnt lgkmcnt(0)
	v_add_co_u32 v6, vcc_lo, s12, v6
	v_add_co_ci_u32_e64 v7, null, s13, v7, vcc_lo
	global_store_short v[6:7], v8, off
	s_or_b32 exec_lo, exec_lo, s4
	s_and_saveexec_b32 s4, s2
	s_cbranch_execz .LBB164_57
.LBB164_83:
	v_add_nc_u32_e32 v6, v5, v3
	v_mov_b32_e32 v7, 0
	v_bfe_u32 v8, v72, 16, 1
	v_cmp_o_f32_e32 vcc_lo, v72, v72
	v_mov_b32_e32 v9, 0x7fc0
	v_lshlrev_b64 v[6:7], 1, v[6:7]
	v_add3_u32 v8, v72, v8, 0x7fff
	v_cndmask_b32_sdwa v8, v9, v8, vcc_lo dst_sel:DWORD dst_unused:UNUSED_PAD src0_sel:DWORD src1_sel:WORD_1
	s_waitcnt lgkmcnt(0)
	v_add_co_u32 v6, vcc_lo, s12, v6
	v_add_co_ci_u32_e64 v7, null, s13, v7, vcc_lo
	global_store_short v[6:7], v8, off
	s_or_b32 exec_lo, exec_lo, s4
	s_and_saveexec_b32 s4, s3
	s_cbranch_execnz .LBB164_58
	s_branch .LBB164_59
.LBB164_84:
	v_add_nc_u32_e32 v5, v1, v0
	v_mov_b32_e32 v6, 0
	v_bfe_u32 v7, v70, 16, 1
	v_cmp_o_f32_e32 vcc_lo, v70, v70
	v_mov_b32_e32 v0, 0x7fc0
	v_lshlrev_b64 v[5:6], 1, v[5:6]
	v_add3_u32 v7, v70, v7, 0x7fff
	v_cndmask_b32_sdwa v0, v0, v7, vcc_lo dst_sel:DWORD dst_unused:UNUSED_PAD src0_sel:DWORD src1_sel:WORD_1
	s_waitcnt lgkmcnt(0)
	v_add_co_u32 v5, vcc_lo, s12, v5
	v_add_co_ci_u32_e64 v6, null, s13, v6, vcc_lo
	global_store_short v[5:6], v0, off
	s_or_b32 exec_lo, exec_lo, s4
	s_and_saveexec_b32 s0, s1
	s_cbranch_execz .LBB164_62
.LBB164_85:
	v_add_nc_u32_e32 v5, v1, v2
	v_mov_b32_e32 v6, 0
	v_bfe_u32 v0, v69, 16, 1
	v_cmp_o_f32_e32 vcc_lo, v69, v69
	v_mov_b32_e32 v2, 0x7fc0
	v_lshlrev_b64 v[5:6], 1, v[5:6]
	v_add3_u32 v0, v69, v0, 0x7fff
	v_cndmask_b32_sdwa v0, v2, v0, vcc_lo dst_sel:DWORD dst_unused:UNUSED_PAD src0_sel:DWORD src1_sel:WORD_1
	s_waitcnt lgkmcnt(0)
	v_add_co_u32 v5, vcc_lo, s12, v5
	v_add_co_ci_u32_e64 v6, null, s13, v6, vcc_lo
	global_store_short v[5:6], v0, off
	s_or_b32 exec_lo, exec_lo, s0
	s_and_saveexec_b32 s0, s2
	s_cbranch_execz .LBB164_63
.LBB164_86:
	v_add_nc_u32_e32 v2, v1, v3
	v_mov_b32_e32 v3, 0
	v_bfe_u32 v0, v68, 16, 1
	v_cmp_o_f32_e32 vcc_lo, v68, v68
	v_mov_b32_e32 v5, 0x7fc0
	v_lshlrev_b64 v[2:3], 1, v[2:3]
	v_add3_u32 v0, v68, v0, 0x7fff
	v_cndmask_b32_sdwa v0, v5, v0, vcc_lo dst_sel:DWORD dst_unused:UNUSED_PAD src0_sel:DWORD src1_sel:WORD_1
	s_waitcnt lgkmcnt(0)
	v_add_co_u32 v2, vcc_lo, s12, v2
	v_add_co_ci_u32_e64 v3, null, s13, v3, vcc_lo
	global_store_short v[2:3], v0, off
	s_or_b32 exec_lo, exec_lo, s0
	s_and_b32 exec_lo, exec_lo, s3
	s_cbranch_execnz .LBB164_64
	s_branch .LBB164_65
	.section	.rodata,"a",@progbits
	.p2align	6, 0x0
	.amdhsa_kernel _ZL12mul_mat_q5_1IN3c108BFloat16ELb1EEvPKvS3_PT_iiiii
		.amdhsa_group_segment_fixed_size 46720
		.amdhsa_private_segment_fixed_size 0
		.amdhsa_kernarg_size 44
		.amdhsa_user_sgpr_count 6
		.amdhsa_user_sgpr_private_segment_buffer 1
		.amdhsa_user_sgpr_dispatch_ptr 0
		.amdhsa_user_sgpr_queue_ptr 0
		.amdhsa_user_sgpr_kernarg_segment_ptr 1
		.amdhsa_user_sgpr_dispatch_id 0
		.amdhsa_user_sgpr_flat_scratch_init 0
		.amdhsa_user_sgpr_private_segment_size 0
		.amdhsa_wavefront_size32 1
		.amdhsa_uses_dynamic_stack 0
		.amdhsa_system_sgpr_private_segment_wavefront_offset 0
		.amdhsa_system_sgpr_workgroup_id_x 1
		.amdhsa_system_sgpr_workgroup_id_y 1
		.amdhsa_system_sgpr_workgroup_id_z 0
		.amdhsa_system_sgpr_workgroup_info 0
		.amdhsa_system_vgpr_workitem_id 1
		.amdhsa_next_free_vgpr 222
		.amdhsa_next_free_sgpr 15
		.amdhsa_reserve_vcc 1
		.amdhsa_reserve_flat_scratch 0
		.amdhsa_float_round_mode_32 0
		.amdhsa_float_round_mode_16_64 0
		.amdhsa_float_denorm_mode_32 3
		.amdhsa_float_denorm_mode_16_64 3
		.amdhsa_dx10_clamp 1
		.amdhsa_ieee_mode 1
		.amdhsa_fp16_overflow 0
		.amdhsa_workgroup_processor_mode 1
		.amdhsa_memory_ordered 1
		.amdhsa_forward_progress 1
		.amdhsa_shared_vgpr_count 0
		.amdhsa_exception_fp_ieee_invalid_op 0
		.amdhsa_exception_fp_denorm_src 0
		.amdhsa_exception_fp_ieee_div_zero 0
		.amdhsa_exception_fp_ieee_overflow 0
		.amdhsa_exception_fp_ieee_underflow 0
		.amdhsa_exception_fp_ieee_inexact 0
		.amdhsa_exception_int_div_zero 0
	.end_amdhsa_kernel
	.section	.text._ZL12mul_mat_q5_1IN3c108BFloat16ELb1EEvPKvS3_PT_iiiii,"axG",@progbits,_ZL12mul_mat_q5_1IN3c108BFloat16ELb1EEvPKvS3_PT_iiiii,comdat
.Lfunc_end164:
	.size	_ZL12mul_mat_q5_1IN3c108BFloat16ELb1EEvPKvS3_PT_iiiii, .Lfunc_end164-_ZL12mul_mat_q5_1IN3c108BFloat16ELb1EEvPKvS3_PT_iiiii
                                        ; -- End function
	.set _ZL12mul_mat_q5_1IN3c108BFloat16ELb1EEvPKvS3_PT_iiiii.num_vgpr, 222
	.set _ZL12mul_mat_q5_1IN3c108BFloat16ELb1EEvPKvS3_PT_iiiii.num_agpr, 0
	.set _ZL12mul_mat_q5_1IN3c108BFloat16ELb1EEvPKvS3_PT_iiiii.numbered_sgpr, 15
	.set _ZL12mul_mat_q5_1IN3c108BFloat16ELb1EEvPKvS3_PT_iiiii.num_named_barrier, 0
	.set _ZL12mul_mat_q5_1IN3c108BFloat16ELb1EEvPKvS3_PT_iiiii.private_seg_size, 0
	.set _ZL12mul_mat_q5_1IN3c108BFloat16ELb1EEvPKvS3_PT_iiiii.uses_vcc, 1
	.set _ZL12mul_mat_q5_1IN3c108BFloat16ELb1EEvPKvS3_PT_iiiii.uses_flat_scratch, 0
	.set _ZL12mul_mat_q5_1IN3c108BFloat16ELb1EEvPKvS3_PT_iiiii.has_dyn_sized_stack, 0
	.set _ZL12mul_mat_q5_1IN3c108BFloat16ELb1EEvPKvS3_PT_iiiii.has_recursion, 0
	.set _ZL12mul_mat_q5_1IN3c108BFloat16ELb1EEvPKvS3_PT_iiiii.has_indirect_call, 0
	.section	.AMDGPU.csdata,"",@progbits
; Kernel info:
; codeLenInByte = 14368
; TotalNumSgprs: 17
; NumVgprs: 222
; ScratchSize: 0
; MemoryBound: 0
; FloatMode: 240
; IeeeMode: 1
; LDSByteSize: 46720 bytes/workgroup (compile time only)
; SGPRBlocks: 0
; VGPRBlocks: 27
; NumSGPRsForWavesPerEU: 17
; NumVGPRsForWavesPerEU: 222
; Occupancy: 4
; WaveLimiterHint : 0
; COMPUTE_PGM_RSRC2:SCRATCH_EN: 0
; COMPUTE_PGM_RSRC2:USER_SGPR: 6
; COMPUTE_PGM_RSRC2:TRAP_HANDLER: 0
; COMPUTE_PGM_RSRC2:TGID_X_EN: 1
; COMPUTE_PGM_RSRC2:TGID_Y_EN: 1
; COMPUTE_PGM_RSRC2:TGID_Z_EN: 0
; COMPUTE_PGM_RSRC2:TIDIG_COMP_CNT: 1
	.section	.text._ZL12mul_mat_q8_0IN3c108BFloat16ELb0EEvPKvS3_PT_iiiii,"axG",@progbits,_ZL12mul_mat_q8_0IN3c108BFloat16ELb0EEvPKvS3_PT_iiiii,comdat
	.globl	_ZL12mul_mat_q8_0IN3c108BFloat16ELb0EEvPKvS3_PT_iiiii ; -- Begin function _ZL12mul_mat_q8_0IN3c108BFloat16ELb0EEvPKvS3_PT_iiiii
	.p2align	8
	.type	_ZL12mul_mat_q8_0IN3c108BFloat16ELb0EEvPKvS3_PT_iiiii,@function
_ZL12mul_mat_q8_0IN3c108BFloat16ELb0EEvPKvS3_PT_iiiii: ; @_ZL12mul_mat_q8_0IN3c108BFloat16ELb0EEvPKvS3_PT_iiiii
; %bb.0:
	s_clause 0x1
	s_load_dword s14, s[4:5], 0x18
	s_load_dwordx4 s[8:11], s[4:5], 0x20
	s_lshl_b32 s7, s7, 6
	v_add_nc_u32_e32 v60, s7, v1
	s_waitcnt lgkmcnt(0)
	s_cmp_gt_i32 s14, 31
	s_cbranch_scc1 .LBB165_2
; %bb.1:
	v_add_nc_u32_e32 v2, s7, v1
	s_mov_b32 s0, 0
	s_branch .LBB165_3
.LBB165_2:
	s_mov_b32 s0, -1
                                        ; implicit-def: $vgpr2
.LBB165_3:
	s_load_dwordx2 s[12:13], s[4:5], 0x10
	v_mov_b32_e32 v40, 0
	v_mov_b32_e32 v44, 0
	;; [unrolled: 1-line block ×32, first 2 shown]
	s_andn2_b32 vcc_lo, exec_lo, s0
	s_lshl_b32 s6, s6, 7
	s_cbranch_vccnz .LBB165_9
; %bb.4:
	s_load_dwordx4 s[0:3], s[4:5], 0x0
	s_ashr_i32 s4, s14, 31
	s_ashr_i32 s5, s9, 31
	s_lshr_b32 s4, s4, 27
	s_lshr_b32 s5, s5, 27
	s_add_i32 s14, s14, s4
	s_add_i32 s5, s9, s5
	s_ashr_i32 s4, s14, 5
	s_ashr_i32 s11, s5, 5
	s_mul_i32 s9, s4, s6
	v_add_nc_u32_e32 v5, 8, v60
	s_mul_i32 s5, s9, 34
	s_mul_hi_i32 s9, s9, 34
	v_mul_lo_u32 v69, s4, v1
	v_lshlrev_b32_e32 v19, 2, v0
	v_cvt_f64_u32_e32 v[5:6], v5
	v_add_nc_u32_e32 v9, 16, v60
	v_add_nc_u32_e32 v11, 24, v60
	;; [unrolled: 1-line block ×4, first 2 shown]
	s_waitcnt lgkmcnt(0)
	s_add_u32 s5, s0, s5
	s_addc_u32 s9, s1, s9
	s_add_i32 s1, s8, -1
	v_add_nc_u32_e32 v17, 48, v60
	v_cvt_f64_i32_e32 v[7:8], s1
	v_add_nc_u32_e32 v20, 56, v60
	s_lshl_b32 s0, s4, 3
	v_cvt_f64_u32_e32 v[3:4], v60
	v_add_nc_u32_e32 v72, s0, v69
	v_cvt_f64_u32_e32 v[9:10], v9
	v_cvt_f64_u32_e32 v[11:12], v11
	;; [unrolled: 1-line block ×5, first 2 shown]
	v_and_b32_e32 v80, 28, v19
	v_mad_u32_u24 v81, 0x84, v1, v19
	v_cvt_f64_u32_e32 v[19:20], v20
	v_add_nc_u32_e32 v73, s0, v72
	v_lshlrev_b32_e32 v21, 3, v1
	v_lshrrev_b32_e32 v22, 2, v0
	v_and_b32_e32 v2, 3, v0
	v_lshrrev_b32_e32 v66, 3, v0
	v_add_nc_u32_e32 v75, s0, v73
	v_and_b32_e32 v23, 31, v0
	v_add_nc_u32_e32 v24, v22, v21
	v_add_nc_u16 v21, v22, v21
	v_min_f64 v[5:6], v[5:6], v[7:8]
	v_add_nc_u32_e32 v76, s0, v75
	v_lshlrev_b32_e32 v22, 2, v2
	v_min_f64 v[3:4], v[3:4], v[7:8]
	v_lshrrev_b16 v21, 1, v21
	v_min_f64 v[9:10], v[9:10], v[7:8]
	v_add_nc_u32_e32 v79, s0, v76
	v_min_f64 v[11:12], v[11:12], v[7:8]
	v_min_f64 v[13:14], v[13:14], v[7:8]
	;; [unrolled: 1-line block ×4, first 2 shown]
	v_add_nc_u32_e32 v82, s0, v79
	v_min_f64 v[7:8], v[19:20], v[7:8]
	v_mul_lo_u32 v88, s4, v24
	v_add_nc_u32_e32 v25, 64, v24
	v_lshlrev_b32_e32 v26, 4, v24
	v_add_nc_u32_e32 v84, s0, v82
	v_and_b32_e32 v24, 63, v24
	v_and_b32_e32 v19, 0x7fc, v21
	v_lshrrev_b32_e32 v20, 1, v25
	v_lshl_or_b32 v23, v23, 2, 0x4200
	v_add_nc_u32_e32 v86, s0, v84
	v_cvt_i32_f64_e32 v5, v[5:6]
	v_or_b32_e32 v21, s7, v24
	v_lshlrev_b32_e32 v25, 4, v25
	v_cvt_i32_f64_e32 v27, v[3:4]
	v_add_nc_u32_e32 v87, s0, v86
	v_cvt_i32_f64_e32 v6, v[9:10]
	v_and_b32_e32 v3, 0xffc, v20
	v_cvt_i32_f64_e32 v10, v[11:12]
	v_cvt_i32_f64_e32 v11, v[13:14]
	v_add_nc_u32_e32 v89, s0, v87
	v_cvt_i32_f64_e32 v12, v[15:16]
	v_cvt_i32_f64_e32 v13, v[17:18]
	;; [unrolled: 1-line block ×3, first 2 shown]
	v_min_i32_e32 v4, s1, v21
	v_add_nc_u32_e32 v90, s0, v89
	v_add3_u32 v15, v3, v22, 0x6200
	v_add_nc_u32_e32 v16, 32, v0
	v_lshl_or_b32 v9, v24, 4, v22
	v_mad_u64_u32 v[3:4], null, v4, s11, v[2:3]
	v_add_nc_u32_e32 v91, s0, v90
	v_add_nc_u32_e32 v4, 0x60, v0
	v_mul_lo_u32 v98, s11, v5
	v_add_nc_u32_e32 v5, 64, v0
	v_lshlrev_b32_e32 v8, 7, v1
	v_add_nc_u32_e32 v92, s0, v91
	v_lshrrev_b32_e32 v4, 1, v4
	v_lshrrev_b32_e32 v16, 1, v16
	;; [unrolled: 1-line block ×3, first 2 shown]
	v_add3_u32 v14, v19, v22, 0x6200
	v_add_nc_u32_e32 v94, s0, v92
	v_add_nc_u32_e32 v96, 0x6a40, v9
	;; [unrolled: 1-line block ×3, first 2 shown]
	v_mul_lo_u32 v99, s11, v6
	v_add_nc_u32_e32 v6, 0x800, v8
	v_mul_lo_u32 v100, s11, v10
	v_add_nc_u32_e32 v10, 0xc00, v8
	v_mul_lo_u32 v101, s11, v11
	v_add_nc_u32_e32 v11, 0x1000, v8
	v_mul_lo_u32 v102, s11, v12
	v_add_nc_u32_e32 v12, 0x1400, v8
	v_mul_lo_u32 v103, s11, v13
	v_add_nc_u32_e32 v13, 0x1800, v8
	v_mul_lo_u32 v104, s11, v7
	v_add_nc_u32_e32 v7, 0x1c00, v8
	v_lshlrev_b32_e32 v17, 4, v0
	v_and_b32_e32 v18, 0xfc, v4
	v_and_b32_e32 v19, 0xfc, v5
	;; [unrolled: 1-line block ×3, first 2 shown]
	v_lshlrev_b32_e32 v20, 2, v66
	v_mul_lo_u32 v97, s11, v27
	v_add_nc_u32_e32 v95, s0, v94
	v_add_co_u32 v4, s0, s2, v80
	v_mov_b32_e32 v62, 0
	v_add_nc_u32_e32 v83, 0x39c0, v81
	v_add_nc_u32_e32 v85, 0x3de0, v81
	v_lshl_add_u32 v93, s4, 6, v88
	v_mul_u32_u24_e32 v105, 0x84, v0
	v_add_co_ci_u32_e64 v5, null, s3, 0, s0
	v_add3_u32 v106, v17, v18, 0x6800
	v_add3_u32 v107, v17, v19, 0x6600
	;; [unrolled: 1-line block ×4, first 2 shown]
	v_lshl_add_u32 v110, v1, 4, 0x6a40
	v_add_nc_u32_e32 v111, 0x4200, v8
	v_add_nc_u32_e32 v112, v14, v26
	;; [unrolled: 1-line block ×11, first 2 shown]
	v_mov_b32_e32 v71, 0
	v_mov_b32_e32 v65, 0
	;; [unrolled: 1-line block ×31, first 2 shown]
	s_mov_b32 s11, 0
.LBB165_5:                              ; =>This Loop Header: Depth=1
                                        ;     Child Loop BB165_6 Depth 2
	s_mul_i32 s0, s11, 34
	s_mul_hi_u32 s1, s11, 34
	s_add_u32 s0, s5, s0
	s_addc_u32 s1, s9, s1
	v_mov_b32_e32 v122, v111
	v_mad_u64_u32 v[6:7], null, v66, 34, s[0:1]
	v_mov_b32_e32 v123, v110
	v_mov_b32_e32 v124, v109
	;; [unrolled: 1-line block ×6, first 2 shown]
	v_mad_u64_u32 v[8:9], null, v69, 34, v[6:7]
	v_add_co_u32 v8, vcc_lo, v8, v80
	v_add_co_ci_u32_e64 v9, null, 0, v9, vcc_lo
	global_load_dword v8, v[8:9], off offset:2
	s_waitcnt vmcnt(0)
	ds_write_b32 v81, v8
	v_mad_u64_u32 v[8:9], null, v72, 34, v[6:7]
	v_add_co_u32 v8, vcc_lo, v8, v80
	v_add_co_ci_u32_e64 v9, null, 0, v9, vcc_lo
	global_load_dword v8, v[8:9], off offset:2
	v_add_nc_u32_e32 v9, 0x420, v81
	s_waitcnt vmcnt(0)
	ds_write_b32 v9, v8
	v_mad_u64_u32 v[8:9], null, v73, 34, v[6:7]
	v_add_co_u32 v8, vcc_lo, v8, v80
	v_add_co_ci_u32_e64 v9, null, 0, v9, vcc_lo
	global_load_dword v8, v[8:9], off offset:2
	v_add_nc_u32_e32 v9, 0x840, v81
	s_waitcnt vmcnt(0)
	ds_write_b32 v9, v8
	v_mad_u64_u32 v[8:9], null, v75, 34, v[6:7]
	v_add_co_u32 v8, vcc_lo, v8, v80
	v_add_co_ci_u32_e64 v9, null, 0, v9, vcc_lo
	global_load_dword v8, v[8:9], off offset:2
	v_add_nc_u32_e32 v9, 0xc60, v81
	s_waitcnt vmcnt(0)
	ds_write_b32 v9, v8
	v_mad_u64_u32 v[8:9], null, v76, 34, v[6:7]
	v_add_co_u32 v8, vcc_lo, v8, v80
	v_add_co_ci_u32_e64 v9, null, 0, v9, vcc_lo
	global_load_dword v8, v[8:9], off offset:2
	v_add_nc_u32_e32 v9, 0x1080, v81
	s_waitcnt vmcnt(0)
	ds_write_b32 v9, v8
	v_mad_u64_u32 v[8:9], null, v79, 34, v[6:7]
	v_add_co_u32 v8, vcc_lo, v8, v80
	v_add_co_ci_u32_e64 v9, null, 0, v9, vcc_lo
	global_load_dword v8, v[8:9], off offset:2
	v_add_nc_u32_e32 v9, 0x14a0, v81
	s_waitcnt vmcnt(0)
	ds_write_b32 v9, v8
	v_mad_u64_u32 v[8:9], null, v82, 34, v[6:7]
	v_add_co_u32 v8, vcc_lo, v8, v80
	v_add_co_ci_u32_e64 v9, null, 0, v9, vcc_lo
	global_load_dword v8, v[8:9], off offset:2
	v_add_nc_u32_e32 v9, 0x18c0, v81
	s_waitcnt vmcnt(0)
	ds_write_b32 v9, v8
	v_mad_u64_u32 v[8:9], null, v84, 34, v[6:7]
	v_add_co_u32 v8, vcc_lo, v8, v80
	v_add_co_ci_u32_e64 v9, null, 0, v9, vcc_lo
	global_load_dword v8, v[8:9], off offset:2
	v_add_nc_u32_e32 v9, 0x1ce0, v81
	s_waitcnt vmcnt(0)
	ds_write_b32 v9, v8
	v_mad_u64_u32 v[8:9], null, v86, 34, v[6:7]
	v_add_co_u32 v8, vcc_lo, v8, v80
	v_add_co_ci_u32_e64 v9, null, 0, v9, vcc_lo
	global_load_dword v8, v[8:9], off offset:2
	v_add_nc_u32_e32 v9, 0x2100, v81
	s_waitcnt vmcnt(0)
	ds_write_b32 v9, v8
	v_mad_u64_u32 v[8:9], null, v87, 34, v[6:7]
	v_add_co_u32 v8, vcc_lo, v8, v80
	v_add_co_ci_u32_e64 v9, null, 0, v9, vcc_lo
	global_load_dword v8, v[8:9], off offset:2
	v_add_nc_u32_e32 v9, 0x2520, v81
	s_waitcnt vmcnt(0)
	ds_write_b32 v9, v8
	v_mad_u64_u32 v[8:9], null, v89, 34, v[6:7]
	v_add_co_u32 v8, vcc_lo, v8, v80
	v_add_co_ci_u32_e64 v9, null, 0, v9, vcc_lo
	global_load_dword v8, v[8:9], off offset:2
	v_add_nc_u32_e32 v9, 0x2940, v81
	s_waitcnt vmcnt(0)
	ds_write_b32 v9, v8
	v_mad_u64_u32 v[8:9], null, v90, 34, v[6:7]
	v_add_co_u32 v8, vcc_lo, v8, v80
	v_add_co_ci_u32_e64 v9, null, 0, v9, vcc_lo
	global_load_dword v8, v[8:9], off offset:2
	v_add_nc_u32_e32 v9, 0x2d60, v81
	s_waitcnt vmcnt(0)
	ds_write_b32 v9, v8
	v_mad_u64_u32 v[8:9], null, v91, 34, v[6:7]
	v_add_co_u32 v8, vcc_lo, v8, v80
	v_add_co_ci_u32_e64 v9, null, 0, v9, vcc_lo
	global_load_dword v8, v[8:9], off offset:2
	v_add_nc_u32_e32 v9, 0x3180, v81
	s_waitcnt vmcnt(0)
	ds_write_b32 v9, v8
	v_mad_u64_u32 v[8:9], null, v92, 34, v[6:7]
	v_add_co_u32 v8, vcc_lo, v8, v80
	v_add_co_ci_u32_e64 v9, null, 0, v9, vcc_lo
	global_load_dword v8, v[8:9], off offset:2
	v_add_nc_u32_e32 v9, 0x35a0, v81
	s_waitcnt vmcnt(0)
	ds_write_b32 v9, v8
	v_mad_u64_u32 v[8:9], null, v94, 34, v[6:7]
	v_mad_u64_u32 v[6:7], null, v95, 34, v[6:7]
	v_add_co_u32 v8, vcc_lo, v8, v80
	v_add_co_ci_u32_e64 v9, null, 0, v9, vcc_lo
	v_add_co_u32 v6, vcc_lo, v6, v80
	v_add_co_ci_u32_e64 v7, null, 0, v7, vcc_lo
	s_clause 0x1
	global_load_dword v8, v[8:9], off offset:2
	global_load_dword v6, v[6:7], off offset:2
	s_waitcnt vmcnt(1)
	ds_write_b32 v83, v8
	s_waitcnt vmcnt(0)
	ds_write_b32 v85, v6
	v_mad_u64_u32 v[6:7], null, v2, 34, s[0:1]
	s_mov_b32 s0, -8
	v_mad_u64_u32 v[8:9], null, v88, 34, v[6:7]
	v_mad_u64_u32 v[6:7], null, v93, 34, v[6:7]
	s_clause 0x1
	global_load_ushort v8, v[8:9], off
	global_load_ushort v6, v[6:7], off
	s_waitcnt vmcnt(1)
	v_cvt_f32_f16_e32 v8, v8
	s_waitcnt vmcnt(0)
	v_cvt_f32_f16_e32 v6, v6
	ds_write_b32 v112, v8
	v_add_nc_u32_e32 v8, s11, v66
	ds_write_b32 v113, v6
	v_add_nc_u32_e32 v6, s11, v3
	v_mad_u64_u32 v[6:7], null, v6, 36, s[2:3]
	global_load_dword v9, v[6:7], off
	v_add_nc_u32_e32 v6, v8, v97
	v_mad_i64_i32 v[6:7], null, v6, 36, v[4:5]
	global_load_dword v6, v[6:7], off offset:4
	s_waitcnt vmcnt(0)
	ds_write_b32 v114, v6
	v_add_nc_u32_e32 v6, v8, v98
	v_mad_i64_i32 v[6:7], null, v6, 36, v[4:5]
	global_load_dword v6, v[6:7], off offset:4
	s_waitcnt vmcnt(0)
	ds_write_b32 v115, v6
	;; [unrolled: 5-line block ×8, first 2 shown]
	v_cvt_f32_f16_e32 v6, v9
	ds_write_b32 v96, v6
	s_waitcnt lgkmcnt(0)
	s_barrier
	buffer_gl0_inv
.LBB165_6:                              ;   Parent Loop BB165_5 Depth=1
                                        ; =>  This Inner Loop Header: Depth=2
	ds_read2_b32 v[38:39], v123 offset1:32
	ds_read_b128 v[34:37], v122
	ds_read_b128 v[133:136], v122 offset:16
	ds_read_b32 v131, v124
	ds_read2_b32 v[8:9], v128 offset1:1
	ds_read2_b32 v[12:13], v128 offset0:2 offset1:3
	ds_read2_b32 v[16:17], v128 offset0:4 offset1:5
	;; [unrolled: 1-line block ×3, first 2 shown]
	v_mov_b32_e32 v6, 0
	v_add_nc_u32_e32 v11, 0x1088, v128
	v_mov_b32_e32 v10, 0
	v_add_nc_u32_e32 v20, 0x2108, v128
	;; [unrolled: 2-line block ×3, first 2 shown]
	v_add_nc_u32_e32 v29, 0x2118, v128
	v_add_nc_u32_e32 v30, 0x3188, v128
	v_mov_b32_e32 v137, 0
	v_add_nc_u32_e32 v124, 4, v124
	s_add_i32 s0, s0, 8
	s_cmp_lt_u32 s0, 24
	s_waitcnt lgkmcnt(4)
	v_mul_f32_e32 v7, v38, v131
	s_waitcnt lgkmcnt(3)
	v_dot4c_i32_i8 v6, v8, v34
	v_mul_f32_e32 v141, v131, v39
	v_dot4c_i32_i8 v6, v9, v35
	s_waitcnt lgkmcnt(2)
	v_dot4c_i32_i8 v6, v12, v36
	v_dot4c_i32_i8 v6, v13, v37
	s_waitcnt lgkmcnt(1)
	v_dot4c_i32_i8 v6, v16, v133
	;; [unrolled: 3-line block ×3, first 2 shown]
	v_dot4c_i32_i8 v6, v23, v136
	v_cvt_f32_i32_e32 v6, v6
	v_fmac_f32_e32 v62, v7, v6
	v_add_nc_u32_e32 v6, 0x1080, v128
	ds_read_b32 v130, v125
	ds_read2_b32 v[6:7], v6 offset1:1
	ds_read2_b32 v[14:15], v11 offset1:1
	v_add_nc_u32_e32 v11, 0x1090, v128
	v_add_nc_u32_e32 v125, 4, v125
	ds_read2_b32 v[18:19], v11 offset1:1
	v_add_nc_u32_e32 v11, 0x1098, v128
	ds_read2_b32 v[24:25], v11 offset1:1
	s_waitcnt lgkmcnt(4)
	v_mul_f32_e32 v11, v38, v130
	s_waitcnt lgkmcnt(3)
	v_dot4c_i32_i8 v10, v6, v34
	v_dot4c_i32_i8 v10, v7, v35
	s_waitcnt lgkmcnt(2)
	v_dot4c_i32_i8 v10, v14, v36
	v_dot4c_i32_i8 v10, v15, v37
	;; [unrolled: 3-line block ×4, first 2 shown]
	v_cvt_f32_i32_e32 v10, v10
	v_fmac_f32_e32 v78, v11, v10
	v_add_nc_u32_e32 v10, 0x2100, v128
	ds_read_b32 v132, v126
	ds_read2_b32 v[10:11], v10 offset1:1
	ds_read2_b32 v[20:21], v20 offset1:1
	;; [unrolled: 1-line block ×4, first 2 shown]
	v_add_nc_u32_e32 v126, 4, v126
	s_waitcnt lgkmcnt(4)
	v_mul_f32_e32 v29, v38, v132
	s_waitcnt lgkmcnt(3)
	v_dot4c_i32_i8 v28, v10, v34
	v_dot4c_i32_i8 v28, v11, v35
	s_waitcnt lgkmcnt(2)
	v_dot4c_i32_i8 v28, v20, v36
	v_dot4c_i32_i8 v28, v21, v37
	s_waitcnt lgkmcnt(1)
	v_dot4c_i32_i8 v28, v26, v133
	v_dot4c_i32_i8 v28, v27, v134
	s_waitcnt lgkmcnt(0)
	v_dot4c_i32_i8 v28, v32, v135
	v_dot4c_i32_i8 v28, v33, v136
	v_cvt_f32_i32_e32 v28, v28
	v_fmac_f32_e32 v77, v29, v28
	v_add_nc_u32_e32 v28, 0x3180, v128
	ds_read_b32 v129, v127
	ds_read2_b32 v[28:29], v28 offset1:1
	ds_read2_b32 v[30:31], v30 offset1:1
	v_add_nc_u32_e32 v127, 4, v127
	s_waitcnt lgkmcnt(2)
	v_mul_f32_e32 v38, v38, v129
	s_waitcnt lgkmcnt(1)
	v_dot4c_i32_i8 v137, v28, v34
	v_add_nc_u32_e32 v34, 0x3190, v128
	v_dot4c_i32_i8 v137, v29, v35
	ds_read2_b32 v[34:35], v34 offset1:1
	s_waitcnt lgkmcnt(1)
	v_dot4c_i32_i8 v137, v30, v36
	v_add_nc_u32_e32 v36, 0x3198, v128
	v_add_nc_u32_e32 v128, 32, v128
	v_dot4c_i32_i8 v137, v31, v37
	ds_read2_b32 v[36:37], v36 offset1:1
	s_waitcnt lgkmcnt(1)
	v_dot4c_i32_i8 v137, v34, v133
	v_dot4c_i32_i8 v137, v35, v134
	s_waitcnt lgkmcnt(0)
	v_dot4c_i32_i8 v137, v36, v135
	v_dot4c_i32_i8 v137, v37, v136
	v_cvt_f32_i32_e32 v133, v137
	v_fmac_f32_e32 v74, v38, v133
	ds_read_b128 v[133:136], v122 offset:1024
	ds_read_b128 v[137:140], v122 offset:1040
	v_mov_b32_e32 v38, 0
	s_waitcnt lgkmcnt(1)
	v_dot4c_i32_i8 v38, v8, v133
	v_dot4c_i32_i8 v38, v9, v134
	;; [unrolled: 1-line block ×4, first 2 shown]
	s_waitcnt lgkmcnt(0)
	v_dot4c_i32_i8 v38, v16, v137
	v_dot4c_i32_i8 v38, v17, v138
	;; [unrolled: 1-line block ×4, first 2 shown]
	v_cvt_f32_i32_e32 v38, v38
	v_fmac_f32_e32 v71, v141, v38
	v_mov_b32_e32 v38, 0
	v_mul_f32_e32 v141, v130, v39
	v_dot4c_i32_i8 v38, v6, v133
	v_dot4c_i32_i8 v38, v7, v134
	;; [unrolled: 1-line block ×8, first 2 shown]
	v_cvt_f32_i32_e32 v38, v38
	v_fmac_f32_e32 v70, v141, v38
	v_mov_b32_e32 v38, 0
	v_mul_f32_e32 v141, v132, v39
	v_mul_f32_e32 v39, v129, v39
	v_dot4c_i32_i8 v38, v10, v133
	v_dot4c_i32_i8 v38, v11, v134
	;; [unrolled: 1-line block ×8, first 2 shown]
	v_cvt_f32_i32_e32 v38, v38
	v_fmac_f32_e32 v68, v141, v38
	v_mov_b32_e32 v38, 0
	v_mov_b32_e32 v141, 0
	v_dot4c_i32_i8 v38, v28, v133
	v_dot4c_i32_i8 v38, v29, v134
	v_dot4c_i32_i8 v38, v30, v135
	v_dot4c_i32_i8 v38, v31, v136
	v_dot4c_i32_i8 v38, v34, v137
	v_dot4c_i32_i8 v38, v35, v138
	v_dot4c_i32_i8 v38, v36, v139
	v_dot4c_i32_i8 v38, v37, v140
	v_cvt_f32_i32_e32 v38, v38
	v_fmac_f32_e32 v67, v39, v38
	ds_read2_b32 v[38:39], v123 offset0:64 offset1:96
	ds_read_b128 v[133:136], v122 offset:2048
	ds_read_b128 v[137:140], v122 offset:2064
	s_waitcnt lgkmcnt(2)
	v_mul_f32_e32 v142, v131, v38
	s_waitcnt lgkmcnt(1)
	v_dot4c_i32_i8 v141, v8, v133
	v_dot4c_i32_i8 v141, v9, v134
	;; [unrolled: 1-line block ×4, first 2 shown]
	s_waitcnt lgkmcnt(0)
	v_dot4c_i32_i8 v141, v16, v137
	v_dot4c_i32_i8 v141, v17, v138
	;; [unrolled: 1-line block ×4, first 2 shown]
	v_cvt_f32_i32_e32 v141, v141
	v_fmac_f32_e32 v65, v142, v141
	v_mov_b32_e32 v141, 0
	v_mul_f32_e32 v142, v130, v38
	v_dot4c_i32_i8 v141, v6, v133
	v_dot4c_i32_i8 v141, v7, v134
	;; [unrolled: 1-line block ×8, first 2 shown]
	v_cvt_f32_i32_e32 v141, v141
	v_fmac_f32_e32 v64, v142, v141
	v_mov_b32_e32 v141, 0
	v_mul_f32_e32 v142, v132, v38
	v_mul_f32_e32 v38, v129, v38
	v_dot4c_i32_i8 v141, v10, v133
	v_dot4c_i32_i8 v141, v11, v134
	;; [unrolled: 1-line block ×8, first 2 shown]
	v_cvt_f32_i32_e32 v141, v141
	v_fmac_f32_e32 v63, v142, v141
	v_mov_b32_e32 v141, 0
	v_dot4c_i32_i8 v141, v28, v133
	v_dot4c_i32_i8 v141, v29, v134
	;; [unrolled: 1-line block ×8, first 2 shown]
	v_cvt_f32_i32_e32 v133, v141
	v_mul_f32_e32 v141, v131, v39
	v_fmac_f32_e32 v61, v38, v133
	ds_read_b128 v[133:136], v122 offset:3072
	ds_read_b128 v[137:140], v122 offset:3088
	v_mov_b32_e32 v38, 0
	s_waitcnt lgkmcnt(1)
	v_dot4c_i32_i8 v38, v8, v133
	v_dot4c_i32_i8 v38, v9, v134
	v_dot4c_i32_i8 v38, v12, v135
	v_dot4c_i32_i8 v38, v13, v136
	s_waitcnt lgkmcnt(0)
	v_dot4c_i32_i8 v38, v16, v137
	v_dot4c_i32_i8 v38, v17, v138
	v_dot4c_i32_i8 v38, v22, v139
	v_dot4c_i32_i8 v38, v23, v140
	v_cvt_f32_i32_e32 v38, v38
	v_fmac_f32_e32 v59, v141, v38
	v_mov_b32_e32 v38, 0
	v_mul_f32_e32 v141, v130, v39
	v_dot4c_i32_i8 v38, v6, v133
	v_dot4c_i32_i8 v38, v7, v134
	;; [unrolled: 1-line block ×8, first 2 shown]
	v_cvt_f32_i32_e32 v38, v38
	v_fmac_f32_e32 v58, v141, v38
	v_mov_b32_e32 v38, 0
	v_mul_f32_e32 v141, v132, v39
	v_mul_f32_e32 v39, v129, v39
	v_dot4c_i32_i8 v38, v10, v133
	v_dot4c_i32_i8 v38, v11, v134
	;; [unrolled: 1-line block ×8, first 2 shown]
	v_cvt_f32_i32_e32 v38, v38
	v_fmac_f32_e32 v57, v141, v38
	v_mov_b32_e32 v38, 0
	v_mov_b32_e32 v141, 0
	v_dot4c_i32_i8 v38, v28, v133
	v_dot4c_i32_i8 v38, v29, v134
	;; [unrolled: 1-line block ×8, first 2 shown]
	v_cvt_f32_i32_e32 v38, v38
	v_fmac_f32_e32 v56, v39, v38
	ds_read2_b32 v[38:39], v123 offset0:128 offset1:160
	ds_read_b128 v[133:136], v122 offset:4096
	ds_read_b128 v[137:140], v122 offset:4112
	s_waitcnt lgkmcnt(2)
	v_mul_f32_e32 v142, v131, v38
	s_waitcnt lgkmcnt(1)
	v_dot4c_i32_i8 v141, v8, v133
	v_dot4c_i32_i8 v141, v9, v134
	;; [unrolled: 1-line block ×4, first 2 shown]
	s_waitcnt lgkmcnt(0)
	v_dot4c_i32_i8 v141, v16, v137
	v_dot4c_i32_i8 v141, v17, v138
	;; [unrolled: 1-line block ×4, first 2 shown]
	v_cvt_f32_i32_e32 v141, v141
	v_fmac_f32_e32 v55, v142, v141
	v_mov_b32_e32 v141, 0
	v_mul_f32_e32 v142, v130, v38
	v_dot4c_i32_i8 v141, v6, v133
	v_dot4c_i32_i8 v141, v7, v134
	;; [unrolled: 1-line block ×8, first 2 shown]
	v_cvt_f32_i32_e32 v141, v141
	v_fmac_f32_e32 v54, v142, v141
	v_mov_b32_e32 v141, 0
	v_mul_f32_e32 v142, v132, v38
	v_mul_f32_e32 v38, v129, v38
	v_dot4c_i32_i8 v141, v10, v133
	v_dot4c_i32_i8 v141, v11, v134
	;; [unrolled: 1-line block ×8, first 2 shown]
	v_cvt_f32_i32_e32 v141, v141
	v_fmac_f32_e32 v53, v142, v141
	v_mov_b32_e32 v141, 0
	v_dot4c_i32_i8 v141, v28, v133
	v_dot4c_i32_i8 v141, v29, v134
	;; [unrolled: 1-line block ×8, first 2 shown]
	v_cvt_f32_i32_e32 v133, v141
	v_mul_f32_e32 v141, v131, v39
	v_fmac_f32_e32 v52, v38, v133
	ds_read_b128 v[133:136], v122 offset:5120
	ds_read_b128 v[137:140], v122 offset:5136
	v_mov_b32_e32 v38, 0
	s_waitcnt lgkmcnt(1)
	v_dot4c_i32_i8 v38, v8, v133
	v_dot4c_i32_i8 v38, v9, v134
	;; [unrolled: 1-line block ×4, first 2 shown]
	s_waitcnt lgkmcnt(0)
	v_dot4c_i32_i8 v38, v16, v137
	v_dot4c_i32_i8 v38, v17, v138
	;; [unrolled: 1-line block ×4, first 2 shown]
	v_cvt_f32_i32_e32 v38, v38
	v_fmac_f32_e32 v51, v141, v38
	v_mov_b32_e32 v38, 0
	v_mul_f32_e32 v141, v130, v39
	v_dot4c_i32_i8 v38, v6, v133
	v_dot4c_i32_i8 v38, v7, v134
	;; [unrolled: 1-line block ×8, first 2 shown]
	v_cvt_f32_i32_e32 v38, v38
	v_fmac_f32_e32 v50, v141, v38
	v_mov_b32_e32 v38, 0
	v_mul_f32_e32 v141, v132, v39
	v_mul_f32_e32 v39, v129, v39
	v_dot4c_i32_i8 v38, v10, v133
	v_dot4c_i32_i8 v38, v11, v134
	;; [unrolled: 1-line block ×8, first 2 shown]
	v_cvt_f32_i32_e32 v38, v38
	v_fmac_f32_e32 v49, v141, v38
	v_mov_b32_e32 v38, 0
	v_mov_b32_e32 v141, 0
	v_dot4c_i32_i8 v38, v28, v133
	v_dot4c_i32_i8 v38, v29, v134
	;; [unrolled: 1-line block ×8, first 2 shown]
	v_cvt_f32_i32_e32 v38, v38
	v_fmac_f32_e32 v48, v39, v38
	ds_read2_b32 v[38:39], v123 offset0:192 offset1:224
	ds_read_b128 v[133:136], v122 offset:6144
	ds_read_b128 v[137:140], v122 offset:6160
	v_add_nc_u32_e32 v123, 4, v123
	s_waitcnt lgkmcnt(2)
	v_mul_f32_e32 v142, v131, v38
	s_waitcnt lgkmcnt(1)
	v_dot4c_i32_i8 v141, v8, v133
	v_dot4c_i32_i8 v141, v9, v134
	;; [unrolled: 1-line block ×4, first 2 shown]
	s_waitcnt lgkmcnt(0)
	v_dot4c_i32_i8 v141, v16, v137
	v_dot4c_i32_i8 v141, v17, v138
	;; [unrolled: 1-line block ×4, first 2 shown]
	v_cvt_f32_i32_e32 v141, v141
	v_fmac_f32_e32 v47, v142, v141
	v_mov_b32_e32 v141, 0
	v_mul_f32_e32 v142, v130, v38
	v_dot4c_i32_i8 v141, v6, v133
	v_dot4c_i32_i8 v141, v7, v134
	;; [unrolled: 1-line block ×8, first 2 shown]
	v_cvt_f32_i32_e32 v141, v141
	v_fmac_f32_e32 v46, v142, v141
	v_mov_b32_e32 v141, 0
	v_mul_f32_e32 v142, v132, v38
	v_mul_f32_e32 v38, v129, v38
	v_dot4c_i32_i8 v141, v10, v133
	v_dot4c_i32_i8 v141, v11, v134
	;; [unrolled: 1-line block ×8, first 2 shown]
	v_cvt_f32_i32_e32 v141, v141
	v_fmac_f32_e32 v45, v142, v141
	v_mov_b32_e32 v141, 0
	v_dot4c_i32_i8 v141, v28, v133
	v_dot4c_i32_i8 v141, v29, v134
	;; [unrolled: 1-line block ×8, first 2 shown]
	v_cvt_f32_i32_e32 v133, v141
	v_fmac_f32_e32 v44, v38, v133
	ds_read_b128 v[133:136], v122 offset:7168
	ds_read_b128 v[137:140], v122 offset:7184
	v_mov_b32_e32 v38, 0
	v_add_nc_u32_e32 v122, 32, v122
	s_waitcnt lgkmcnt(1)
	v_dot4c_i32_i8 v38, v8, v133
	v_mul_f32_e32 v8, v131, v39
	v_dot4c_i32_i8 v38, v9, v134
	v_dot4c_i32_i8 v38, v12, v135
	;; [unrolled: 1-line block ×3, first 2 shown]
	s_waitcnt lgkmcnt(0)
	v_dot4c_i32_i8 v38, v16, v137
	v_dot4c_i32_i8 v38, v17, v138
	;; [unrolled: 1-line block ×4, first 2 shown]
	v_cvt_f32_i32_e32 v9, v38
	v_fmac_f32_e32 v43, v8, v9
	v_mov_b32_e32 v8, 0
	v_dot4c_i32_i8 v8, v6, v133
	v_mul_f32_e32 v6, v130, v39
	v_dot4c_i32_i8 v8, v7, v134
	v_dot4c_i32_i8 v8, v14, v135
	v_dot4c_i32_i8 v8, v15, v136
	v_dot4c_i32_i8 v8, v18, v137
	v_dot4c_i32_i8 v8, v19, v138
	v_dot4c_i32_i8 v8, v24, v139
	v_dot4c_i32_i8 v8, v25, v140
	v_cvt_f32_i32_e32 v7, v8
	v_fmac_f32_e32 v42, v6, v7
	v_mov_b32_e32 v6, 0
	v_mul_f32_e32 v7, v132, v39
	v_dot4c_i32_i8 v6, v10, v133
	v_dot4c_i32_i8 v6, v11, v134
	;; [unrolled: 1-line block ×8, first 2 shown]
	v_cvt_f32_i32_e32 v6, v6
	v_fmac_f32_e32 v41, v7, v6
	v_mov_b32_e32 v6, 0
	v_mul_f32_e32 v7, v129, v39
	v_dot4c_i32_i8 v6, v28, v133
	v_dot4c_i32_i8 v6, v29, v134
	;; [unrolled: 1-line block ×8, first 2 shown]
	v_cvt_f32_i32_e32 v6, v6
	v_fmac_f32_e32 v40, v7, v6
	s_cbranch_scc1 .LBB165_6
; %bb.7:                                ;   in Loop: Header=BB165_5 Depth=1
	s_add_i32 s11, s11, 4
	s_cmp_ge_i32 s11, s4
	s_barrier
	buffer_gl0_inv
	s_cbranch_scc0 .LBB165_5
; %bb.8:
	v_mov_b32_e32 v2, v60
.LBB165_9:
	s_mov_b32 s0, exec_lo
	v_cmpx_gt_u32_e64 s8, v2
	s_cbranch_execz .LBB165_60
; %bb.10:
	v_add_nc_u32_e32 v0, s6, v0
	v_mul_lo_u32 v5, v2, s10
	v_cmp_gt_u32_e64 s0, s10, v0
	s_and_saveexec_b32 s1, s0
	s_cbranch_execz .LBB165_12
; %bb.11:
	v_add_nc_u32_e32 v2, v0, v5
	v_mov_b32_e32 v3, 0
	v_bfe_u32 v4, v62, 16, 1
	v_cmp_o_f32_e32 vcc_lo, v62, v62
	v_mov_b32_e32 v6, 0x7fc0
	v_lshlrev_b64 v[2:3], 1, v[2:3]
	v_add3_u32 v4, v62, v4, 0x7fff
	v_cndmask_b32_sdwa v4, v6, v4, vcc_lo dst_sel:DWORD dst_unused:UNUSED_PAD src0_sel:DWORD src1_sel:WORD_1
	s_waitcnt lgkmcnt(0)
	v_add_co_u32 v2, vcc_lo, s12, v2
	v_add_co_ci_u32_e64 v3, null, s13, v3, vcc_lo
	global_store_short v[2:3], v4, off
.LBB165_12:
	s_or_b32 exec_lo, exec_lo, s1
	v_add_nc_u32_e32 v2, 32, v0
	v_cmp_gt_u32_e64 s1, s10, v2
	s_and_saveexec_b32 s2, s1
	s_cbranch_execz .LBB165_14
; %bb.13:
	v_add_nc_u32_e32 v3, v2, v5
	v_mov_b32_e32 v4, 0
	v_bfe_u32 v6, v78, 16, 1
	v_cmp_o_f32_e32 vcc_lo, v78, v78
	v_mov_b32_e32 v7, 0x7fc0
	v_lshlrev_b64 v[3:4], 1, v[3:4]
	v_add3_u32 v6, v78, v6, 0x7fff
	v_cndmask_b32_sdwa v6, v7, v6, vcc_lo dst_sel:DWORD dst_unused:UNUSED_PAD src0_sel:DWORD src1_sel:WORD_1
	s_waitcnt lgkmcnt(0)
	v_add_co_u32 v3, vcc_lo, s12, v3
	v_add_co_ci_u32_e64 v4, null, s13, v4, vcc_lo
	global_store_short v[3:4], v6, off
.LBB165_14:
	s_or_b32 exec_lo, exec_lo, s2
	v_add_nc_u32_e32 v3, 64, v0
	;; [unrolled: 19-line block ×3, first 2 shown]
	v_cmp_gt_u32_e64 s3, s10, v4
	s_and_saveexec_b32 s4, s3
	s_cbranch_execz .LBB165_18
; %bb.17:
	v_add_nc_u32_e32 v5, v4, v5
	v_mov_b32_e32 v6, 0
	v_bfe_u32 v7, v74, 16, 1
	v_cmp_o_f32_e32 vcc_lo, v74, v74
	v_mov_b32_e32 v8, 0x7fc0
	v_lshlrev_b64 v[5:6], 1, v[5:6]
	v_add3_u32 v7, v74, v7, 0x7fff
	v_cndmask_b32_sdwa v7, v8, v7, vcc_lo dst_sel:DWORD dst_unused:UNUSED_PAD src0_sel:DWORD src1_sel:WORD_1
	s_waitcnt lgkmcnt(0)
	v_add_co_u32 v5, vcc_lo, s12, v5
	v_add_co_ci_u32_e64 v6, null, s13, v6, vcc_lo
	global_store_short v[5:6], v7, off
.LBB165_18:
	s_or_b32 exec_lo, exec_lo, s4
	v_add3_u32 v5, v1, s7, 8
	v_cmp_gt_u32_e32 vcc_lo, s8, v5
	s_and_b32 exec_lo, exec_lo, vcc_lo
	s_cbranch_execz .LBB165_60
; %bb.19:
	v_mul_lo_u32 v5, v5, s10
	s_and_saveexec_b32 s4, s0
	s_cbranch_execnz .LBB165_61
; %bb.20:
	s_or_b32 exec_lo, exec_lo, s4
	s_and_saveexec_b32 s4, s1
	s_cbranch_execnz .LBB165_62
.LBB165_21:
	s_or_b32 exec_lo, exec_lo, s4
	s_and_saveexec_b32 s4, s2
	s_cbranch_execnz .LBB165_63
.LBB165_22:
	s_or_b32 exec_lo, exec_lo, s4
	s_and_saveexec_b32 s4, s3
	s_cbranch_execz .LBB165_24
.LBB165_23:
	v_add_nc_u32_e32 v5, v5, v4
	v_mov_b32_e32 v6, 0
	v_bfe_u32 v7, v67, 16, 1
	v_cmp_o_f32_e32 vcc_lo, v67, v67
	v_mov_b32_e32 v8, 0x7fc0
	v_lshlrev_b64 v[5:6], 1, v[5:6]
	v_add3_u32 v7, v67, v7, 0x7fff
	v_cndmask_b32_sdwa v7, v8, v7, vcc_lo dst_sel:DWORD dst_unused:UNUSED_PAD src0_sel:DWORD src1_sel:WORD_1
	s_waitcnt lgkmcnt(0)
	v_add_co_u32 v5, vcc_lo, s12, v5
	v_add_co_ci_u32_e64 v6, null, s13, v6, vcc_lo
	global_store_short v[5:6], v7, off
.LBB165_24:
	s_or_b32 exec_lo, exec_lo, s4
	v_add3_u32 v5, v1, s7, 16
	v_cmp_gt_u32_e32 vcc_lo, s8, v5
	s_and_b32 exec_lo, exec_lo, vcc_lo
	s_cbranch_execz .LBB165_60
; %bb.25:
	v_mul_lo_u32 v5, v5, s10
	s_and_saveexec_b32 s4, s0
	s_cbranch_execnz .LBB165_64
; %bb.26:
	s_or_b32 exec_lo, exec_lo, s4
	s_and_saveexec_b32 s4, s1
	s_cbranch_execnz .LBB165_65
.LBB165_27:
	s_or_b32 exec_lo, exec_lo, s4
	s_and_saveexec_b32 s4, s2
	s_cbranch_execnz .LBB165_66
.LBB165_28:
	s_or_b32 exec_lo, exec_lo, s4
	s_and_saveexec_b32 s4, s3
	s_cbranch_execz .LBB165_30
.LBB165_29:
	v_add_nc_u32_e32 v5, v5, v4
	v_mov_b32_e32 v6, 0
	v_bfe_u32 v7, v61, 16, 1
	v_cmp_o_f32_e32 vcc_lo, v61, v61
	v_mov_b32_e32 v8, 0x7fc0
	v_lshlrev_b64 v[5:6], 1, v[5:6]
	v_add3_u32 v7, v61, v7, 0x7fff
	v_cndmask_b32_sdwa v7, v8, v7, vcc_lo dst_sel:DWORD dst_unused:UNUSED_PAD src0_sel:DWORD src1_sel:WORD_1
	s_waitcnt lgkmcnt(0)
	v_add_co_u32 v5, vcc_lo, s12, v5
	v_add_co_ci_u32_e64 v6, null, s13, v6, vcc_lo
	global_store_short v[5:6], v7, off
.LBB165_30:
	s_or_b32 exec_lo, exec_lo, s4
	v_add3_u32 v5, v1, s7, 24
	v_cmp_gt_u32_e32 vcc_lo, s8, v5
	s_and_b32 exec_lo, exec_lo, vcc_lo
	s_cbranch_execz .LBB165_60
; %bb.31:
	v_mul_lo_u32 v5, v5, s10
	s_and_saveexec_b32 s4, s0
	s_cbranch_execnz .LBB165_67
; %bb.32:
	s_or_b32 exec_lo, exec_lo, s4
	s_and_saveexec_b32 s4, s1
	s_cbranch_execnz .LBB165_68
.LBB165_33:
	s_or_b32 exec_lo, exec_lo, s4
	s_and_saveexec_b32 s4, s2
	s_cbranch_execnz .LBB165_69
.LBB165_34:
	s_or_b32 exec_lo, exec_lo, s4
	s_and_saveexec_b32 s4, s3
	s_cbranch_execz .LBB165_36
.LBB165_35:
	v_add_nc_u32_e32 v5, v5, v4
	v_mov_b32_e32 v6, 0
	v_bfe_u32 v7, v56, 16, 1
	v_cmp_o_f32_e32 vcc_lo, v56, v56
	v_mov_b32_e32 v8, 0x7fc0
	v_lshlrev_b64 v[5:6], 1, v[5:6]
	v_add3_u32 v7, v56, v7, 0x7fff
	v_cndmask_b32_sdwa v7, v8, v7, vcc_lo dst_sel:DWORD dst_unused:UNUSED_PAD src0_sel:DWORD src1_sel:WORD_1
	s_waitcnt lgkmcnt(0)
	v_add_co_u32 v5, vcc_lo, s12, v5
	v_add_co_ci_u32_e64 v6, null, s13, v6, vcc_lo
	global_store_short v[5:6], v7, off
.LBB165_36:
	s_or_b32 exec_lo, exec_lo, s4
	v_add3_u32 v5, v1, s7, 32
	v_cmp_gt_u32_e32 vcc_lo, s8, v5
	s_and_b32 exec_lo, exec_lo, vcc_lo
	s_cbranch_execz .LBB165_60
; %bb.37:
	v_mul_lo_u32 v5, v5, s10
	s_and_saveexec_b32 s4, s0
	s_cbranch_execnz .LBB165_70
; %bb.38:
	s_or_b32 exec_lo, exec_lo, s4
	s_and_saveexec_b32 s4, s1
	s_cbranch_execnz .LBB165_71
.LBB165_39:
	s_or_b32 exec_lo, exec_lo, s4
	s_and_saveexec_b32 s4, s2
	s_cbranch_execnz .LBB165_72
.LBB165_40:
	s_or_b32 exec_lo, exec_lo, s4
	s_and_saveexec_b32 s4, s3
	s_cbranch_execz .LBB165_42
.LBB165_41:
	v_add_nc_u32_e32 v5, v5, v4
	v_mov_b32_e32 v6, 0
	v_bfe_u32 v7, v52, 16, 1
	v_cmp_o_f32_e32 vcc_lo, v52, v52
	v_mov_b32_e32 v8, 0x7fc0
	v_lshlrev_b64 v[5:6], 1, v[5:6]
	v_add3_u32 v7, v52, v7, 0x7fff
	v_cndmask_b32_sdwa v7, v8, v7, vcc_lo dst_sel:DWORD dst_unused:UNUSED_PAD src0_sel:DWORD src1_sel:WORD_1
	s_waitcnt lgkmcnt(0)
	v_add_co_u32 v5, vcc_lo, s12, v5
	v_add_co_ci_u32_e64 v6, null, s13, v6, vcc_lo
	global_store_short v[5:6], v7, off
.LBB165_42:
	s_or_b32 exec_lo, exec_lo, s4
	v_add3_u32 v5, v1, s7, 40
	v_cmp_gt_u32_e32 vcc_lo, s8, v5
	s_and_b32 exec_lo, exec_lo, vcc_lo
	s_cbranch_execz .LBB165_60
; %bb.43:
	v_mul_lo_u32 v5, v5, s10
	s_and_saveexec_b32 s4, s0
	s_cbranch_execnz .LBB165_73
; %bb.44:
	s_or_b32 exec_lo, exec_lo, s4
	s_and_saveexec_b32 s4, s1
	s_cbranch_execnz .LBB165_74
.LBB165_45:
	s_or_b32 exec_lo, exec_lo, s4
	s_and_saveexec_b32 s4, s2
	s_cbranch_execnz .LBB165_75
.LBB165_46:
	s_or_b32 exec_lo, exec_lo, s4
	s_and_saveexec_b32 s4, s3
	s_cbranch_execz .LBB165_48
.LBB165_47:
	v_add_nc_u32_e32 v5, v5, v4
	v_mov_b32_e32 v6, 0
	v_bfe_u32 v7, v48, 16, 1
	v_cmp_o_f32_e32 vcc_lo, v48, v48
	v_mov_b32_e32 v8, 0x7fc0
	v_lshlrev_b64 v[5:6], 1, v[5:6]
	v_add3_u32 v7, v48, v7, 0x7fff
	v_cndmask_b32_sdwa v7, v8, v7, vcc_lo dst_sel:DWORD dst_unused:UNUSED_PAD src0_sel:DWORD src1_sel:WORD_1
	s_waitcnt lgkmcnt(0)
	v_add_co_u32 v5, vcc_lo, s12, v5
	v_add_co_ci_u32_e64 v6, null, s13, v6, vcc_lo
	global_store_short v[5:6], v7, off
.LBB165_48:
	s_or_b32 exec_lo, exec_lo, s4
	v_add3_u32 v5, v1, s7, 48
	v_cmp_gt_u32_e32 vcc_lo, s8, v5
	s_and_b32 exec_lo, exec_lo, vcc_lo
	s_cbranch_execz .LBB165_60
; %bb.49:
	v_mul_lo_u32 v5, v5, s10
	s_and_saveexec_b32 s4, s0
	s_cbranch_execnz .LBB165_76
; %bb.50:
	s_or_b32 exec_lo, exec_lo, s4
	s_and_saveexec_b32 s4, s1
	s_cbranch_execnz .LBB165_77
.LBB165_51:
	s_or_b32 exec_lo, exec_lo, s4
	s_and_saveexec_b32 s4, s2
	s_cbranch_execnz .LBB165_78
.LBB165_52:
	s_or_b32 exec_lo, exec_lo, s4
	s_and_saveexec_b32 s4, s3
	s_cbranch_execz .LBB165_54
.LBB165_53:
	v_add_nc_u32_e32 v5, v5, v4
	v_mov_b32_e32 v6, 0
	v_bfe_u32 v7, v44, 16, 1
	v_cmp_o_f32_e32 vcc_lo, v44, v44
	v_mov_b32_e32 v8, 0x7fc0
	v_lshlrev_b64 v[5:6], 1, v[5:6]
	v_add3_u32 v7, v44, v7, 0x7fff
	v_cndmask_b32_sdwa v7, v8, v7, vcc_lo dst_sel:DWORD dst_unused:UNUSED_PAD src0_sel:DWORD src1_sel:WORD_1
	s_waitcnt lgkmcnt(0)
	v_add_co_u32 v5, vcc_lo, s12, v5
	v_add_co_ci_u32_e64 v6, null, s13, v6, vcc_lo
	global_store_short v[5:6], v7, off
.LBB165_54:
	s_or_b32 exec_lo, exec_lo, s4
	v_add3_u32 v1, v1, s7, 56
	v_cmp_gt_u32_e32 vcc_lo, s8, v1
	s_and_b32 exec_lo, exec_lo, vcc_lo
	s_cbranch_execz .LBB165_60
; %bb.55:
	v_mul_lo_u32 v1, v1, s10
	s_and_saveexec_b32 s4, s0
	s_cbranch_execnz .LBB165_79
; %bb.56:
	s_or_b32 exec_lo, exec_lo, s4
	s_and_saveexec_b32 s0, s1
	s_cbranch_execnz .LBB165_80
.LBB165_57:
	s_or_b32 exec_lo, exec_lo, s0
	s_and_saveexec_b32 s0, s2
	s_cbranch_execnz .LBB165_81
.LBB165_58:
	s_or_b32 exec_lo, exec_lo, s0
	s_and_b32 exec_lo, exec_lo, s3
	s_cbranch_execz .LBB165_60
.LBB165_59:
	v_add_nc_u32_e32 v0, v1, v4
	v_mov_b32_e32 v1, 0
	v_bfe_u32 v2, v40, 16, 1
	v_cmp_o_f32_e32 vcc_lo, v40, v40
	v_mov_b32_e32 v3, 0x7fc0
	v_lshlrev_b64 v[0:1], 1, v[0:1]
	v_add3_u32 v2, v40, v2, 0x7fff
	v_cndmask_b32_sdwa v2, v3, v2, vcc_lo dst_sel:DWORD dst_unused:UNUSED_PAD src0_sel:DWORD src1_sel:WORD_1
	s_waitcnt lgkmcnt(0)
	v_add_co_u32 v0, vcc_lo, s12, v0
	v_add_co_ci_u32_e64 v1, null, s13, v1, vcc_lo
	global_store_short v[0:1], v2, off
.LBB165_60:
	s_endpgm
.LBB165_61:
	v_add_nc_u32_e32 v6, v5, v0
	v_mov_b32_e32 v7, 0
	v_bfe_u32 v8, v71, 16, 1
	v_cmp_o_f32_e32 vcc_lo, v71, v71
	v_mov_b32_e32 v9, 0x7fc0
	v_lshlrev_b64 v[6:7], 1, v[6:7]
	v_add3_u32 v8, v71, v8, 0x7fff
	v_cndmask_b32_sdwa v8, v9, v8, vcc_lo dst_sel:DWORD dst_unused:UNUSED_PAD src0_sel:DWORD src1_sel:WORD_1
	s_waitcnt lgkmcnt(0)
	v_add_co_u32 v6, vcc_lo, s12, v6
	v_add_co_ci_u32_e64 v7, null, s13, v7, vcc_lo
	global_store_short v[6:7], v8, off
	s_or_b32 exec_lo, exec_lo, s4
	s_and_saveexec_b32 s4, s1
	s_cbranch_execz .LBB165_21
.LBB165_62:
	v_add_nc_u32_e32 v6, v5, v2
	v_mov_b32_e32 v7, 0
	v_bfe_u32 v8, v70, 16, 1
	v_cmp_o_f32_e32 vcc_lo, v70, v70
	v_mov_b32_e32 v9, 0x7fc0
	v_lshlrev_b64 v[6:7], 1, v[6:7]
	v_add3_u32 v8, v70, v8, 0x7fff
	v_cndmask_b32_sdwa v8, v9, v8, vcc_lo dst_sel:DWORD dst_unused:UNUSED_PAD src0_sel:DWORD src1_sel:WORD_1
	s_waitcnt lgkmcnt(0)
	v_add_co_u32 v6, vcc_lo, s12, v6
	v_add_co_ci_u32_e64 v7, null, s13, v7, vcc_lo
	global_store_short v[6:7], v8, off
	s_or_b32 exec_lo, exec_lo, s4
	s_and_saveexec_b32 s4, s2
	s_cbranch_execz .LBB165_22
.LBB165_63:
	v_add_nc_u32_e32 v6, v5, v3
	v_mov_b32_e32 v7, 0
	v_bfe_u32 v8, v68, 16, 1
	v_cmp_o_f32_e32 vcc_lo, v68, v68
	v_mov_b32_e32 v9, 0x7fc0
	v_lshlrev_b64 v[6:7], 1, v[6:7]
	v_add3_u32 v8, v68, v8, 0x7fff
	v_cndmask_b32_sdwa v8, v9, v8, vcc_lo dst_sel:DWORD dst_unused:UNUSED_PAD src0_sel:DWORD src1_sel:WORD_1
	s_waitcnt lgkmcnt(0)
	v_add_co_u32 v6, vcc_lo, s12, v6
	v_add_co_ci_u32_e64 v7, null, s13, v7, vcc_lo
	global_store_short v[6:7], v8, off
	s_or_b32 exec_lo, exec_lo, s4
	s_and_saveexec_b32 s4, s3
	s_cbranch_execnz .LBB165_23
	s_branch .LBB165_24
.LBB165_64:
	v_add_nc_u32_e32 v6, v5, v0
	v_mov_b32_e32 v7, 0
	v_bfe_u32 v8, v65, 16, 1
	v_cmp_o_f32_e32 vcc_lo, v65, v65
	v_mov_b32_e32 v9, 0x7fc0
	v_lshlrev_b64 v[6:7], 1, v[6:7]
	v_add3_u32 v8, v65, v8, 0x7fff
	v_cndmask_b32_sdwa v8, v9, v8, vcc_lo dst_sel:DWORD dst_unused:UNUSED_PAD src0_sel:DWORD src1_sel:WORD_1
	s_waitcnt lgkmcnt(0)
	v_add_co_u32 v6, vcc_lo, s12, v6
	v_add_co_ci_u32_e64 v7, null, s13, v7, vcc_lo
	global_store_short v[6:7], v8, off
	s_or_b32 exec_lo, exec_lo, s4
	s_and_saveexec_b32 s4, s1
	s_cbranch_execz .LBB165_27
.LBB165_65:
	v_add_nc_u32_e32 v6, v5, v2
	v_mov_b32_e32 v7, 0
	v_bfe_u32 v8, v64, 16, 1
	v_cmp_o_f32_e32 vcc_lo, v64, v64
	v_mov_b32_e32 v9, 0x7fc0
	v_lshlrev_b64 v[6:7], 1, v[6:7]
	v_add3_u32 v8, v64, v8, 0x7fff
	v_cndmask_b32_sdwa v8, v9, v8, vcc_lo dst_sel:DWORD dst_unused:UNUSED_PAD src0_sel:DWORD src1_sel:WORD_1
	s_waitcnt lgkmcnt(0)
	v_add_co_u32 v6, vcc_lo, s12, v6
	v_add_co_ci_u32_e64 v7, null, s13, v7, vcc_lo
	global_store_short v[6:7], v8, off
	s_or_b32 exec_lo, exec_lo, s4
	s_and_saveexec_b32 s4, s2
	s_cbranch_execz .LBB165_28
.LBB165_66:
	v_add_nc_u32_e32 v6, v5, v3
	v_mov_b32_e32 v7, 0
	v_bfe_u32 v8, v63, 16, 1
	v_cmp_o_f32_e32 vcc_lo, v63, v63
	v_mov_b32_e32 v9, 0x7fc0
	v_lshlrev_b64 v[6:7], 1, v[6:7]
	v_add3_u32 v8, v63, v8, 0x7fff
	v_cndmask_b32_sdwa v8, v9, v8, vcc_lo dst_sel:DWORD dst_unused:UNUSED_PAD src0_sel:DWORD src1_sel:WORD_1
	s_waitcnt lgkmcnt(0)
	v_add_co_u32 v6, vcc_lo, s12, v6
	v_add_co_ci_u32_e64 v7, null, s13, v7, vcc_lo
	global_store_short v[6:7], v8, off
	s_or_b32 exec_lo, exec_lo, s4
	s_and_saveexec_b32 s4, s3
	s_cbranch_execnz .LBB165_29
	s_branch .LBB165_30
.LBB165_67:
	v_add_nc_u32_e32 v6, v5, v0
	v_mov_b32_e32 v7, 0
	v_bfe_u32 v8, v59, 16, 1
	v_cmp_o_f32_e32 vcc_lo, v59, v59
	v_mov_b32_e32 v9, 0x7fc0
	v_lshlrev_b64 v[6:7], 1, v[6:7]
	v_add3_u32 v8, v59, v8, 0x7fff
	v_cndmask_b32_sdwa v8, v9, v8, vcc_lo dst_sel:DWORD dst_unused:UNUSED_PAD src0_sel:DWORD src1_sel:WORD_1
	s_waitcnt lgkmcnt(0)
	v_add_co_u32 v6, vcc_lo, s12, v6
	v_add_co_ci_u32_e64 v7, null, s13, v7, vcc_lo
	global_store_short v[6:7], v8, off
	s_or_b32 exec_lo, exec_lo, s4
	s_and_saveexec_b32 s4, s1
	s_cbranch_execz .LBB165_33
.LBB165_68:
	v_add_nc_u32_e32 v6, v5, v2
	v_mov_b32_e32 v7, 0
	v_bfe_u32 v8, v58, 16, 1
	v_cmp_o_f32_e32 vcc_lo, v58, v58
	v_mov_b32_e32 v9, 0x7fc0
	v_lshlrev_b64 v[6:7], 1, v[6:7]
	v_add3_u32 v8, v58, v8, 0x7fff
	v_cndmask_b32_sdwa v8, v9, v8, vcc_lo dst_sel:DWORD dst_unused:UNUSED_PAD src0_sel:DWORD src1_sel:WORD_1
	s_waitcnt lgkmcnt(0)
	v_add_co_u32 v6, vcc_lo, s12, v6
	v_add_co_ci_u32_e64 v7, null, s13, v7, vcc_lo
	global_store_short v[6:7], v8, off
	s_or_b32 exec_lo, exec_lo, s4
	s_and_saveexec_b32 s4, s2
	s_cbranch_execz .LBB165_34
.LBB165_69:
	v_add_nc_u32_e32 v6, v5, v3
	v_mov_b32_e32 v7, 0
	v_bfe_u32 v8, v57, 16, 1
	v_cmp_o_f32_e32 vcc_lo, v57, v57
	v_mov_b32_e32 v9, 0x7fc0
	v_lshlrev_b64 v[6:7], 1, v[6:7]
	v_add3_u32 v8, v57, v8, 0x7fff
	v_cndmask_b32_sdwa v8, v9, v8, vcc_lo dst_sel:DWORD dst_unused:UNUSED_PAD src0_sel:DWORD src1_sel:WORD_1
	s_waitcnt lgkmcnt(0)
	v_add_co_u32 v6, vcc_lo, s12, v6
	v_add_co_ci_u32_e64 v7, null, s13, v7, vcc_lo
	global_store_short v[6:7], v8, off
	s_or_b32 exec_lo, exec_lo, s4
	s_and_saveexec_b32 s4, s3
	s_cbranch_execnz .LBB165_35
	s_branch .LBB165_36
.LBB165_70:
	v_add_nc_u32_e32 v6, v5, v0
	v_mov_b32_e32 v7, 0
	v_bfe_u32 v8, v55, 16, 1
	v_cmp_o_f32_e32 vcc_lo, v55, v55
	v_mov_b32_e32 v9, 0x7fc0
	v_lshlrev_b64 v[6:7], 1, v[6:7]
	v_add3_u32 v8, v55, v8, 0x7fff
	v_cndmask_b32_sdwa v8, v9, v8, vcc_lo dst_sel:DWORD dst_unused:UNUSED_PAD src0_sel:DWORD src1_sel:WORD_1
	s_waitcnt lgkmcnt(0)
	v_add_co_u32 v6, vcc_lo, s12, v6
	v_add_co_ci_u32_e64 v7, null, s13, v7, vcc_lo
	global_store_short v[6:7], v8, off
	s_or_b32 exec_lo, exec_lo, s4
	s_and_saveexec_b32 s4, s1
	s_cbranch_execz .LBB165_39
.LBB165_71:
	v_add_nc_u32_e32 v6, v5, v2
	v_mov_b32_e32 v7, 0
	v_bfe_u32 v8, v54, 16, 1
	v_cmp_o_f32_e32 vcc_lo, v54, v54
	v_mov_b32_e32 v9, 0x7fc0
	v_lshlrev_b64 v[6:7], 1, v[6:7]
	v_add3_u32 v8, v54, v8, 0x7fff
	v_cndmask_b32_sdwa v8, v9, v8, vcc_lo dst_sel:DWORD dst_unused:UNUSED_PAD src0_sel:DWORD src1_sel:WORD_1
	s_waitcnt lgkmcnt(0)
	v_add_co_u32 v6, vcc_lo, s12, v6
	v_add_co_ci_u32_e64 v7, null, s13, v7, vcc_lo
	global_store_short v[6:7], v8, off
	s_or_b32 exec_lo, exec_lo, s4
	s_and_saveexec_b32 s4, s2
	s_cbranch_execz .LBB165_40
.LBB165_72:
	v_add_nc_u32_e32 v6, v5, v3
	v_mov_b32_e32 v7, 0
	v_bfe_u32 v8, v53, 16, 1
	v_cmp_o_f32_e32 vcc_lo, v53, v53
	v_mov_b32_e32 v9, 0x7fc0
	v_lshlrev_b64 v[6:7], 1, v[6:7]
	v_add3_u32 v8, v53, v8, 0x7fff
	v_cndmask_b32_sdwa v8, v9, v8, vcc_lo dst_sel:DWORD dst_unused:UNUSED_PAD src0_sel:DWORD src1_sel:WORD_1
	s_waitcnt lgkmcnt(0)
	v_add_co_u32 v6, vcc_lo, s12, v6
	v_add_co_ci_u32_e64 v7, null, s13, v7, vcc_lo
	global_store_short v[6:7], v8, off
	s_or_b32 exec_lo, exec_lo, s4
	s_and_saveexec_b32 s4, s3
	s_cbranch_execnz .LBB165_41
	s_branch .LBB165_42
.LBB165_73:
	v_add_nc_u32_e32 v6, v5, v0
	v_mov_b32_e32 v7, 0
	v_bfe_u32 v8, v51, 16, 1
	v_cmp_o_f32_e32 vcc_lo, v51, v51
	v_mov_b32_e32 v9, 0x7fc0
	v_lshlrev_b64 v[6:7], 1, v[6:7]
	v_add3_u32 v8, v51, v8, 0x7fff
	v_cndmask_b32_sdwa v8, v9, v8, vcc_lo dst_sel:DWORD dst_unused:UNUSED_PAD src0_sel:DWORD src1_sel:WORD_1
	s_waitcnt lgkmcnt(0)
	v_add_co_u32 v6, vcc_lo, s12, v6
	v_add_co_ci_u32_e64 v7, null, s13, v7, vcc_lo
	global_store_short v[6:7], v8, off
	s_or_b32 exec_lo, exec_lo, s4
	s_and_saveexec_b32 s4, s1
	s_cbranch_execz .LBB165_45
.LBB165_74:
	v_add_nc_u32_e32 v6, v5, v2
	v_mov_b32_e32 v7, 0
	v_bfe_u32 v8, v50, 16, 1
	v_cmp_o_f32_e32 vcc_lo, v50, v50
	v_mov_b32_e32 v9, 0x7fc0
	v_lshlrev_b64 v[6:7], 1, v[6:7]
	v_add3_u32 v8, v50, v8, 0x7fff
	v_cndmask_b32_sdwa v8, v9, v8, vcc_lo dst_sel:DWORD dst_unused:UNUSED_PAD src0_sel:DWORD src1_sel:WORD_1
	s_waitcnt lgkmcnt(0)
	v_add_co_u32 v6, vcc_lo, s12, v6
	v_add_co_ci_u32_e64 v7, null, s13, v7, vcc_lo
	global_store_short v[6:7], v8, off
	s_or_b32 exec_lo, exec_lo, s4
	s_and_saveexec_b32 s4, s2
	s_cbranch_execz .LBB165_46
.LBB165_75:
	v_add_nc_u32_e32 v6, v5, v3
	v_mov_b32_e32 v7, 0
	v_bfe_u32 v8, v49, 16, 1
	v_cmp_o_f32_e32 vcc_lo, v49, v49
	v_mov_b32_e32 v9, 0x7fc0
	v_lshlrev_b64 v[6:7], 1, v[6:7]
	v_add3_u32 v8, v49, v8, 0x7fff
	v_cndmask_b32_sdwa v8, v9, v8, vcc_lo dst_sel:DWORD dst_unused:UNUSED_PAD src0_sel:DWORD src1_sel:WORD_1
	s_waitcnt lgkmcnt(0)
	v_add_co_u32 v6, vcc_lo, s12, v6
	v_add_co_ci_u32_e64 v7, null, s13, v7, vcc_lo
	global_store_short v[6:7], v8, off
	s_or_b32 exec_lo, exec_lo, s4
	s_and_saveexec_b32 s4, s3
	s_cbranch_execnz .LBB165_47
	s_branch .LBB165_48
.LBB165_76:
	v_add_nc_u32_e32 v6, v5, v0
	v_mov_b32_e32 v7, 0
	v_bfe_u32 v8, v47, 16, 1
	v_cmp_o_f32_e32 vcc_lo, v47, v47
	v_mov_b32_e32 v9, 0x7fc0
	v_lshlrev_b64 v[6:7], 1, v[6:7]
	v_add3_u32 v8, v47, v8, 0x7fff
	v_cndmask_b32_sdwa v8, v9, v8, vcc_lo dst_sel:DWORD dst_unused:UNUSED_PAD src0_sel:DWORD src1_sel:WORD_1
	s_waitcnt lgkmcnt(0)
	v_add_co_u32 v6, vcc_lo, s12, v6
	v_add_co_ci_u32_e64 v7, null, s13, v7, vcc_lo
	global_store_short v[6:7], v8, off
	s_or_b32 exec_lo, exec_lo, s4
	s_and_saveexec_b32 s4, s1
	s_cbranch_execz .LBB165_51
.LBB165_77:
	v_add_nc_u32_e32 v6, v5, v2
	v_mov_b32_e32 v7, 0
	v_bfe_u32 v8, v46, 16, 1
	v_cmp_o_f32_e32 vcc_lo, v46, v46
	v_mov_b32_e32 v9, 0x7fc0
	v_lshlrev_b64 v[6:7], 1, v[6:7]
	v_add3_u32 v8, v46, v8, 0x7fff
	v_cndmask_b32_sdwa v8, v9, v8, vcc_lo dst_sel:DWORD dst_unused:UNUSED_PAD src0_sel:DWORD src1_sel:WORD_1
	s_waitcnt lgkmcnt(0)
	v_add_co_u32 v6, vcc_lo, s12, v6
	v_add_co_ci_u32_e64 v7, null, s13, v7, vcc_lo
	global_store_short v[6:7], v8, off
	s_or_b32 exec_lo, exec_lo, s4
	s_and_saveexec_b32 s4, s2
	s_cbranch_execz .LBB165_52
.LBB165_78:
	v_add_nc_u32_e32 v6, v5, v3
	v_mov_b32_e32 v7, 0
	v_bfe_u32 v8, v45, 16, 1
	v_cmp_o_f32_e32 vcc_lo, v45, v45
	v_mov_b32_e32 v9, 0x7fc0
	v_lshlrev_b64 v[6:7], 1, v[6:7]
	v_add3_u32 v8, v45, v8, 0x7fff
	v_cndmask_b32_sdwa v8, v9, v8, vcc_lo dst_sel:DWORD dst_unused:UNUSED_PAD src0_sel:DWORD src1_sel:WORD_1
	s_waitcnt lgkmcnt(0)
	v_add_co_u32 v6, vcc_lo, s12, v6
	v_add_co_ci_u32_e64 v7, null, s13, v7, vcc_lo
	global_store_short v[6:7], v8, off
	s_or_b32 exec_lo, exec_lo, s4
	s_and_saveexec_b32 s4, s3
	s_cbranch_execnz .LBB165_53
	s_branch .LBB165_54
.LBB165_79:
	v_add_nc_u32_e32 v5, v1, v0
	v_mov_b32_e32 v6, 0
	v_bfe_u32 v7, v43, 16, 1
	v_cmp_o_f32_e32 vcc_lo, v43, v43
	v_mov_b32_e32 v0, 0x7fc0
	v_lshlrev_b64 v[5:6], 1, v[5:6]
	v_add3_u32 v7, v43, v7, 0x7fff
	v_cndmask_b32_sdwa v0, v0, v7, vcc_lo dst_sel:DWORD dst_unused:UNUSED_PAD src0_sel:DWORD src1_sel:WORD_1
	s_waitcnt lgkmcnt(0)
	v_add_co_u32 v5, vcc_lo, s12, v5
	v_add_co_ci_u32_e64 v6, null, s13, v6, vcc_lo
	global_store_short v[5:6], v0, off
	s_or_b32 exec_lo, exec_lo, s4
	s_and_saveexec_b32 s0, s1
	s_cbranch_execz .LBB165_57
.LBB165_80:
	v_add_nc_u32_e32 v5, v1, v2
	v_mov_b32_e32 v6, 0
	v_bfe_u32 v0, v42, 16, 1
	v_cmp_o_f32_e32 vcc_lo, v42, v42
	v_mov_b32_e32 v2, 0x7fc0
	v_lshlrev_b64 v[5:6], 1, v[5:6]
	v_add3_u32 v0, v42, v0, 0x7fff
	v_cndmask_b32_sdwa v0, v2, v0, vcc_lo dst_sel:DWORD dst_unused:UNUSED_PAD src0_sel:DWORD src1_sel:WORD_1
	s_waitcnt lgkmcnt(0)
	v_add_co_u32 v5, vcc_lo, s12, v5
	v_add_co_ci_u32_e64 v6, null, s13, v6, vcc_lo
	global_store_short v[5:6], v0, off
	s_or_b32 exec_lo, exec_lo, s0
	s_and_saveexec_b32 s0, s2
	s_cbranch_execz .LBB165_58
.LBB165_81:
	v_add_nc_u32_e32 v2, v1, v3
	v_mov_b32_e32 v3, 0
	v_bfe_u32 v0, v41, 16, 1
	v_cmp_o_f32_e32 vcc_lo, v41, v41
	v_mov_b32_e32 v5, 0x7fc0
	v_lshlrev_b64 v[2:3], 1, v[2:3]
	v_add3_u32 v0, v41, v0, 0x7fff
	v_cndmask_b32_sdwa v0, v5, v0, vcc_lo dst_sel:DWORD dst_unused:UNUSED_PAD src0_sel:DWORD src1_sel:WORD_1
	s_waitcnt lgkmcnt(0)
	v_add_co_u32 v2, vcc_lo, s12, v2
	v_add_co_ci_u32_e64 v3, null, s13, v3, vcc_lo
	global_store_short v[2:3], v0, off
	s_or_b32 exec_lo, exec_lo, s0
	s_and_b32 exec_lo, exec_lo, s3
	s_cbranch_execnz .LBB165_59
	s_branch .LBB165_60
	.section	.rodata,"a",@progbits
	.p2align	6, 0x0
	.amdhsa_kernel _ZL12mul_mat_q8_0IN3c108BFloat16ELb0EEvPKvS3_PT_iiiii
		.amdhsa_group_segment_fixed_size 28224
		.amdhsa_private_segment_fixed_size 0
		.amdhsa_kernarg_size 44
		.amdhsa_user_sgpr_count 6
		.amdhsa_user_sgpr_private_segment_buffer 1
		.amdhsa_user_sgpr_dispatch_ptr 0
		.amdhsa_user_sgpr_queue_ptr 0
		.amdhsa_user_sgpr_kernarg_segment_ptr 1
		.amdhsa_user_sgpr_dispatch_id 0
		.amdhsa_user_sgpr_flat_scratch_init 0
		.amdhsa_user_sgpr_private_segment_size 0
		.amdhsa_wavefront_size32 1
		.amdhsa_uses_dynamic_stack 0
		.amdhsa_system_sgpr_private_segment_wavefront_offset 0
		.amdhsa_system_sgpr_workgroup_id_x 1
		.amdhsa_system_sgpr_workgroup_id_y 1
		.amdhsa_system_sgpr_workgroup_id_z 0
		.amdhsa_system_sgpr_workgroup_info 0
		.amdhsa_system_vgpr_workitem_id 1
		.amdhsa_next_free_vgpr 143
		.amdhsa_next_free_sgpr 15
		.amdhsa_reserve_vcc 1
		.amdhsa_reserve_flat_scratch 0
		.amdhsa_float_round_mode_32 0
		.amdhsa_float_round_mode_16_64 0
		.amdhsa_float_denorm_mode_32 3
		.amdhsa_float_denorm_mode_16_64 3
		.amdhsa_dx10_clamp 1
		.amdhsa_ieee_mode 1
		.amdhsa_fp16_overflow 0
		.amdhsa_workgroup_processor_mode 1
		.amdhsa_memory_ordered 1
		.amdhsa_forward_progress 1
		.amdhsa_shared_vgpr_count 0
		.amdhsa_exception_fp_ieee_invalid_op 0
		.amdhsa_exception_fp_denorm_src 0
		.amdhsa_exception_fp_ieee_div_zero 0
		.amdhsa_exception_fp_ieee_overflow 0
		.amdhsa_exception_fp_ieee_underflow 0
		.amdhsa_exception_fp_ieee_inexact 0
		.amdhsa_exception_int_div_zero 0
	.end_amdhsa_kernel
	.section	.text._ZL12mul_mat_q8_0IN3c108BFloat16ELb0EEvPKvS3_PT_iiiii,"axG",@progbits,_ZL12mul_mat_q8_0IN3c108BFloat16ELb0EEvPKvS3_PT_iiiii,comdat
.Lfunc_end165:
	.size	_ZL12mul_mat_q8_0IN3c108BFloat16ELb0EEvPKvS3_PT_iiiii, .Lfunc_end165-_ZL12mul_mat_q8_0IN3c108BFloat16ELb0EEvPKvS3_PT_iiiii
                                        ; -- End function
	.set _ZL12mul_mat_q8_0IN3c108BFloat16ELb0EEvPKvS3_PT_iiiii.num_vgpr, 143
	.set _ZL12mul_mat_q8_0IN3c108BFloat16ELb0EEvPKvS3_PT_iiiii.num_agpr, 0
	.set _ZL12mul_mat_q8_0IN3c108BFloat16ELb0EEvPKvS3_PT_iiiii.numbered_sgpr, 15
	.set _ZL12mul_mat_q8_0IN3c108BFloat16ELb0EEvPKvS3_PT_iiiii.num_named_barrier, 0
	.set _ZL12mul_mat_q8_0IN3c108BFloat16ELb0EEvPKvS3_PT_iiiii.private_seg_size, 0
	.set _ZL12mul_mat_q8_0IN3c108BFloat16ELb0EEvPKvS3_PT_iiiii.uses_vcc, 1
	.set _ZL12mul_mat_q8_0IN3c108BFloat16ELb0EEvPKvS3_PT_iiiii.uses_flat_scratch, 0
	.set _ZL12mul_mat_q8_0IN3c108BFloat16ELb0EEvPKvS3_PT_iiiii.has_dyn_sized_stack, 0
	.set _ZL12mul_mat_q8_0IN3c108BFloat16ELb0EEvPKvS3_PT_iiiii.has_recursion, 0
	.set _ZL12mul_mat_q8_0IN3c108BFloat16ELb0EEvPKvS3_PT_iiiii.has_indirect_call, 0
	.section	.AMDGPU.csdata,"",@progbits
; Kernel info:
; codeLenInByte = 8196
; TotalNumSgprs: 17
; NumVgprs: 143
; ScratchSize: 0
; MemoryBound: 0
; FloatMode: 240
; IeeeMode: 1
; LDSByteSize: 28224 bytes/workgroup (compile time only)
; SGPRBlocks: 0
; VGPRBlocks: 17
; NumSGPRsForWavesPerEU: 17
; NumVGPRsForWavesPerEU: 143
; Occupancy: 7
; WaveLimiterHint : 0
; COMPUTE_PGM_RSRC2:SCRATCH_EN: 0
; COMPUTE_PGM_RSRC2:USER_SGPR: 6
; COMPUTE_PGM_RSRC2:TRAP_HANDLER: 0
; COMPUTE_PGM_RSRC2:TGID_X_EN: 1
; COMPUTE_PGM_RSRC2:TGID_Y_EN: 1
; COMPUTE_PGM_RSRC2:TGID_Z_EN: 0
; COMPUTE_PGM_RSRC2:TIDIG_COMP_CNT: 1
	.section	.text._ZL12mul_mat_q8_0IN3c108BFloat16ELb1EEvPKvS3_PT_iiiii,"axG",@progbits,_ZL12mul_mat_q8_0IN3c108BFloat16ELb1EEvPKvS3_PT_iiiii,comdat
	.globl	_ZL12mul_mat_q8_0IN3c108BFloat16ELb1EEvPKvS3_PT_iiiii ; -- Begin function _ZL12mul_mat_q8_0IN3c108BFloat16ELb1EEvPKvS3_PT_iiiii
	.p2align	8
	.type	_ZL12mul_mat_q8_0IN3c108BFloat16ELb1EEvPKvS3_PT_iiiii,@function
_ZL12mul_mat_q8_0IN3c108BFloat16ELb1EEvPKvS3_PT_iiiii: ; @_ZL12mul_mat_q8_0IN3c108BFloat16ELb1EEvPKvS3_PT_iiiii
; %bb.0:
	s_clause 0x1
	s_load_dwordx4 s[8:11], s[4:5], 0x18
	s_load_dword s14, s[4:5], 0x28
	s_lshl_b32 s7, s7, 6
	v_add_nc_u32_e32 v76, s7, v1
	s_waitcnt lgkmcnt(0)
	s_cmp_gt_i32 s8, 31
	s_cbranch_scc1 .LBB166_2
; %bb.1:
	v_add_nc_u32_e32 v2, s7, v1
	s_mov_b32 s0, 0
	s_branch .LBB166_3
.LBB166_2:
	s_mov_b32 s0, -1
                                        ; implicit-def: $vgpr2
.LBB166_3:
	s_load_dwordx2 s[12:13], s[4:5], 0x10
	v_mov_b32_e32 v56, 0
	v_mov_b32_e32 v60, 0
	;; [unrolled: 1-line block ×32, first 2 shown]
	s_andn2_b32 vcc_lo, exec_lo, s0
	s_lshl_b32 s6, s6, 7
	s_cbranch_vccnz .LBB166_9
; %bb.4:
	s_load_dwordx4 s[0:3], s[4:5], 0x0
	s_ashr_i32 s4, s8, 31
	s_ashr_i32 s5, s11, 31
	s_lshr_b32 s4, s4, 27
	s_lshr_b32 s5, s5, 27
	s_add_i32 s4, s8, s4
	s_add_i32 s5, s11, s5
	s_ashr_i32 s4, s4, 5
	s_ashr_i32 s11, s5, 5
	s_mul_i32 s8, s4, s6
	v_add_nc_u32_e32 v37, 8, v1
	s_mul_i32 s5, s8, 34
	s_mul_hi_i32 s8, s8, 34
	v_add_nc_u32_e32 v38, 16, v1
	v_add_nc_u32_e32 v39, 24, v1
	;; [unrolled: 1-line block ×3, first 2 shown]
	v_lshlrev_b32_e32 v18, 2, v0
	v_add_nc_u32_e32 v41, 40, v1
	v_add_nc_u32_e32 v42, 48, v1
	;; [unrolled: 1-line block ×3, first 2 shown]
	s_waitcnt lgkmcnt(0)
	s_add_u32 s5, s0, s5
	s_addc_u32 s8, s1, s8
	s_not_b32 s0, s6
	v_add_nc_u32_e32 v10, 64, v1
	s_add_i32 s0, s9, s0
	v_add_nc_u32_e32 v12, 0x48, v1
	v_min_i32_e32 v2, s0, v1
	v_min_i32_e32 v4, s0, v37
	;; [unrolled: 1-line block ×5, first 2 shown]
	v_mul_lo_u32 v85, v2, s4
	v_mad_u64_u32 v[2:3], null, 0x84, v2, v[18:19]
	v_min_i32_e32 v8, s0, v41
	v_mul_lo_u32 v87, v4, s4
	v_mad_u64_u32 v[3:4], null, 0x84, v4, v[18:19]
	v_min_i32_e32 v9, s0, v42
	v_mul_lo_u32 v88, v5, s4
	v_mad_u64_u32 v[4:5], null, 0x84, v5, v[18:19]
	v_min_i32_e32 v11, s0, v43
	v_mul_lo_u32 v89, v6, s4
	v_mad_u64_u32 v[5:6], null, 0x84, v6, v[18:19]
	v_min_i32_e32 v13, s0, v10
	v_mul_lo_u32 v90, v7, s4
	v_mad_u64_u32 v[6:7], null, 0x84, v7, v[18:19]
	v_mul_lo_u32 v91, v8, s4
	v_mad_u64_u32 v[7:8], null, 0x84, v8, v[18:19]
	;; [unrolled: 2-line block ×3, first 2 shown]
	v_mad_u64_u32 v[9:10], null, 0x84, v11, v[18:19]
	v_add_nc_u32_e32 v14, 0x50, v1
	v_mul_lo_u32 v94, v11, s4
	v_mul_lo_u32 v95, v13, s4
	v_mad_u64_u32 v[10:11], null, 0x84, v13, v[18:19]
	v_add_nc_u32_e32 v13, 0x58, v1
	v_add_nc_u32_e32 v15, 0x60, v1
	v_min_i32_e32 v12, s0, v12
	v_min_i32_e32 v14, s0, v14
	v_add_nc_u32_e32 v17, 0x68, v1
	v_min_i32_e32 v16, s0, v13
	v_min_i32_e32 v15, s0, v15
	v_mul_lo_u32 v96, v12, s4
	v_mad_u64_u32 v[11:12], null, 0x84, v12, v[18:19]
	v_mad_u64_u32 v[12:13], null, 0x84, v14, v[18:19]
	v_mul_lo_u32 v98, v14, s4
	v_mad_u64_u32 v[13:14], null, 0x84, v16, v[18:19]
	v_mul_lo_u32 v99, v16, s4
	v_mul_lo_u32 v100, v15, s4
	v_lshrrev_b32_e32 v16, 2, v0
	v_min_i32_e32 v17, s0, v17
	v_mad_u64_u32 v[14:15], null, 0x84, v15, v[18:19]
	v_add_nc_u32_e32 v19, 0x70, v1
	s_add_i32 s1, s10, -1
	v_lshl_add_u32 v44, v1, 3, v16
	v_mul_lo_u32 v102, v17, s4
	v_cvt_f64_u32_e32 v[21:22], v76
	v_mad_u64_u32 v[15:16], null, 0x84, v17, v[18:19]
	v_min_i32_e32 v16, s0, v19
	v_add_nc_u32_e32 v17, 8, v76
	v_cvt_f64_i32_e32 v[19:20], s1
	v_add_nc_u32_e32 v25, 16, v76
	v_add_nc_u32_e32 v27, 24, v76
	;; [unrolled: 1-line block ×3, first 2 shown]
	v_cvt_f64_u32_e32 v[23:24], v17
	v_add_nc_u32_e32 v17, 32, v76
	v_add_nc_u32_e32 v33, 48, v76
	;; [unrolled: 1-line block ×3, first 2 shown]
	v_cvt_f64_u32_e32 v[25:26], v25
	v_cvt_f64_u32_e32 v[27:28], v27
	;; [unrolled: 1-line block ×6, first 2 shown]
	v_add_nc_u32_e32 v47, 64, v44
	v_min_i32_e32 v45, s0, v44
	v_add_nc_u32_e32 v46, 0x78, v1
	v_and_b32_e32 v84, 28, v18
	v_mul_lo_u32 v105, v16, s4
	v_min_i32_e32 v47, s0, v47
	v_ashrrev_i32_e32 v17, 31, v45
	v_min_i32_e32 v46, s0, v46
	v_min_f64 v[21:22], v[21:22], v[19:20]
	v_lshrrev_b32_e32 v82, 3, v0
	v_ashrrev_i32_e32 v49, 31, v47
	v_lshrrev_b32_e32 v48, 29, v17
	v_min_f64 v[23:24], v[23:24], v[19:20]
	v_mad_u64_u32 v[16:17], null, 0x84, v16, v[18:19]
	v_lshrrev_b32_e32 v49, 29, v49
	v_min_f64 v[25:26], v[25:26], v[19:20]
	v_min_f64 v[27:28], v[27:28], v[19:20]
	;; [unrolled: 1-line block ×6, first 2 shown]
	v_add_nc_u32_e32 v49, v47, v49
	v_mad_u64_u32 v[18:19], null, 0x84, v46, v[18:19]
	v_and_b32_e32 v17, 3, v0
	v_and_b32_e32 v20, 63, v44
	v_ashrrev_i32_e32 v19, 3, v49
	v_add_nc_u32_e32 v48, v45, v48
	v_mul_lo_u32 v106, v46, s4
	v_cvt_i32_f64_e32 v21, v[21:22]
	v_lshlrev_b32_e32 v50, 2, v17
	v_lshlrev_b32_e32 v19, 2, v19
	v_ashrrev_i32_e32 v48, 3, v48
	v_cvt_i32_f64_e32 v23, v[23:24]
	v_lshlrev_b32_e32 v22, 4, v45
	v_mul_lo_u32 v107, v45, s4
	v_mul_lo_u32 v108, v47, s4
	v_cvt_i32_f64_e32 v24, v[25:26]
	v_cvt_i32_f64_e32 v25, v[27:28]
	;; [unrolled: 1-line block ×6, first 2 shown]
	v_or_b32_e32 v27, s7, v20
	v_add3_u32 v29, v19, v50, 0x6200
	v_and_b32_e32 v19, 31, v0
	v_lshl_or_b32 v32, v20, 4, v50
	v_lshlrev_b32_e32 v48, 2, v48
	v_min_i32_e32 v27, s1, v27
	v_lshlrev_b32_e32 v31, 4, v47
	v_lshl_or_b32 v34, v19, 2, 0x4200
	v_add_nc_u32_e32 v109, 0x6a40, v32
	v_mul_lo_u32 v110, s11, v21
	v_mad_u64_u32 v[19:20], null, v27, s11, v[17:18]
	v_add_nc_u32_e32 v20, 0x60, v0
	v_add_nc_u32_e32 v21, 64, v0
	v_add_nc_u32_e32 v32, 32, v0
	v_add3_u32 v46, v48, v50, 0x6200
	v_lshlrev_b32_e32 v27, 7, v1
	v_lshrrev_b32_e32 v20, 1, v20
	v_lshrrev_b32_e32 v21, 1, v21
	;; [unrolled: 1-line block ×3, first 2 shown]
	v_mul_lo_u32 v111, s11, v23
	v_lshlrev_b32_e32 v23, 7, v37
	v_mul_lo_u32 v112, s11, v24
	v_lshlrev_b32_e32 v24, 7, v38
	;; [unrolled: 2-line block ×7, first 2 shown]
	v_lshlrev_b32_e32 v35, 4, v0
	v_and_b32_e32 v36, 0xfc, v20
	v_and_b32_e32 v37, 0xfc, v21
	v_and_b32_e32 v32, 0xfc, v32
	v_lshlrev_b32_e32 v38, 2, v82
	v_add_co_u32 v20, s0, s2, v84
	v_mov_b32_e32 v78, 0
	v_mul_u32_u24_e32 v118, 0x84, v0
	v_add_co_ci_u32_e64 v21, null, s3, 0, s0
	v_add3_u32 v119, v35, v36, 0x6800
	v_add3_u32 v120, v35, v37, 0x6600
	;; [unrolled: 1-line block ×4, first 2 shown]
	v_lshl_add_u32 v123, v1, 4, 0x6a40
	v_add_nc_u32_e32 v124, 0x4200, v27
	v_add_nc_u32_e32 v125, v46, v22
	;; [unrolled: 1-line block ×11, first 2 shown]
	v_mov_b32_e32 v97, 0
	v_mov_b32_e32 v81, 0
	;; [unrolled: 1-line block ×31, first 2 shown]
	s_mov_b32 s9, 0
.LBB166_5:                              ; =>This Loop Header: Depth=1
                                        ;     Child Loop BB166_6 Depth 2
	s_mul_i32 s0, s9, 34
	s_mul_hi_u32 s1, s9, 34
	s_add_u32 s0, s5, s0
	s_addc_u32 s1, s8, s1
	v_add_nc_u32_e32 v54, s9, v82
	v_mad_u64_u32 v[22:23], null, v82, 34, s[0:1]
	v_add_nc_u32_e32 v42, s9, v19
	v_mov_b32_e32 v139, v120
	v_add_nc_u32_e32 v44, v54, v110
	v_add_nc_u32_e32 v46, v54, v111
	;; [unrolled: 1-line block ×4, first 2 shown]
	v_mad_i64_i32 v[24:25], null, v85, 34, v[22:23]
	v_mad_i64_i32 v[26:27], null, v87, 34, v[22:23]
	;; [unrolled: 1-line block ×4, first 2 shown]
	v_add_co_u32 v24, vcc_lo, v24, v84
	v_mad_i64_i32 v[32:33], null, v90, 34, v[22:23]
	v_add_co_ci_u32_e64 v25, null, 0, v25, vcc_lo
	v_add_co_u32 v26, vcc_lo, v26, v84
	v_mad_i64_i32 v[34:35], null, v91, 34, v[22:23]
	v_add_co_ci_u32_e64 v27, null, 0, v27, vcc_lo
	v_add_co_u32 v28, vcc_lo, v28, v84
	v_mad_i64_i32 v[36:37], null, v93, 34, v[22:23]
	v_add_co_ci_u32_e64 v29, null, 0, v29, vcc_lo
	v_add_co_u32 v30, vcc_lo, v30, v84
	v_mad_i64_i32 v[38:39], null, v94, 34, v[22:23]
	v_add_co_ci_u32_e64 v31, null, 0, v31, vcc_lo
	v_add_co_u32 v32, vcc_lo, v32, v84
	v_add_co_ci_u32_e64 v33, null, 0, v33, vcc_lo
	v_add_co_u32 v34, vcc_lo, v34, v84
	v_add_co_ci_u32_e64 v35, null, 0, v35, vcc_lo
	;; [unrolled: 2-line block ×3, first 2 shown]
	v_add_co_u32 v38, vcc_lo, v38, v84
	v_mad_i64_i32 v[40:41], null, v95, 34, v[22:23]
	v_add_co_ci_u32_e64 v39, null, 0, v39, vcc_lo
	s_clause 0x7
	global_load_dword v142, v[24:25], off offset:2
	global_load_dword v143, v[26:27], off offset:2
	;; [unrolled: 1-line block ×8, first 2 shown]
	v_mad_i64_i32 v[24:25], null, v96, 34, v[22:23]
	v_mad_i64_i32 v[28:29], null, v98, 34, v[22:23]
	v_mad_u64_u32 v[36:37], null, v17, 34, s[0:1]
	v_mad_i64_i32 v[30:31], null, v99, 34, v[22:23]
	v_add_co_u32 v26, vcc_lo, v40, v84
	v_mad_i64_i32 v[32:33], null, v100, 34, v[22:23]
	v_add_co_ci_u32_e64 v27, null, 0, v41, vcc_lo
	v_add_co_u32 v24, vcc_lo, v24, v84
	v_mad_i64_i32 v[34:35], null, v102, 34, v[22:23]
	v_add_co_ci_u32_e64 v25, null, 0, v25, vcc_lo
	v_add_co_u32 v28, vcc_lo, v28, v84
	v_mad_i64_i32 v[38:39], null, v105, 34, v[22:23]
	v_mad_i64_i32 v[40:41], null, v107, 34, v[36:37]
	v_mad_u64_u32 v[42:43], null, v42, 36, s[2:3]
	v_add_nc_u32_e32 v52, v54, v114
	v_mad_i64_i32 v[36:37], null, v108, 34, v[36:37]
	v_mad_i64_i32 v[44:45], null, v44, 36, v[20:21]
	v_add_nc_u32_e32 v55, v54, v115
	v_add_co_ci_u32_e64 v29, null, 0, v29, vcc_lo
	v_add_co_u32 v30, vcc_lo, v30, v84
	v_mad_i64_i32 v[46:47], null, v46, 36, v[20:21]
	v_add_nc_u32_e32 v135, v54, v116
	v_mad_i64_i32 v[22:23], null, v106, 34, v[22:23]
	v_mad_i64_i32 v[48:49], null, v48, 36, v[20:21]
	v_add_nc_u32_e32 v137, v54, v117
	v_add_co_ci_u32_e64 v31, null, 0, v31, vcc_lo
	v_add_co_u32 v32, vcc_lo, v32, v84
	v_mad_i64_i32 v[50:51], null, v50, 36, v[20:21]
	v_mad_i64_i32 v[52:53], null, v52, 36, v[20:21]
	v_add_co_ci_u32_e64 v33, null, 0, v33, vcc_lo
	v_add_co_u32 v34, vcc_lo, v34, v84
	v_mad_i64_i32 v[54:55], null, v55, 36, v[20:21]
	v_mad_i64_i32 v[135:136], null, v135, 36, v[20:21]
	v_add_co_ci_u32_e64 v35, null, 0, v35, vcc_lo
	v_mad_i64_i32 v[137:138], null, v137, 36, v[20:21]
	s_clause 0x8
	global_load_dword v42, v[42:43], off
	global_load_dword v43, v[44:45], off offset:4
	global_load_dword v44, v[46:47], off offset:4
	;; [unrolled: 1-line block ×8, first 2 shown]
	s_clause 0x1
	global_load_ushort v40, v[40:41], off
	global_load_ushort v41, v[36:37], off
	v_add_co_u32 v36, vcc_lo, v38, v84
	v_add_co_ci_u32_e64 v37, null, 0, v39, vcc_lo
	v_add_co_u32 v22, vcc_lo, v22, v84
	v_add_co_ci_u32_e64 v23, null, 0, v23, vcc_lo
	s_clause 0x7
	global_load_dword v26, v[26:27], off offset:2
	global_load_dword v24, v[24:25], off offset:2
	;; [unrolled: 1-line block ×8, first 2 shown]
	v_mov_b32_e32 v135, v124
	v_mov_b32_e32 v136, v123
	v_mov_b32_e32 v137, v122
	v_mov_b32_e32 v138, v121
	v_mov_b32_e32 v140, v119
	v_mov_b32_e32 v141, v118
	s_mov_b32 s0, -8
	s_waitcnt vmcnt(18)
	v_cvt_f32_f16_e32 v23, v42
	s_waitcnt vmcnt(17)
	ds_write_b32 v127, v43
	s_waitcnt vmcnt(16)
	ds_write_b32 v128, v44
	s_waitcnt vmcnt(15)
	ds_write_b32 v129, v45
	s_waitcnt vmcnt(14)
	ds_write_b32 v130, v46
	s_waitcnt vmcnt(13)
	ds_write_b32 v131, v47
	s_waitcnt vmcnt(12)
	ds_write_b32 v132, v48
	s_waitcnt vmcnt(11)
	ds_write_b32 v133, v49
	s_waitcnt vmcnt(10)
	ds_write_b32 v134, v50
	ds_write_b32 v109, v23
	s_waitcnt vmcnt(9)
	v_cvt_f32_f16_e32 v23, v40
	s_waitcnt vmcnt(8)
	v_cvt_f32_f16_e32 v31, v41
	ds_write_b32 v2, v142
	ds_write_b32 v3, v143
	;; [unrolled: 1-line block ×8, first 2 shown]
	s_waitcnt vmcnt(7)
	ds_write_b32 v10, v26
	s_waitcnt vmcnt(6)
	ds_write_b32 v11, v24
	;; [unrolled: 2-line block ×8, first 2 shown]
	ds_write_b32 v125, v23
	ds_write_b32 v126, v31
	s_waitcnt lgkmcnt(0)
	s_barrier
	buffer_gl0_inv
.LBB166_6:                              ;   Parent Loop BB166_5 Depth=1
                                        ; =>  This Inner Loop Header: Depth=2
	ds_read2_b32 v[153:154], v136 offset1:32
	ds_read_b128 v[48:51], v135
	ds_read_b128 v[52:55], v135 offset:16
	ds_read_b32 v143, v137
	ds_read2_b32 v[24:25], v141 offset1:1
	ds_read2_b32 v[30:31], v141 offset0:2 offset1:3
	ds_read2_b32 v[34:35], v141 offset0:4 offset1:5
	;; [unrolled: 1-line block ×3, first 2 shown]
	v_mov_b32_e32 v22, 0
	v_add_nc_u32_e32 v27, 0x1088, v141
	v_mov_b32_e32 v26, 0
	v_add_nc_u32_e32 v32, 0x2108, v141
	;; [unrolled: 2-line block ×3, first 2 shown]
	v_add_nc_u32_e32 v43, 0x2118, v141
	v_mov_b32_e32 v146, 0
	v_add_nc_u32_e32 v137, 4, v137
	s_add_i32 s0, s0, 8
	s_cmp_lt_u32 s0, 24
	s_waitcnt lgkmcnt(4)
	v_mul_f32_e32 v23, v153, v143
	s_waitcnt lgkmcnt(3)
	v_dot4c_i32_i8 v22, v24, v48
	v_dot4c_i32_i8 v22, v25, v49
	s_waitcnt lgkmcnt(2)
	v_dot4c_i32_i8 v22, v30, v50
	v_dot4c_i32_i8 v22, v31, v51
	s_waitcnt lgkmcnt(1)
	v_dot4c_i32_i8 v22, v34, v52
	v_dot4c_i32_i8 v22, v35, v53
	s_waitcnt lgkmcnt(0)
	v_dot4c_i32_i8 v22, v38, v54
	v_dot4c_i32_i8 v22, v39, v55
	v_cvt_f32_i32_e32 v22, v22
	v_fmac_f32_e32 v78, v23, v22
	v_add_nc_u32_e32 v22, 0x1080, v141
	ds_read_b32 v142, v138
	ds_read2_b32 v[22:23], v22 offset1:1
	ds_read2_b32 v[28:29], v27 offset1:1
	v_add_nc_u32_e32 v27, 0x1090, v141
	v_add_nc_u32_e32 v138, 4, v138
	ds_read2_b32 v[36:37], v27 offset1:1
	v_add_nc_u32_e32 v27, 0x1098, v141
	ds_read2_b32 v[44:45], v27 offset1:1
	s_waitcnt lgkmcnt(4)
	v_mul_f32_e32 v27, v153, v142
	s_waitcnt lgkmcnt(3)
	v_dot4c_i32_i8 v26, v22, v48
	v_dot4c_i32_i8 v26, v23, v49
	s_waitcnt lgkmcnt(2)
	v_dot4c_i32_i8 v26, v28, v50
	v_dot4c_i32_i8 v26, v29, v51
	s_waitcnt lgkmcnt(1)
	v_dot4c_i32_i8 v26, v36, v52
	v_dot4c_i32_i8 v26, v37, v53
	s_waitcnt lgkmcnt(0)
	v_dot4c_i32_i8 v26, v44, v54
	v_dot4c_i32_i8 v26, v45, v55
	v_cvt_f32_i32_e32 v26, v26
	v_fmac_f32_e32 v104, v27, v26
	v_add_nc_u32_e32 v26, 0x2100, v141
	ds_read_b32 v144, v139
	ds_read2_b32 v[26:27], v26 offset1:1
	ds_read2_b32 v[32:33], v32 offset1:1
	;; [unrolled: 1-line block ×4, first 2 shown]
	v_add_nc_u32_e32 v139, 4, v139
	s_waitcnt lgkmcnt(4)
	v_mul_f32_e32 v43, v153, v144
	s_waitcnt lgkmcnt(3)
	v_dot4c_i32_i8 v42, v26, v48
	v_dot4c_i32_i8 v42, v27, v49
	s_waitcnt lgkmcnt(2)
	v_dot4c_i32_i8 v42, v32, v50
	v_dot4c_i32_i8 v42, v33, v51
	;; [unrolled: 3-line block ×4, first 2 shown]
	v_cvt_f32_i32_e32 v42, v42
	v_fmac_f32_e32 v103, v43, v42
	v_add_nc_u32_e32 v42, 0x3180, v141
	ds_read_b32 v145, v140
	ds_read2_b32 v[42:43], v42 offset1:1
	v_add_nc_u32_e32 v140, 4, v140
	s_waitcnt lgkmcnt(0)
	v_dot4c_i32_i8 v146, v42, v48
	v_add_nc_u32_e32 v48, 0x3188, v141
	v_dot4c_i32_i8 v146, v43, v49
	ds_read2_b32 v[48:49], v48 offset1:1
	s_waitcnt lgkmcnt(0)
	v_dot4c_i32_i8 v146, v48, v50
	v_add_nc_u32_e32 v50, 0x3190, v141
	v_dot4c_i32_i8 v146, v49, v51
	ds_read2_b32 v[50:51], v50 offset1:1
	s_waitcnt lgkmcnt(0)
	v_dot4c_i32_i8 v146, v50, v52
	v_add_nc_u32_e32 v52, 0x3198, v141
	v_add_nc_u32_e32 v141, 32, v141
	v_dot4c_i32_i8 v146, v51, v53
	ds_read2_b32 v[52:53], v52 offset1:1
	s_waitcnt lgkmcnt(0)
	v_dot4c_i32_i8 v146, v52, v54
	v_mul_f32_e32 v54, v153, v145
	v_dot4c_i32_i8 v146, v53, v55
	v_cvt_f32_i32_e32 v55, v146
	ds_read_b128 v[146:149], v135 offset:1024
	ds_read_b128 v[150:153], v135 offset:1040
	v_fmac_f32_e32 v101, v54, v55
	v_mov_b32_e32 v54, 0
	v_mul_f32_e32 v55, v143, v154
	s_waitcnt lgkmcnt(1)
	v_dot4c_i32_i8 v54, v24, v146
	v_dot4c_i32_i8 v54, v25, v147
	;; [unrolled: 1-line block ×4, first 2 shown]
	s_waitcnt lgkmcnt(0)
	v_dot4c_i32_i8 v54, v34, v150
	v_dot4c_i32_i8 v54, v35, v151
	;; [unrolled: 1-line block ×4, first 2 shown]
	v_cvt_f32_i32_e32 v54, v54
	v_fmac_f32_e32 v97, v55, v54
	v_mov_b32_e32 v54, 0
	v_mul_f32_e32 v55, v142, v154
	v_dot4c_i32_i8 v54, v22, v146
	v_dot4c_i32_i8 v54, v23, v147
	;; [unrolled: 1-line block ×8, first 2 shown]
	v_cvt_f32_i32_e32 v54, v54
	v_fmac_f32_e32 v92, v55, v54
	v_mov_b32_e32 v54, 0
	v_mul_f32_e32 v55, v144, v154
	v_dot4c_i32_i8 v54, v26, v146
	v_dot4c_i32_i8 v54, v27, v147
	;; [unrolled: 1-line block ×8, first 2 shown]
	v_cvt_f32_i32_e32 v54, v54
	v_fmac_f32_e32 v86, v55, v54
	v_mov_b32_e32 v54, 0
	v_mul_f32_e32 v55, v145, v154
	v_mov_b32_e32 v154, 0
	v_dot4c_i32_i8 v54, v42, v146
	v_dot4c_i32_i8 v54, v43, v147
	;; [unrolled: 1-line block ×8, first 2 shown]
	v_cvt_f32_i32_e32 v54, v54
	v_fmac_f32_e32 v83, v55, v54
	ds_read2_b32 v[54:55], v136 offset0:64 offset1:96
	ds_read_b128 v[146:149], v135 offset:2048
	ds_read_b128 v[150:153], v135 offset:2064
	s_waitcnt lgkmcnt(2)
	v_mul_f32_e32 v155, v143, v54
	s_waitcnt lgkmcnt(1)
	v_dot4c_i32_i8 v154, v24, v146
	v_dot4c_i32_i8 v154, v25, v147
	;; [unrolled: 1-line block ×4, first 2 shown]
	s_waitcnt lgkmcnt(0)
	v_dot4c_i32_i8 v154, v34, v150
	v_dot4c_i32_i8 v154, v35, v151
	v_dot4c_i32_i8 v154, v38, v152
	v_dot4c_i32_i8 v154, v39, v153
	v_cvt_f32_i32_e32 v154, v154
	v_fmac_f32_e32 v81, v155, v154
	v_mov_b32_e32 v154, 0
	v_mul_f32_e32 v155, v142, v54
	v_dot4c_i32_i8 v154, v22, v146
	v_dot4c_i32_i8 v154, v23, v147
	;; [unrolled: 1-line block ×8, first 2 shown]
	v_cvt_f32_i32_e32 v154, v154
	v_fmac_f32_e32 v80, v155, v154
	v_mov_b32_e32 v154, 0
	v_mul_f32_e32 v155, v144, v54
	v_mul_f32_e32 v54, v145, v54
	v_dot4c_i32_i8 v154, v26, v146
	v_dot4c_i32_i8 v154, v27, v147
	;; [unrolled: 1-line block ×8, first 2 shown]
	v_cvt_f32_i32_e32 v154, v154
	v_fmac_f32_e32 v79, v155, v154
	v_mov_b32_e32 v154, 0
	v_dot4c_i32_i8 v154, v42, v146
	v_dot4c_i32_i8 v154, v43, v147
	;; [unrolled: 1-line block ×8, first 2 shown]
	v_cvt_f32_i32_e32 v146, v154
	v_mul_f32_e32 v154, v143, v55
	v_fmac_f32_e32 v77, v54, v146
	ds_read_b128 v[146:149], v135 offset:3072
	ds_read_b128 v[150:153], v135 offset:3088
	v_mov_b32_e32 v54, 0
	s_waitcnt lgkmcnt(1)
	v_dot4c_i32_i8 v54, v24, v146
	v_dot4c_i32_i8 v54, v25, v147
	;; [unrolled: 1-line block ×4, first 2 shown]
	s_waitcnt lgkmcnt(0)
	v_dot4c_i32_i8 v54, v34, v150
	v_dot4c_i32_i8 v54, v35, v151
	;; [unrolled: 1-line block ×4, first 2 shown]
	v_cvt_f32_i32_e32 v54, v54
	v_fmac_f32_e32 v75, v154, v54
	v_mov_b32_e32 v54, 0
	v_mul_f32_e32 v154, v142, v55
	v_dot4c_i32_i8 v54, v22, v146
	v_dot4c_i32_i8 v54, v23, v147
	v_dot4c_i32_i8 v54, v28, v148
	v_dot4c_i32_i8 v54, v29, v149
	v_dot4c_i32_i8 v54, v36, v150
	v_dot4c_i32_i8 v54, v37, v151
	v_dot4c_i32_i8 v54, v44, v152
	v_dot4c_i32_i8 v54, v45, v153
	v_cvt_f32_i32_e32 v54, v54
	v_fmac_f32_e32 v74, v154, v54
	v_mov_b32_e32 v54, 0
	v_mul_f32_e32 v154, v144, v55
	v_mul_f32_e32 v55, v145, v55
	v_dot4c_i32_i8 v54, v26, v146
	v_dot4c_i32_i8 v54, v27, v147
	;; [unrolled: 1-line block ×8, first 2 shown]
	v_cvt_f32_i32_e32 v54, v54
	v_fmac_f32_e32 v73, v154, v54
	v_mov_b32_e32 v54, 0
	v_mov_b32_e32 v154, 0
	v_dot4c_i32_i8 v54, v42, v146
	v_dot4c_i32_i8 v54, v43, v147
	;; [unrolled: 1-line block ×8, first 2 shown]
	v_cvt_f32_i32_e32 v54, v54
	v_fmac_f32_e32 v72, v55, v54
	ds_read2_b32 v[54:55], v136 offset0:128 offset1:160
	ds_read_b128 v[146:149], v135 offset:4096
	ds_read_b128 v[150:153], v135 offset:4112
	s_waitcnt lgkmcnt(2)
	v_mul_f32_e32 v155, v143, v54
	s_waitcnt lgkmcnt(1)
	v_dot4c_i32_i8 v154, v24, v146
	v_dot4c_i32_i8 v154, v25, v147
	;; [unrolled: 1-line block ×4, first 2 shown]
	s_waitcnt lgkmcnt(0)
	v_dot4c_i32_i8 v154, v34, v150
	v_dot4c_i32_i8 v154, v35, v151
	;; [unrolled: 1-line block ×4, first 2 shown]
	v_cvt_f32_i32_e32 v154, v154
	v_fmac_f32_e32 v71, v155, v154
	v_mov_b32_e32 v154, 0
	v_mul_f32_e32 v155, v142, v54
	v_dot4c_i32_i8 v154, v22, v146
	v_dot4c_i32_i8 v154, v23, v147
	;; [unrolled: 1-line block ×8, first 2 shown]
	v_cvt_f32_i32_e32 v154, v154
	v_fmac_f32_e32 v70, v155, v154
	v_mov_b32_e32 v154, 0
	v_mul_f32_e32 v155, v144, v54
	v_mul_f32_e32 v54, v145, v54
	v_dot4c_i32_i8 v154, v26, v146
	v_dot4c_i32_i8 v154, v27, v147
	;; [unrolled: 1-line block ×8, first 2 shown]
	v_cvt_f32_i32_e32 v154, v154
	v_fmac_f32_e32 v69, v155, v154
	v_mov_b32_e32 v154, 0
	v_dot4c_i32_i8 v154, v42, v146
	v_dot4c_i32_i8 v154, v43, v147
	;; [unrolled: 1-line block ×8, first 2 shown]
	v_cvt_f32_i32_e32 v146, v154
	v_mul_f32_e32 v154, v143, v55
	v_fmac_f32_e32 v68, v54, v146
	ds_read_b128 v[146:149], v135 offset:5120
	ds_read_b128 v[150:153], v135 offset:5136
	v_mov_b32_e32 v54, 0
	s_waitcnt lgkmcnt(1)
	v_dot4c_i32_i8 v54, v24, v146
	v_dot4c_i32_i8 v54, v25, v147
	;; [unrolled: 1-line block ×4, first 2 shown]
	s_waitcnt lgkmcnt(0)
	v_dot4c_i32_i8 v54, v34, v150
	v_dot4c_i32_i8 v54, v35, v151
	v_dot4c_i32_i8 v54, v38, v152
	v_dot4c_i32_i8 v54, v39, v153
	v_cvt_f32_i32_e32 v54, v54
	v_fmac_f32_e32 v67, v154, v54
	v_mov_b32_e32 v54, 0
	v_mul_f32_e32 v154, v142, v55
	v_dot4c_i32_i8 v54, v22, v146
	v_dot4c_i32_i8 v54, v23, v147
	;; [unrolled: 1-line block ×8, first 2 shown]
	v_cvt_f32_i32_e32 v54, v54
	v_fmac_f32_e32 v66, v154, v54
	v_mov_b32_e32 v54, 0
	v_mul_f32_e32 v154, v144, v55
	v_mul_f32_e32 v55, v145, v55
	v_dot4c_i32_i8 v54, v26, v146
	v_dot4c_i32_i8 v54, v27, v147
	;; [unrolled: 1-line block ×8, first 2 shown]
	v_cvt_f32_i32_e32 v54, v54
	v_fmac_f32_e32 v65, v154, v54
	v_mov_b32_e32 v54, 0
	v_mov_b32_e32 v154, 0
	v_dot4c_i32_i8 v54, v42, v146
	v_dot4c_i32_i8 v54, v43, v147
	;; [unrolled: 1-line block ×8, first 2 shown]
	v_cvt_f32_i32_e32 v54, v54
	v_fmac_f32_e32 v64, v55, v54
	ds_read2_b32 v[54:55], v136 offset0:192 offset1:224
	ds_read_b128 v[146:149], v135 offset:6144
	ds_read_b128 v[150:153], v135 offset:6160
	v_add_nc_u32_e32 v136, 4, v136
	s_waitcnt lgkmcnt(2)
	v_mul_f32_e32 v155, v143, v54
	s_waitcnt lgkmcnt(1)
	v_dot4c_i32_i8 v154, v24, v146
	v_dot4c_i32_i8 v154, v25, v147
	;; [unrolled: 1-line block ×4, first 2 shown]
	s_waitcnt lgkmcnt(0)
	v_dot4c_i32_i8 v154, v34, v150
	v_dot4c_i32_i8 v154, v35, v151
	;; [unrolled: 1-line block ×4, first 2 shown]
	v_cvt_f32_i32_e32 v154, v154
	v_fmac_f32_e32 v63, v155, v154
	v_mov_b32_e32 v154, 0
	v_mul_f32_e32 v155, v142, v54
	v_dot4c_i32_i8 v154, v22, v146
	v_dot4c_i32_i8 v154, v23, v147
	;; [unrolled: 1-line block ×8, first 2 shown]
	v_cvt_f32_i32_e32 v154, v154
	v_fmac_f32_e32 v62, v155, v154
	v_mov_b32_e32 v154, 0
	v_mul_f32_e32 v155, v144, v54
	v_mul_f32_e32 v54, v145, v54
	v_dot4c_i32_i8 v154, v26, v146
	v_dot4c_i32_i8 v154, v27, v147
	;; [unrolled: 1-line block ×8, first 2 shown]
	v_cvt_f32_i32_e32 v154, v154
	v_fmac_f32_e32 v61, v155, v154
	v_mov_b32_e32 v154, 0
	v_dot4c_i32_i8 v154, v42, v146
	v_dot4c_i32_i8 v154, v43, v147
	;; [unrolled: 1-line block ×8, first 2 shown]
	v_cvt_f32_i32_e32 v146, v154
	v_fmac_f32_e32 v60, v54, v146
	ds_read_b128 v[146:149], v135 offset:7168
	ds_read_b128 v[150:153], v135 offset:7184
	v_mov_b32_e32 v54, 0
	v_add_nc_u32_e32 v135, 32, v135
	s_waitcnt lgkmcnt(1)
	v_dot4c_i32_i8 v54, v24, v146
	v_mul_f32_e32 v24, v143, v55
	v_dot4c_i32_i8 v54, v25, v147
	v_dot4c_i32_i8 v54, v30, v148
	;; [unrolled: 1-line block ×3, first 2 shown]
	s_waitcnt lgkmcnt(0)
	v_dot4c_i32_i8 v54, v34, v150
	v_dot4c_i32_i8 v54, v35, v151
	;; [unrolled: 1-line block ×4, first 2 shown]
	v_cvt_f32_i32_e32 v25, v54
	v_fmac_f32_e32 v59, v24, v25
	v_mov_b32_e32 v24, 0
	v_dot4c_i32_i8 v24, v22, v146
	v_mul_f32_e32 v22, v142, v55
	v_dot4c_i32_i8 v24, v23, v147
	v_dot4c_i32_i8 v24, v28, v148
	;; [unrolled: 1-line block ×7, first 2 shown]
	v_cvt_f32_i32_e32 v23, v24
	v_fmac_f32_e32 v58, v22, v23
	v_mov_b32_e32 v22, 0
	v_mul_f32_e32 v23, v144, v55
	v_dot4c_i32_i8 v22, v26, v146
	v_dot4c_i32_i8 v22, v27, v147
	;; [unrolled: 1-line block ×8, first 2 shown]
	v_cvt_f32_i32_e32 v22, v22
	v_fmac_f32_e32 v57, v23, v22
	v_mov_b32_e32 v22, 0
	v_mul_f32_e32 v23, v145, v55
	v_dot4c_i32_i8 v22, v42, v146
	v_dot4c_i32_i8 v22, v43, v147
	;; [unrolled: 1-line block ×8, first 2 shown]
	v_cvt_f32_i32_e32 v22, v22
	v_fmac_f32_e32 v56, v23, v22
	s_cbranch_scc1 .LBB166_6
; %bb.7:                                ;   in Loop: Header=BB166_5 Depth=1
	s_add_i32 s9, s9, 4
	s_cmp_ge_i32 s9, s4
	s_barrier
	buffer_gl0_inv
	s_cbranch_scc0 .LBB166_5
; %bb.8:
	v_mov_b32_e32 v2, v76
.LBB166_9:
	s_mov_b32 s0, exec_lo
	v_cmpx_gt_u32_e64 s10, v2
	s_cbranch_execz .LBB166_60
; %bb.10:
	v_add_nc_u32_e32 v0, s6, v0
	v_mul_lo_u32 v5, v2, s14
	v_cmp_gt_u32_e64 s0, s14, v0
	s_and_saveexec_b32 s1, s0
	s_cbranch_execz .LBB166_12
; %bb.11:
	v_add_nc_u32_e32 v2, v0, v5
	v_mov_b32_e32 v3, 0
	v_bfe_u32 v4, v78, 16, 1
	v_cmp_o_f32_e32 vcc_lo, v78, v78
	v_mov_b32_e32 v6, 0x7fc0
	v_lshlrev_b64 v[2:3], 1, v[2:3]
	v_add3_u32 v4, v78, v4, 0x7fff
	v_cndmask_b32_sdwa v4, v6, v4, vcc_lo dst_sel:DWORD dst_unused:UNUSED_PAD src0_sel:DWORD src1_sel:WORD_1
	s_waitcnt lgkmcnt(0)
	v_add_co_u32 v2, vcc_lo, s12, v2
	v_add_co_ci_u32_e64 v3, null, s13, v3, vcc_lo
	global_store_short v[2:3], v4, off
.LBB166_12:
	s_or_b32 exec_lo, exec_lo, s1
	v_add_nc_u32_e32 v2, 32, v0
	v_cmp_gt_u32_e64 s1, s14, v2
	s_and_saveexec_b32 s2, s1
	s_cbranch_execz .LBB166_14
; %bb.13:
	v_add_nc_u32_e32 v3, v2, v5
	v_mov_b32_e32 v4, 0
	v_bfe_u32 v6, v104, 16, 1
	v_cmp_o_f32_e32 vcc_lo, v104, v104
	v_mov_b32_e32 v7, 0x7fc0
	v_lshlrev_b64 v[3:4], 1, v[3:4]
	v_add3_u32 v6, v104, v6, 0x7fff
	v_cndmask_b32_sdwa v6, v7, v6, vcc_lo dst_sel:DWORD dst_unused:UNUSED_PAD src0_sel:DWORD src1_sel:WORD_1
	s_waitcnt lgkmcnt(0)
	v_add_co_u32 v3, vcc_lo, s12, v3
	v_add_co_ci_u32_e64 v4, null, s13, v4, vcc_lo
	global_store_short v[3:4], v6, off
.LBB166_14:
	s_or_b32 exec_lo, exec_lo, s2
	v_add_nc_u32_e32 v3, 64, v0
	;; [unrolled: 19-line block ×3, first 2 shown]
	v_cmp_gt_u32_e64 s3, s14, v4
	s_and_saveexec_b32 s4, s3
	s_cbranch_execz .LBB166_18
; %bb.17:
	v_add_nc_u32_e32 v5, v4, v5
	v_mov_b32_e32 v6, 0
	v_bfe_u32 v7, v101, 16, 1
	v_cmp_o_f32_e32 vcc_lo, v101, v101
	v_mov_b32_e32 v8, 0x7fc0
	v_lshlrev_b64 v[5:6], 1, v[5:6]
	v_add3_u32 v7, v101, v7, 0x7fff
	v_cndmask_b32_sdwa v7, v8, v7, vcc_lo dst_sel:DWORD dst_unused:UNUSED_PAD src0_sel:DWORD src1_sel:WORD_1
	s_waitcnt lgkmcnt(0)
	v_add_co_u32 v5, vcc_lo, s12, v5
	v_add_co_ci_u32_e64 v6, null, s13, v6, vcc_lo
	global_store_short v[5:6], v7, off
.LBB166_18:
	s_or_b32 exec_lo, exec_lo, s4
	v_add3_u32 v5, v1, s7, 8
	v_cmp_gt_u32_e32 vcc_lo, s10, v5
	s_and_b32 exec_lo, exec_lo, vcc_lo
	s_cbranch_execz .LBB166_60
; %bb.19:
	v_mul_lo_u32 v5, v5, s14
	s_and_saveexec_b32 s4, s0
	s_cbranch_execnz .LBB166_61
; %bb.20:
	s_or_b32 exec_lo, exec_lo, s4
	s_and_saveexec_b32 s4, s1
	s_cbranch_execnz .LBB166_62
.LBB166_21:
	s_or_b32 exec_lo, exec_lo, s4
	s_and_saveexec_b32 s4, s2
	s_cbranch_execnz .LBB166_63
.LBB166_22:
	s_or_b32 exec_lo, exec_lo, s4
	s_and_saveexec_b32 s4, s3
	s_cbranch_execz .LBB166_24
.LBB166_23:
	v_add_nc_u32_e32 v5, v5, v4
	v_mov_b32_e32 v6, 0
	v_bfe_u32 v7, v83, 16, 1
	v_cmp_o_f32_e32 vcc_lo, v83, v83
	v_mov_b32_e32 v8, 0x7fc0
	v_lshlrev_b64 v[5:6], 1, v[5:6]
	v_add3_u32 v7, v83, v7, 0x7fff
	v_cndmask_b32_sdwa v7, v8, v7, vcc_lo dst_sel:DWORD dst_unused:UNUSED_PAD src0_sel:DWORD src1_sel:WORD_1
	s_waitcnt lgkmcnt(0)
	v_add_co_u32 v5, vcc_lo, s12, v5
	v_add_co_ci_u32_e64 v6, null, s13, v6, vcc_lo
	global_store_short v[5:6], v7, off
.LBB166_24:
	s_or_b32 exec_lo, exec_lo, s4
	v_add3_u32 v5, v1, s7, 16
	v_cmp_gt_u32_e32 vcc_lo, s10, v5
	s_and_b32 exec_lo, exec_lo, vcc_lo
	s_cbranch_execz .LBB166_60
; %bb.25:
	v_mul_lo_u32 v5, v5, s14
	s_and_saveexec_b32 s4, s0
	s_cbranch_execnz .LBB166_64
; %bb.26:
	s_or_b32 exec_lo, exec_lo, s4
	s_and_saveexec_b32 s4, s1
	s_cbranch_execnz .LBB166_65
.LBB166_27:
	s_or_b32 exec_lo, exec_lo, s4
	s_and_saveexec_b32 s4, s2
	s_cbranch_execnz .LBB166_66
.LBB166_28:
	s_or_b32 exec_lo, exec_lo, s4
	s_and_saveexec_b32 s4, s3
	s_cbranch_execz .LBB166_30
.LBB166_29:
	v_add_nc_u32_e32 v5, v5, v4
	v_mov_b32_e32 v6, 0
	v_bfe_u32 v7, v77, 16, 1
	v_cmp_o_f32_e32 vcc_lo, v77, v77
	v_mov_b32_e32 v8, 0x7fc0
	v_lshlrev_b64 v[5:6], 1, v[5:6]
	v_add3_u32 v7, v77, v7, 0x7fff
	v_cndmask_b32_sdwa v7, v8, v7, vcc_lo dst_sel:DWORD dst_unused:UNUSED_PAD src0_sel:DWORD src1_sel:WORD_1
	s_waitcnt lgkmcnt(0)
	v_add_co_u32 v5, vcc_lo, s12, v5
	v_add_co_ci_u32_e64 v6, null, s13, v6, vcc_lo
	global_store_short v[5:6], v7, off
.LBB166_30:
	s_or_b32 exec_lo, exec_lo, s4
	v_add3_u32 v5, v1, s7, 24
	v_cmp_gt_u32_e32 vcc_lo, s10, v5
	s_and_b32 exec_lo, exec_lo, vcc_lo
	s_cbranch_execz .LBB166_60
; %bb.31:
	v_mul_lo_u32 v5, v5, s14
	s_and_saveexec_b32 s4, s0
	s_cbranch_execnz .LBB166_67
; %bb.32:
	s_or_b32 exec_lo, exec_lo, s4
	s_and_saveexec_b32 s4, s1
	s_cbranch_execnz .LBB166_68
.LBB166_33:
	s_or_b32 exec_lo, exec_lo, s4
	s_and_saveexec_b32 s4, s2
	s_cbranch_execnz .LBB166_69
.LBB166_34:
	s_or_b32 exec_lo, exec_lo, s4
	s_and_saveexec_b32 s4, s3
	s_cbranch_execz .LBB166_36
.LBB166_35:
	v_add_nc_u32_e32 v5, v5, v4
	v_mov_b32_e32 v6, 0
	v_bfe_u32 v7, v72, 16, 1
	v_cmp_o_f32_e32 vcc_lo, v72, v72
	v_mov_b32_e32 v8, 0x7fc0
	v_lshlrev_b64 v[5:6], 1, v[5:6]
	v_add3_u32 v7, v72, v7, 0x7fff
	v_cndmask_b32_sdwa v7, v8, v7, vcc_lo dst_sel:DWORD dst_unused:UNUSED_PAD src0_sel:DWORD src1_sel:WORD_1
	s_waitcnt lgkmcnt(0)
	v_add_co_u32 v5, vcc_lo, s12, v5
	v_add_co_ci_u32_e64 v6, null, s13, v6, vcc_lo
	global_store_short v[5:6], v7, off
.LBB166_36:
	s_or_b32 exec_lo, exec_lo, s4
	v_add3_u32 v5, v1, s7, 32
	v_cmp_gt_u32_e32 vcc_lo, s10, v5
	s_and_b32 exec_lo, exec_lo, vcc_lo
	s_cbranch_execz .LBB166_60
; %bb.37:
	v_mul_lo_u32 v5, v5, s14
	s_and_saveexec_b32 s4, s0
	s_cbranch_execnz .LBB166_70
; %bb.38:
	s_or_b32 exec_lo, exec_lo, s4
	s_and_saveexec_b32 s4, s1
	s_cbranch_execnz .LBB166_71
.LBB166_39:
	s_or_b32 exec_lo, exec_lo, s4
	s_and_saveexec_b32 s4, s2
	s_cbranch_execnz .LBB166_72
.LBB166_40:
	s_or_b32 exec_lo, exec_lo, s4
	s_and_saveexec_b32 s4, s3
	s_cbranch_execz .LBB166_42
.LBB166_41:
	v_add_nc_u32_e32 v5, v5, v4
	v_mov_b32_e32 v6, 0
	v_bfe_u32 v7, v68, 16, 1
	v_cmp_o_f32_e32 vcc_lo, v68, v68
	v_mov_b32_e32 v8, 0x7fc0
	v_lshlrev_b64 v[5:6], 1, v[5:6]
	v_add3_u32 v7, v68, v7, 0x7fff
	v_cndmask_b32_sdwa v7, v8, v7, vcc_lo dst_sel:DWORD dst_unused:UNUSED_PAD src0_sel:DWORD src1_sel:WORD_1
	s_waitcnt lgkmcnt(0)
	v_add_co_u32 v5, vcc_lo, s12, v5
	v_add_co_ci_u32_e64 v6, null, s13, v6, vcc_lo
	global_store_short v[5:6], v7, off
.LBB166_42:
	s_or_b32 exec_lo, exec_lo, s4
	v_add3_u32 v5, v1, s7, 40
	v_cmp_gt_u32_e32 vcc_lo, s10, v5
	s_and_b32 exec_lo, exec_lo, vcc_lo
	s_cbranch_execz .LBB166_60
; %bb.43:
	v_mul_lo_u32 v5, v5, s14
	s_and_saveexec_b32 s4, s0
	s_cbranch_execnz .LBB166_73
; %bb.44:
	s_or_b32 exec_lo, exec_lo, s4
	s_and_saveexec_b32 s4, s1
	s_cbranch_execnz .LBB166_74
.LBB166_45:
	s_or_b32 exec_lo, exec_lo, s4
	s_and_saveexec_b32 s4, s2
	s_cbranch_execnz .LBB166_75
.LBB166_46:
	s_or_b32 exec_lo, exec_lo, s4
	s_and_saveexec_b32 s4, s3
	s_cbranch_execz .LBB166_48
.LBB166_47:
	v_add_nc_u32_e32 v5, v5, v4
	v_mov_b32_e32 v6, 0
	v_bfe_u32 v7, v64, 16, 1
	v_cmp_o_f32_e32 vcc_lo, v64, v64
	v_mov_b32_e32 v8, 0x7fc0
	v_lshlrev_b64 v[5:6], 1, v[5:6]
	v_add3_u32 v7, v64, v7, 0x7fff
	v_cndmask_b32_sdwa v7, v8, v7, vcc_lo dst_sel:DWORD dst_unused:UNUSED_PAD src0_sel:DWORD src1_sel:WORD_1
	s_waitcnt lgkmcnt(0)
	v_add_co_u32 v5, vcc_lo, s12, v5
	v_add_co_ci_u32_e64 v6, null, s13, v6, vcc_lo
	global_store_short v[5:6], v7, off
.LBB166_48:
	s_or_b32 exec_lo, exec_lo, s4
	v_add3_u32 v5, v1, s7, 48
	v_cmp_gt_u32_e32 vcc_lo, s10, v5
	s_and_b32 exec_lo, exec_lo, vcc_lo
	s_cbranch_execz .LBB166_60
; %bb.49:
	v_mul_lo_u32 v5, v5, s14
	s_and_saveexec_b32 s4, s0
	s_cbranch_execnz .LBB166_76
; %bb.50:
	s_or_b32 exec_lo, exec_lo, s4
	s_and_saveexec_b32 s4, s1
	s_cbranch_execnz .LBB166_77
.LBB166_51:
	s_or_b32 exec_lo, exec_lo, s4
	s_and_saveexec_b32 s4, s2
	s_cbranch_execnz .LBB166_78
.LBB166_52:
	s_or_b32 exec_lo, exec_lo, s4
	s_and_saveexec_b32 s4, s3
	s_cbranch_execz .LBB166_54
.LBB166_53:
	v_add_nc_u32_e32 v5, v5, v4
	v_mov_b32_e32 v6, 0
	v_bfe_u32 v7, v60, 16, 1
	v_cmp_o_f32_e32 vcc_lo, v60, v60
	v_mov_b32_e32 v8, 0x7fc0
	v_lshlrev_b64 v[5:6], 1, v[5:6]
	v_add3_u32 v7, v60, v7, 0x7fff
	v_cndmask_b32_sdwa v7, v8, v7, vcc_lo dst_sel:DWORD dst_unused:UNUSED_PAD src0_sel:DWORD src1_sel:WORD_1
	s_waitcnt lgkmcnt(0)
	v_add_co_u32 v5, vcc_lo, s12, v5
	v_add_co_ci_u32_e64 v6, null, s13, v6, vcc_lo
	global_store_short v[5:6], v7, off
.LBB166_54:
	s_or_b32 exec_lo, exec_lo, s4
	v_add3_u32 v1, v1, s7, 56
	v_cmp_gt_u32_e32 vcc_lo, s10, v1
	s_and_b32 exec_lo, exec_lo, vcc_lo
	s_cbranch_execz .LBB166_60
; %bb.55:
	v_mul_lo_u32 v1, v1, s14
	s_and_saveexec_b32 s4, s0
	s_cbranch_execnz .LBB166_79
; %bb.56:
	s_or_b32 exec_lo, exec_lo, s4
	s_and_saveexec_b32 s0, s1
	s_cbranch_execnz .LBB166_80
.LBB166_57:
	s_or_b32 exec_lo, exec_lo, s0
	s_and_saveexec_b32 s0, s2
	s_cbranch_execnz .LBB166_81
.LBB166_58:
	s_or_b32 exec_lo, exec_lo, s0
	s_and_b32 exec_lo, exec_lo, s3
	s_cbranch_execz .LBB166_60
.LBB166_59:
	v_add_nc_u32_e32 v0, v1, v4
	v_mov_b32_e32 v1, 0
	v_bfe_u32 v2, v56, 16, 1
	v_cmp_o_f32_e32 vcc_lo, v56, v56
	v_mov_b32_e32 v3, 0x7fc0
	v_lshlrev_b64 v[0:1], 1, v[0:1]
	v_add3_u32 v2, v56, v2, 0x7fff
	v_cndmask_b32_sdwa v2, v3, v2, vcc_lo dst_sel:DWORD dst_unused:UNUSED_PAD src0_sel:DWORD src1_sel:WORD_1
	s_waitcnt lgkmcnt(0)
	v_add_co_u32 v0, vcc_lo, s12, v0
	v_add_co_ci_u32_e64 v1, null, s13, v1, vcc_lo
	global_store_short v[0:1], v2, off
.LBB166_60:
	s_endpgm
.LBB166_61:
	v_add_nc_u32_e32 v6, v5, v0
	v_mov_b32_e32 v7, 0
	v_bfe_u32 v8, v97, 16, 1
	v_cmp_o_f32_e32 vcc_lo, v97, v97
	v_mov_b32_e32 v9, 0x7fc0
	v_lshlrev_b64 v[6:7], 1, v[6:7]
	v_add3_u32 v8, v97, v8, 0x7fff
	v_cndmask_b32_sdwa v8, v9, v8, vcc_lo dst_sel:DWORD dst_unused:UNUSED_PAD src0_sel:DWORD src1_sel:WORD_1
	s_waitcnt lgkmcnt(0)
	v_add_co_u32 v6, vcc_lo, s12, v6
	v_add_co_ci_u32_e64 v7, null, s13, v7, vcc_lo
	global_store_short v[6:7], v8, off
	s_or_b32 exec_lo, exec_lo, s4
	s_and_saveexec_b32 s4, s1
	s_cbranch_execz .LBB166_21
.LBB166_62:
	v_add_nc_u32_e32 v6, v5, v2
	v_mov_b32_e32 v7, 0
	v_bfe_u32 v8, v92, 16, 1
	v_cmp_o_f32_e32 vcc_lo, v92, v92
	v_mov_b32_e32 v9, 0x7fc0
	v_lshlrev_b64 v[6:7], 1, v[6:7]
	v_add3_u32 v8, v92, v8, 0x7fff
	v_cndmask_b32_sdwa v8, v9, v8, vcc_lo dst_sel:DWORD dst_unused:UNUSED_PAD src0_sel:DWORD src1_sel:WORD_1
	s_waitcnt lgkmcnt(0)
	v_add_co_u32 v6, vcc_lo, s12, v6
	v_add_co_ci_u32_e64 v7, null, s13, v7, vcc_lo
	global_store_short v[6:7], v8, off
	s_or_b32 exec_lo, exec_lo, s4
	s_and_saveexec_b32 s4, s2
	s_cbranch_execz .LBB166_22
.LBB166_63:
	v_add_nc_u32_e32 v6, v5, v3
	v_mov_b32_e32 v7, 0
	v_bfe_u32 v8, v86, 16, 1
	v_cmp_o_f32_e32 vcc_lo, v86, v86
	v_mov_b32_e32 v9, 0x7fc0
	v_lshlrev_b64 v[6:7], 1, v[6:7]
	v_add3_u32 v8, v86, v8, 0x7fff
	v_cndmask_b32_sdwa v8, v9, v8, vcc_lo dst_sel:DWORD dst_unused:UNUSED_PAD src0_sel:DWORD src1_sel:WORD_1
	s_waitcnt lgkmcnt(0)
	v_add_co_u32 v6, vcc_lo, s12, v6
	v_add_co_ci_u32_e64 v7, null, s13, v7, vcc_lo
	global_store_short v[6:7], v8, off
	s_or_b32 exec_lo, exec_lo, s4
	s_and_saveexec_b32 s4, s3
	s_cbranch_execnz .LBB166_23
	s_branch .LBB166_24
.LBB166_64:
	v_add_nc_u32_e32 v6, v5, v0
	v_mov_b32_e32 v7, 0
	v_bfe_u32 v8, v81, 16, 1
	v_cmp_o_f32_e32 vcc_lo, v81, v81
	v_mov_b32_e32 v9, 0x7fc0
	v_lshlrev_b64 v[6:7], 1, v[6:7]
	v_add3_u32 v8, v81, v8, 0x7fff
	v_cndmask_b32_sdwa v8, v9, v8, vcc_lo dst_sel:DWORD dst_unused:UNUSED_PAD src0_sel:DWORD src1_sel:WORD_1
	s_waitcnt lgkmcnt(0)
	v_add_co_u32 v6, vcc_lo, s12, v6
	v_add_co_ci_u32_e64 v7, null, s13, v7, vcc_lo
	global_store_short v[6:7], v8, off
	s_or_b32 exec_lo, exec_lo, s4
	s_and_saveexec_b32 s4, s1
	s_cbranch_execz .LBB166_27
.LBB166_65:
	v_add_nc_u32_e32 v6, v5, v2
	v_mov_b32_e32 v7, 0
	v_bfe_u32 v8, v80, 16, 1
	v_cmp_o_f32_e32 vcc_lo, v80, v80
	v_mov_b32_e32 v9, 0x7fc0
	v_lshlrev_b64 v[6:7], 1, v[6:7]
	v_add3_u32 v8, v80, v8, 0x7fff
	v_cndmask_b32_sdwa v8, v9, v8, vcc_lo dst_sel:DWORD dst_unused:UNUSED_PAD src0_sel:DWORD src1_sel:WORD_1
	s_waitcnt lgkmcnt(0)
	v_add_co_u32 v6, vcc_lo, s12, v6
	v_add_co_ci_u32_e64 v7, null, s13, v7, vcc_lo
	global_store_short v[6:7], v8, off
	s_or_b32 exec_lo, exec_lo, s4
	s_and_saveexec_b32 s4, s2
	s_cbranch_execz .LBB166_28
.LBB166_66:
	v_add_nc_u32_e32 v6, v5, v3
	v_mov_b32_e32 v7, 0
	v_bfe_u32 v8, v79, 16, 1
	v_cmp_o_f32_e32 vcc_lo, v79, v79
	v_mov_b32_e32 v9, 0x7fc0
	v_lshlrev_b64 v[6:7], 1, v[6:7]
	v_add3_u32 v8, v79, v8, 0x7fff
	v_cndmask_b32_sdwa v8, v9, v8, vcc_lo dst_sel:DWORD dst_unused:UNUSED_PAD src0_sel:DWORD src1_sel:WORD_1
	s_waitcnt lgkmcnt(0)
	v_add_co_u32 v6, vcc_lo, s12, v6
	v_add_co_ci_u32_e64 v7, null, s13, v7, vcc_lo
	global_store_short v[6:7], v8, off
	s_or_b32 exec_lo, exec_lo, s4
	s_and_saveexec_b32 s4, s3
	s_cbranch_execnz .LBB166_29
	s_branch .LBB166_30
.LBB166_67:
	v_add_nc_u32_e32 v6, v5, v0
	v_mov_b32_e32 v7, 0
	v_bfe_u32 v8, v75, 16, 1
	v_cmp_o_f32_e32 vcc_lo, v75, v75
	v_mov_b32_e32 v9, 0x7fc0
	v_lshlrev_b64 v[6:7], 1, v[6:7]
	v_add3_u32 v8, v75, v8, 0x7fff
	v_cndmask_b32_sdwa v8, v9, v8, vcc_lo dst_sel:DWORD dst_unused:UNUSED_PAD src0_sel:DWORD src1_sel:WORD_1
	s_waitcnt lgkmcnt(0)
	v_add_co_u32 v6, vcc_lo, s12, v6
	v_add_co_ci_u32_e64 v7, null, s13, v7, vcc_lo
	global_store_short v[6:7], v8, off
	s_or_b32 exec_lo, exec_lo, s4
	s_and_saveexec_b32 s4, s1
	s_cbranch_execz .LBB166_33
.LBB166_68:
	v_add_nc_u32_e32 v6, v5, v2
	v_mov_b32_e32 v7, 0
	v_bfe_u32 v8, v74, 16, 1
	v_cmp_o_f32_e32 vcc_lo, v74, v74
	v_mov_b32_e32 v9, 0x7fc0
	v_lshlrev_b64 v[6:7], 1, v[6:7]
	v_add3_u32 v8, v74, v8, 0x7fff
	v_cndmask_b32_sdwa v8, v9, v8, vcc_lo dst_sel:DWORD dst_unused:UNUSED_PAD src0_sel:DWORD src1_sel:WORD_1
	s_waitcnt lgkmcnt(0)
	v_add_co_u32 v6, vcc_lo, s12, v6
	v_add_co_ci_u32_e64 v7, null, s13, v7, vcc_lo
	global_store_short v[6:7], v8, off
	s_or_b32 exec_lo, exec_lo, s4
	s_and_saveexec_b32 s4, s2
	s_cbranch_execz .LBB166_34
.LBB166_69:
	v_add_nc_u32_e32 v6, v5, v3
	v_mov_b32_e32 v7, 0
	v_bfe_u32 v8, v73, 16, 1
	v_cmp_o_f32_e32 vcc_lo, v73, v73
	v_mov_b32_e32 v9, 0x7fc0
	v_lshlrev_b64 v[6:7], 1, v[6:7]
	v_add3_u32 v8, v73, v8, 0x7fff
	v_cndmask_b32_sdwa v8, v9, v8, vcc_lo dst_sel:DWORD dst_unused:UNUSED_PAD src0_sel:DWORD src1_sel:WORD_1
	s_waitcnt lgkmcnt(0)
	v_add_co_u32 v6, vcc_lo, s12, v6
	v_add_co_ci_u32_e64 v7, null, s13, v7, vcc_lo
	global_store_short v[6:7], v8, off
	s_or_b32 exec_lo, exec_lo, s4
	s_and_saveexec_b32 s4, s3
	s_cbranch_execnz .LBB166_35
	s_branch .LBB166_36
.LBB166_70:
	v_add_nc_u32_e32 v6, v5, v0
	v_mov_b32_e32 v7, 0
	v_bfe_u32 v8, v71, 16, 1
	v_cmp_o_f32_e32 vcc_lo, v71, v71
	v_mov_b32_e32 v9, 0x7fc0
	v_lshlrev_b64 v[6:7], 1, v[6:7]
	v_add3_u32 v8, v71, v8, 0x7fff
	v_cndmask_b32_sdwa v8, v9, v8, vcc_lo dst_sel:DWORD dst_unused:UNUSED_PAD src0_sel:DWORD src1_sel:WORD_1
	s_waitcnt lgkmcnt(0)
	v_add_co_u32 v6, vcc_lo, s12, v6
	v_add_co_ci_u32_e64 v7, null, s13, v7, vcc_lo
	global_store_short v[6:7], v8, off
	s_or_b32 exec_lo, exec_lo, s4
	s_and_saveexec_b32 s4, s1
	s_cbranch_execz .LBB166_39
.LBB166_71:
	v_add_nc_u32_e32 v6, v5, v2
	v_mov_b32_e32 v7, 0
	v_bfe_u32 v8, v70, 16, 1
	v_cmp_o_f32_e32 vcc_lo, v70, v70
	v_mov_b32_e32 v9, 0x7fc0
	v_lshlrev_b64 v[6:7], 1, v[6:7]
	v_add3_u32 v8, v70, v8, 0x7fff
	v_cndmask_b32_sdwa v8, v9, v8, vcc_lo dst_sel:DWORD dst_unused:UNUSED_PAD src0_sel:DWORD src1_sel:WORD_1
	s_waitcnt lgkmcnt(0)
	v_add_co_u32 v6, vcc_lo, s12, v6
	v_add_co_ci_u32_e64 v7, null, s13, v7, vcc_lo
	global_store_short v[6:7], v8, off
	s_or_b32 exec_lo, exec_lo, s4
	s_and_saveexec_b32 s4, s2
	s_cbranch_execz .LBB166_40
.LBB166_72:
	v_add_nc_u32_e32 v6, v5, v3
	v_mov_b32_e32 v7, 0
	v_bfe_u32 v8, v69, 16, 1
	v_cmp_o_f32_e32 vcc_lo, v69, v69
	v_mov_b32_e32 v9, 0x7fc0
	v_lshlrev_b64 v[6:7], 1, v[6:7]
	v_add3_u32 v8, v69, v8, 0x7fff
	v_cndmask_b32_sdwa v8, v9, v8, vcc_lo dst_sel:DWORD dst_unused:UNUSED_PAD src0_sel:DWORD src1_sel:WORD_1
	s_waitcnt lgkmcnt(0)
	v_add_co_u32 v6, vcc_lo, s12, v6
	v_add_co_ci_u32_e64 v7, null, s13, v7, vcc_lo
	global_store_short v[6:7], v8, off
	s_or_b32 exec_lo, exec_lo, s4
	s_and_saveexec_b32 s4, s3
	s_cbranch_execnz .LBB166_41
	s_branch .LBB166_42
.LBB166_73:
	v_add_nc_u32_e32 v6, v5, v0
	v_mov_b32_e32 v7, 0
	v_bfe_u32 v8, v67, 16, 1
	v_cmp_o_f32_e32 vcc_lo, v67, v67
	v_mov_b32_e32 v9, 0x7fc0
	v_lshlrev_b64 v[6:7], 1, v[6:7]
	v_add3_u32 v8, v67, v8, 0x7fff
	v_cndmask_b32_sdwa v8, v9, v8, vcc_lo dst_sel:DWORD dst_unused:UNUSED_PAD src0_sel:DWORD src1_sel:WORD_1
	s_waitcnt lgkmcnt(0)
	v_add_co_u32 v6, vcc_lo, s12, v6
	v_add_co_ci_u32_e64 v7, null, s13, v7, vcc_lo
	global_store_short v[6:7], v8, off
	s_or_b32 exec_lo, exec_lo, s4
	s_and_saveexec_b32 s4, s1
	s_cbranch_execz .LBB166_45
.LBB166_74:
	v_add_nc_u32_e32 v6, v5, v2
	v_mov_b32_e32 v7, 0
	v_bfe_u32 v8, v66, 16, 1
	v_cmp_o_f32_e32 vcc_lo, v66, v66
	v_mov_b32_e32 v9, 0x7fc0
	v_lshlrev_b64 v[6:7], 1, v[6:7]
	v_add3_u32 v8, v66, v8, 0x7fff
	v_cndmask_b32_sdwa v8, v9, v8, vcc_lo dst_sel:DWORD dst_unused:UNUSED_PAD src0_sel:DWORD src1_sel:WORD_1
	s_waitcnt lgkmcnt(0)
	v_add_co_u32 v6, vcc_lo, s12, v6
	v_add_co_ci_u32_e64 v7, null, s13, v7, vcc_lo
	global_store_short v[6:7], v8, off
	s_or_b32 exec_lo, exec_lo, s4
	s_and_saveexec_b32 s4, s2
	s_cbranch_execz .LBB166_46
.LBB166_75:
	v_add_nc_u32_e32 v6, v5, v3
	v_mov_b32_e32 v7, 0
	v_bfe_u32 v8, v65, 16, 1
	v_cmp_o_f32_e32 vcc_lo, v65, v65
	v_mov_b32_e32 v9, 0x7fc0
	v_lshlrev_b64 v[6:7], 1, v[6:7]
	v_add3_u32 v8, v65, v8, 0x7fff
	v_cndmask_b32_sdwa v8, v9, v8, vcc_lo dst_sel:DWORD dst_unused:UNUSED_PAD src0_sel:DWORD src1_sel:WORD_1
	s_waitcnt lgkmcnt(0)
	v_add_co_u32 v6, vcc_lo, s12, v6
	v_add_co_ci_u32_e64 v7, null, s13, v7, vcc_lo
	global_store_short v[6:7], v8, off
	s_or_b32 exec_lo, exec_lo, s4
	s_and_saveexec_b32 s4, s3
	s_cbranch_execnz .LBB166_47
	s_branch .LBB166_48
.LBB166_76:
	v_add_nc_u32_e32 v6, v5, v0
	v_mov_b32_e32 v7, 0
	v_bfe_u32 v8, v63, 16, 1
	v_cmp_o_f32_e32 vcc_lo, v63, v63
	v_mov_b32_e32 v9, 0x7fc0
	v_lshlrev_b64 v[6:7], 1, v[6:7]
	v_add3_u32 v8, v63, v8, 0x7fff
	v_cndmask_b32_sdwa v8, v9, v8, vcc_lo dst_sel:DWORD dst_unused:UNUSED_PAD src0_sel:DWORD src1_sel:WORD_1
	s_waitcnt lgkmcnt(0)
	v_add_co_u32 v6, vcc_lo, s12, v6
	v_add_co_ci_u32_e64 v7, null, s13, v7, vcc_lo
	global_store_short v[6:7], v8, off
	s_or_b32 exec_lo, exec_lo, s4
	s_and_saveexec_b32 s4, s1
	s_cbranch_execz .LBB166_51
.LBB166_77:
	v_add_nc_u32_e32 v6, v5, v2
	v_mov_b32_e32 v7, 0
	v_bfe_u32 v8, v62, 16, 1
	v_cmp_o_f32_e32 vcc_lo, v62, v62
	v_mov_b32_e32 v9, 0x7fc0
	v_lshlrev_b64 v[6:7], 1, v[6:7]
	v_add3_u32 v8, v62, v8, 0x7fff
	v_cndmask_b32_sdwa v8, v9, v8, vcc_lo dst_sel:DWORD dst_unused:UNUSED_PAD src0_sel:DWORD src1_sel:WORD_1
	s_waitcnt lgkmcnt(0)
	v_add_co_u32 v6, vcc_lo, s12, v6
	v_add_co_ci_u32_e64 v7, null, s13, v7, vcc_lo
	global_store_short v[6:7], v8, off
	s_or_b32 exec_lo, exec_lo, s4
	s_and_saveexec_b32 s4, s2
	s_cbranch_execz .LBB166_52
.LBB166_78:
	v_add_nc_u32_e32 v6, v5, v3
	v_mov_b32_e32 v7, 0
	v_bfe_u32 v8, v61, 16, 1
	v_cmp_o_f32_e32 vcc_lo, v61, v61
	v_mov_b32_e32 v9, 0x7fc0
	v_lshlrev_b64 v[6:7], 1, v[6:7]
	v_add3_u32 v8, v61, v8, 0x7fff
	v_cndmask_b32_sdwa v8, v9, v8, vcc_lo dst_sel:DWORD dst_unused:UNUSED_PAD src0_sel:DWORD src1_sel:WORD_1
	s_waitcnt lgkmcnt(0)
	v_add_co_u32 v6, vcc_lo, s12, v6
	v_add_co_ci_u32_e64 v7, null, s13, v7, vcc_lo
	global_store_short v[6:7], v8, off
	s_or_b32 exec_lo, exec_lo, s4
	s_and_saveexec_b32 s4, s3
	s_cbranch_execnz .LBB166_53
	s_branch .LBB166_54
.LBB166_79:
	v_add_nc_u32_e32 v5, v1, v0
	v_mov_b32_e32 v6, 0
	v_bfe_u32 v7, v59, 16, 1
	v_cmp_o_f32_e32 vcc_lo, v59, v59
	v_mov_b32_e32 v0, 0x7fc0
	v_lshlrev_b64 v[5:6], 1, v[5:6]
	v_add3_u32 v7, v59, v7, 0x7fff
	v_cndmask_b32_sdwa v0, v0, v7, vcc_lo dst_sel:DWORD dst_unused:UNUSED_PAD src0_sel:DWORD src1_sel:WORD_1
	s_waitcnt lgkmcnt(0)
	v_add_co_u32 v5, vcc_lo, s12, v5
	v_add_co_ci_u32_e64 v6, null, s13, v6, vcc_lo
	global_store_short v[5:6], v0, off
	s_or_b32 exec_lo, exec_lo, s4
	s_and_saveexec_b32 s0, s1
	s_cbranch_execz .LBB166_57
.LBB166_80:
	v_add_nc_u32_e32 v5, v1, v2
	v_mov_b32_e32 v6, 0
	v_bfe_u32 v0, v58, 16, 1
	v_cmp_o_f32_e32 vcc_lo, v58, v58
	v_mov_b32_e32 v2, 0x7fc0
	v_lshlrev_b64 v[5:6], 1, v[5:6]
	v_add3_u32 v0, v58, v0, 0x7fff
	v_cndmask_b32_sdwa v0, v2, v0, vcc_lo dst_sel:DWORD dst_unused:UNUSED_PAD src0_sel:DWORD src1_sel:WORD_1
	s_waitcnt lgkmcnt(0)
	v_add_co_u32 v5, vcc_lo, s12, v5
	v_add_co_ci_u32_e64 v6, null, s13, v6, vcc_lo
	global_store_short v[5:6], v0, off
	s_or_b32 exec_lo, exec_lo, s0
	s_and_saveexec_b32 s0, s2
	s_cbranch_execz .LBB166_58
.LBB166_81:
	v_add_nc_u32_e32 v2, v1, v3
	v_mov_b32_e32 v3, 0
	v_bfe_u32 v0, v57, 16, 1
	v_cmp_o_f32_e32 vcc_lo, v57, v57
	v_mov_b32_e32 v5, 0x7fc0
	v_lshlrev_b64 v[2:3], 1, v[2:3]
	v_add3_u32 v0, v57, v0, 0x7fff
	v_cndmask_b32_sdwa v0, v5, v0, vcc_lo dst_sel:DWORD dst_unused:UNUSED_PAD src0_sel:DWORD src1_sel:WORD_1
	s_waitcnt lgkmcnt(0)
	v_add_co_u32 v2, vcc_lo, s12, v2
	v_add_co_ci_u32_e64 v3, null, s13, v3, vcc_lo
	global_store_short v[2:3], v0, off
	s_or_b32 exec_lo, exec_lo, s0
	s_and_b32 exec_lo, exec_lo, s3
	s_cbranch_execnz .LBB166_59
	s_branch .LBB166_60
	.section	.rodata,"a",@progbits
	.p2align	6, 0x0
	.amdhsa_kernel _ZL12mul_mat_q8_0IN3c108BFloat16ELb1EEvPKvS3_PT_iiiii
		.amdhsa_group_segment_fixed_size 28224
		.amdhsa_private_segment_fixed_size 0
		.amdhsa_kernarg_size 44
		.amdhsa_user_sgpr_count 6
		.amdhsa_user_sgpr_private_segment_buffer 1
		.amdhsa_user_sgpr_dispatch_ptr 0
		.amdhsa_user_sgpr_queue_ptr 0
		.amdhsa_user_sgpr_kernarg_segment_ptr 1
		.amdhsa_user_sgpr_dispatch_id 0
		.amdhsa_user_sgpr_flat_scratch_init 0
		.amdhsa_user_sgpr_private_segment_size 0
		.amdhsa_wavefront_size32 1
		.amdhsa_uses_dynamic_stack 0
		.amdhsa_system_sgpr_private_segment_wavefront_offset 0
		.amdhsa_system_sgpr_workgroup_id_x 1
		.amdhsa_system_sgpr_workgroup_id_y 1
		.amdhsa_system_sgpr_workgroup_id_z 0
		.amdhsa_system_sgpr_workgroup_info 0
		.amdhsa_system_vgpr_workitem_id 1
		.amdhsa_next_free_vgpr 156
		.amdhsa_next_free_sgpr 15
		.amdhsa_reserve_vcc 1
		.amdhsa_reserve_flat_scratch 0
		.amdhsa_float_round_mode_32 0
		.amdhsa_float_round_mode_16_64 0
		.amdhsa_float_denorm_mode_32 3
		.amdhsa_float_denorm_mode_16_64 3
		.amdhsa_dx10_clamp 1
		.amdhsa_ieee_mode 1
		.amdhsa_fp16_overflow 0
		.amdhsa_workgroup_processor_mode 1
		.amdhsa_memory_ordered 1
		.amdhsa_forward_progress 1
		.amdhsa_shared_vgpr_count 0
		.amdhsa_exception_fp_ieee_invalid_op 0
		.amdhsa_exception_fp_denorm_src 0
		.amdhsa_exception_fp_ieee_div_zero 0
		.amdhsa_exception_fp_ieee_overflow 0
		.amdhsa_exception_fp_ieee_underflow 0
		.amdhsa_exception_fp_ieee_inexact 0
		.amdhsa_exception_int_div_zero 0
	.end_amdhsa_kernel
	.section	.text._ZL12mul_mat_q8_0IN3c108BFloat16ELb1EEvPKvS3_PT_iiiii,"axG",@progbits,_ZL12mul_mat_q8_0IN3c108BFloat16ELb1EEvPKvS3_PT_iiiii,comdat
.Lfunc_end166:
	.size	_ZL12mul_mat_q8_0IN3c108BFloat16ELb1EEvPKvS3_PT_iiiii, .Lfunc_end166-_ZL12mul_mat_q8_0IN3c108BFloat16ELb1EEvPKvS3_PT_iiiii
                                        ; -- End function
	.set _ZL12mul_mat_q8_0IN3c108BFloat16ELb1EEvPKvS3_PT_iiiii.num_vgpr, 156
	.set _ZL12mul_mat_q8_0IN3c108BFloat16ELb1EEvPKvS3_PT_iiiii.num_agpr, 0
	.set _ZL12mul_mat_q8_0IN3c108BFloat16ELb1EEvPKvS3_PT_iiiii.numbered_sgpr, 15
	.set _ZL12mul_mat_q8_0IN3c108BFloat16ELb1EEvPKvS3_PT_iiiii.num_named_barrier, 0
	.set _ZL12mul_mat_q8_0IN3c108BFloat16ELb1EEvPKvS3_PT_iiiii.private_seg_size, 0
	.set _ZL12mul_mat_q8_0IN3c108BFloat16ELb1EEvPKvS3_PT_iiiii.uses_vcc, 1
	.set _ZL12mul_mat_q8_0IN3c108BFloat16ELb1EEvPKvS3_PT_iiiii.uses_flat_scratch, 0
	.set _ZL12mul_mat_q8_0IN3c108BFloat16ELb1EEvPKvS3_PT_iiiii.has_dyn_sized_stack, 0
	.set _ZL12mul_mat_q8_0IN3c108BFloat16ELb1EEvPKvS3_PT_iiiii.has_recursion, 0
	.set _ZL12mul_mat_q8_0IN3c108BFloat16ELb1EEvPKvS3_PT_iiiii.has_indirect_call, 0
	.section	.AMDGPU.csdata,"",@progbits
; Kernel info:
; codeLenInByte = 8432
; TotalNumSgprs: 17
; NumVgprs: 156
; ScratchSize: 0
; MemoryBound: 0
; FloatMode: 240
; IeeeMode: 1
; LDSByteSize: 28224 bytes/workgroup (compile time only)
; SGPRBlocks: 0
; VGPRBlocks: 19
; NumSGPRsForWavesPerEU: 17
; NumVGPRsForWavesPerEU: 156
; Occupancy: 6
; WaveLimiterHint : 0
; COMPUTE_PGM_RSRC2:SCRATCH_EN: 0
; COMPUTE_PGM_RSRC2:USER_SGPR: 6
; COMPUTE_PGM_RSRC2:TRAP_HANDLER: 0
; COMPUTE_PGM_RSRC2:TGID_X_EN: 1
; COMPUTE_PGM_RSRC2:TGID_Y_EN: 1
; COMPUTE_PGM_RSRC2:TGID_Z_EN: 0
; COMPUTE_PGM_RSRC2:TIDIG_COMP_CNT: 1
	.section	.text._ZL12mul_mat_q2_KIN3c108BFloat16ELb0EEvPKvS3_PT_iiiii,"axG",@progbits,_ZL12mul_mat_q2_KIN3c108BFloat16ELb0EEvPKvS3_PT_iiiii,comdat
	.globl	_ZL12mul_mat_q2_KIN3c108BFloat16ELb0EEvPKvS3_PT_iiiii ; -- Begin function _ZL12mul_mat_q2_KIN3c108BFloat16ELb0EEvPKvS3_PT_iiiii
	.p2align	8
	.type	_ZL12mul_mat_q2_KIN3c108BFloat16ELb0EEvPKvS3_PT_iiiii,@function
_ZL12mul_mat_q2_KIN3c108BFloat16ELb0EEvPKvS3_PT_iiiii: ; @_ZL12mul_mat_q2_KIN3c108BFloat16ELb0EEvPKvS3_PT_iiiii
; %bb.0:
	s_mov_b64 s[18:19], s[2:3]
	s_mov_b64 s[16:17], s[0:1]
	v_mov_b32_e32 v30, v1
	s_add_u32 s16, s16, s8
	s_clause 0x1
	s_load_dword s14, s[4:5], 0x18
	s_load_dwordx4 s[8:11], s[4:5], 0x20
	s_addc_u32 s17, s17, 0
	s_lshl_b32 s7, s7, 6
	v_add_nc_u32_e32 v1, s7, v30
	s_waitcnt lgkmcnt(0)
	s_cmpk_gt_i32 s14, 0xff
	s_cbranch_scc1 .LBB167_2
; %bb.1:
	v_add_nc_u32_e32 v2, s7, v30
	s_mov_b32 s0, 0
	s_branch .LBB167_3
.LBB167_2:
	s_mov_b32 s0, -1
                                        ; implicit-def: $vgpr2
.LBB167_3:
	s_load_dwordx2 s[12:13], s[4:5], 0x10
	v_mov_b32_e32 v37, 0
	v_mov_b32_e32 v41, 0
	;; [unrolled: 1-line block ×32, first 2 shown]
	s_andn2_b32 vcc_lo, exec_lo, s0
	s_lshl_b32 s6, s6, 7
	s_cbranch_vccnz .LBB167_17
; %bb.4:
	s_load_dwordx4 s[0:3], s[4:5], 0x0
	s_ashr_i32 s4, s14, 31
	s_ashr_i32 s5, s9, 31
	s_lshr_b32 s4, s4, 24
	s_lshr_b32 s5, s5, 27
	s_add_i32 s14, s14, s4
	s_add_i32 s5, s9, s5
	s_ashr_i32 s4, s14, 8
	v_lshlrev_b32_e32 v21, 4, v30
	s_mul_i32 s9, s4, s6
	v_lshrrev_b32_e32 v4, 1, v0
	v_and_b32_e32 v5, 7, v0
	s_ashr_i32 s11, s5, 5
	s_mul_i32 s5, s9, 0x54
	v_add_nc_u32_e32 v6, 8, v1
	v_add_nc_u32_e32 v7, 16, v1
	;; [unrolled: 1-line block ×6, first 2 shown]
	s_mul_hi_i32 s9, s9, 0x54
	s_waitcnt lgkmcnt(0)
	s_add_u32 s5, s0, s5
	s_addc_u32 s9, s1, s9
	s_add_i32 s1, s8, -1
	s_lshl_b32 s0, s4, 3
	v_cvt_f64_u32_e32 v[2:3], v1
	v_add_nc_u32_e32 v22, v4, v21
	v_cmp_lt_u32_e32 vcc_lo, 3, v5
	v_lshlrev_b32_e32 v25, 2, v5
	v_cvt_f64_u32_e32 v[4:5], v6
	v_cvt_f64_u32_e32 v[6:7], v7
	;; [unrolled: 1-line block ×6, first 2 shown]
	v_cvt_f64_i32_e32 v[18:19], s1
	v_mad_i32_i24 v67, s4, v30, s0
	v_add_nc_u32_e32 v16, 56, v1
	v_and_b32_e32 v62, 1, v0
	v_lshrrev_b32_e32 v64, 3, v0
	v_and_b32_e32 v26, 0x7f, v22
	v_add_nc_u32_e32 v69, s0, v67
	v_cvt_f64_u32_e32 v[16:17], v16
	v_lshlrev_b32_e32 v23, 2, v62
	v_lshl_add_u32 v24, v30, 2, v64
	v_lshrrev_b32_e32 v22, 2, v22
	v_add_nc_u32_e32 v72, s0, v69
	s_lshl_b32 s14, s4, 5
	v_lshl_or_b32 v23, v26, 3, v23
	v_and_b32_e32 v27, 0x7fc, v24
	v_add_nc_u32_e32 v29, 32, v24
	v_add_nc_u32_e32 v74, s0, v72
	v_and_b32_e32 v22, 28, v22
	v_mul_i32_i24_e32 v101, s4, v24
	v_lshlrev_b32_e32 v28, 5, v24
	v_mul_i32_i24_e32 v103, s4, v26
	v_add_nc_u32_e32 v77, s0, v74
	v_min_f64 v[2:3], v[2:3], v[18:19]
	v_min_f64 v[6:7], v[6:7], v[18:19]
	;; [unrolled: 1-line block ×6, first 2 shown]
	v_add_nc_u32_e32 v78, s0, v77
	v_min_f64 v[4:5], v[4:5], v[18:19]
	v_min_f64 v[16:17], v[16:17], v[18:19]
	v_lshrrev_b32_e32 v18, 2, v0
	v_add3_u32 v26, v27, v25, 0x6200
	v_add_nc_u32_e32 v80, s0, v78
	v_and_b32_e32 v27, 0xffc, v29
	v_add3_u32 v107, v23, v22, 0x7280
	v_lshl_add_u32 v18, v30, 3, v18
	v_mad_i32_i24 v108, s4, v24, s14
	v_add_nc_u32_e32 v85, s0, v80
	v_add_nc_u32_e32 v22, 64, v24
	;; [unrolled: 1-line block ×3, first 2 shown]
	v_lshlrev_b32_e32 v20, 2, v0
	v_add3_u32 v23, v27, v25, 0x6200
	v_add_nc_u32_e32 v91, s0, v85
	v_cvt_i32_f64_e32 v3, v[2:3]
	v_cvt_i32_f64_e32 v6, v[6:7]
	;; [unrolled: 1-line block ×6, first 2 shown]
	v_add_nc_u32_e32 v95, s0, v91
	v_cvt_i32_f64_e32 v4, v[4:5]
	v_and_b32_e32 v5, 63, v18
	v_cvt_i32_f64_e32 v15, v[16:17]
	v_lshlrev_b32_e32 v27, 5, v29
	v_add_nc_u32_e32 v99, s0, v95
	v_and_b32_e32 v29, 0xffc, v22
	v_or_b32_e32 v10, s7, v5
	v_and_b32_e32 v19, 0xffc, v24
	v_and_b32_e32 v2, 3, v0
	v_add_nc_u32_e32 v102, s0, v99
	v_add3_u32 v29, v29, v25, 0x6200
	v_min_i32_e32 v10, s1, v10
	v_add3_u32 v25, v19, v25, 0x6200
	v_lshlrev_b32_e32 v12, 2, v2
	v_add_nc_u32_e32 v105, s0, v102
	v_and_b32_e32 v14, 28, v20
	v_mad_u64_u32 v[18:19], null, v10, s11, v[2:3]
	v_add_nc_u32_e32 v10, 32, v0
	v_add_nc_u32_e32 v106, s0, v105
	v_mul_lo_u32 v120, s11, v11
	v_mul_lo_u32 v121, s11, v13
	v_mul_u32_u24_e32 v11, 33, v0
	v_add_nc_u32_e32 v13, 64, v0
	v_add_nc_u32_e32 v16, 0x60, v0
	v_mad_u32_u24 v73, 0x84, v30, v20
	v_mul_i32_i24_e32 v79, s4, v30
	v_add_nc_u32_e32 v109, s0, v106
	v_and_b32_e32 v8, 31, v0
	v_lshl_or_b32 v5, v5, 4, v12
	buffer_store_dword v30, off, s[16:19], 0 ; 4-byte Folded Spill
	v_lshlrev_b32_e32 v12, 7, v30
	v_lshlrev_b32_e32 v17, 1, v10
	v_lshrrev_b32_e32 v30, 4, v10
	v_lshlrev_b32_e32 v31, 1, v13
	v_lshrrev_b32_e32 v32, 4, v13
	v_lshlrev_b32_e32 v33, 1, v16
	v_lshrrev_b32_e32 v34, 4, v16
	v_lshrrev_b32_e32 v123, 3, v10
	v_lshrrev_b32_e32 v124, 3, v13
	;; [unrolled: 1-line block ×3, first 2 shown]
	v_add_co_u32 v19, s0, s2, v14
	v_lshlrev_b32_e32 v126, 2, v11
	v_lshlrev_b32_e32 v11, 5, v0
	v_and_b32_e32 v14, 0xfc, v0
	v_and_b32_e32 v10, 0x1fc, v10
	;; [unrolled: 1-line block ×4, first 2 shown]
	v_lshrrev_b32_e32 v60, 4, v0
	v_add_nc_u32_e32 v110, s14, v108
	v_lshlrev_b32_e32 v22, 5, v22
	v_lshlrev_b32_e32 v24, 5, v24
	v_lshl_or_b32 v8, v8, 2, 0x4200
	v_add_nc_u32_e32 v113, 0x76a0, v5
	v_mul_lo_u32 v114, s11, v3
	v_mul_lo_u32 v115, s11, v4
	v_add_nc_u32_e32 v2, 0x400, v12
	v_mul_lo_u32 v116, s11, v6
	v_add_nc_u32_e32 v3, 0x800, v12
	;; [unrolled: 2-line block ×4, first 2 shown]
	v_add_nc_u32_e32 v6, 0x1400, v12
	v_add_nc_u32_e32 v7, 0x1800, v12
	v_mul_lo_u32 v122, s11, v15
	v_add_nc_u32_e32 v9, 0x1c00, v12
	v_lshlrev_b32_e32 v15, 1, v0
	v_add_nc_u32_e32 v128, v11, v14
	v_add_nc_u32_e32 v129, v11, v10
	;; [unrolled: 1-line block ×4, first 2 shown]
	v_and_b32_e32 v71, 60, v20
	v_cndmask_b32_e64 v75, 0, 1, vcc_lo
	v_and_b32_e32 v76, 12, v20
	v_add_nc_u32_e32 v92, 0x2520, v73
	v_add_nc_u32_e32 v93, 0x2940, v73
	;; [unrolled: 1-line block ×8, first 2 shown]
	v_add_co_ci_u32_e64 v20, null, s3, 0, s0
	v_add_nc_u32_e32 v127, 0x76a0, v21
	v_add_nc_u32_e32 v132, 0x4200, v12
	;; [unrolled: 1-line block ×18, first 2 shown]
	v_lshlrev_b32_e32 v149, 2, v60
	v_lshlrev_b32_e32 v150, 2, v15
	;; [unrolled: 1-line block ×8, first 2 shown]
	v_mov_b32_e32 v157, 0xffff
	v_mov_b32_e32 v158, 15
	;; [unrolled: 1-line block ×34, first 2 shown]
	s_mov_b32 s11, 0
	buffer_store_dword v1, off, s[16:19], 0 offset:4 ; 4-byte Folded Spill
	s_branch .LBB167_6
.LBB167_5:                              ;   in Loop: Header=BB167_6 Depth=1
	s_add_i32 s11, s11, 2
	s_cmp_ge_i32 s11, s4
	s_cbranch_scc1 .LBB167_16
.LBB167_6:                              ; =>This Loop Header: Depth=1
                                        ;     Child Loop BB167_7 Depth 2
                                        ;     Child Loop BB167_9 Depth 2
	;; [unrolled: 1-line block ×4, first 2 shown]
	s_mul_i32 s0, s11, 0x54
	s_mul_hi_u32 s1, s11, 0x54
	s_add_u32 s0, s5, s0
	s_addc_u32 s1, s9, s1
	v_add_nc_u32_e32 v1, 0x420, v73
	v_mad_u64_u32 v[2:3], null, 0x54, v60, s[0:1]
	v_mov_b32_e32 v160, v132
	v_mov_b32_e32 v161, v127
	v_mad_u64_u32 v[4:5], null, 0x54, v79, v[2:3]
	v_add_co_u32 v4, vcc_lo, v4, v71
	v_add_co_ci_u32_e64 v5, null, 0, v5, vcc_lo
	global_load_dword v4, v[4:5], off offset:16
	s_waitcnt vmcnt(0)
	ds_write_b32 v73, v4
	v_mad_u64_u32 v[4:5], null, 0x54, v67, v[2:3]
	v_add_co_u32 v4, vcc_lo, v4, v71
	v_add_co_ci_u32_e64 v5, null, 0, v5, vcc_lo
	global_load_dword v4, v[4:5], off offset:16
	s_waitcnt vmcnt(0)
	ds_write_b32 v1, v4
	v_mad_u64_u32 v[4:5], null, 0x54, v69, v[2:3]
	v_add_nc_u32_e32 v1, 0x840, v73
	v_add_co_u32 v4, vcc_lo, v4, v71
	v_add_co_ci_u32_e64 v5, null, 0, v5, vcc_lo
	global_load_dword v4, v[4:5], off offset:16
	s_waitcnt vmcnt(0)
	ds_write_b32 v1, v4
	v_mad_u64_u32 v[4:5], null, 0x54, v72, v[2:3]
	v_add_nc_u32_e32 v1, 0xc60, v73
	;; [unrolled: 7-line block ×7, first 2 shown]
	v_add_co_u32 v4, vcc_lo, v4, v71
	v_add_co_ci_u32_e64 v5, null, 0, v5, vcc_lo
	global_load_dword v4, v[4:5], off offset:16
	s_waitcnt vmcnt(0)
	ds_write_b32 v1, v4
	v_mad_u64_u32 v[4:5], null, 0x54, v91, v[2:3]
	v_add_co_u32 v4, vcc_lo, v4, v71
	v_add_co_ci_u32_e64 v5, null, 0, v5, vcc_lo
	global_load_dword v4, v[4:5], off offset:16
	s_waitcnt vmcnt(0)
	ds_write_b32 v92, v4
	v_mad_u64_u32 v[4:5], null, 0x54, v95, v[2:3]
	;; [unrolled: 6-line block ×6, first 2 shown]
	v_mad_u64_u32 v[2:3], null, 0x54, v109, v[2:3]
	v_add_co_u32 v4, vcc_lo, v4, v71
	v_add_co_ci_u32_e64 v5, null, 0, v5, vcc_lo
	v_add_co_u32 v2, vcc_lo, v2, v71
	v_add_co_ci_u32_e64 v3, null, 0, v3, vcc_lo
	s_clause 0x1
	global_load_dword v4, v[4:5], off offset:16
	global_load_dword v2, v[2:3], off offset:16
	s_waitcnt vmcnt(1)
	ds_write_b32 v98, v4
	s_waitcnt vmcnt(0)
	ds_write_b32 v100, v2
	v_mad_u64_u32 v[2:3], null, 0x54, v103, s[0:1]
	v_mad_u64_u32 v[2:3], null, 0x54, v62, v[2:3]
	global_load_dword v2, v[2:3], off offset:80
	s_waitcnt vmcnt(0)
	ds_write_b32 v107, v2
	v_mad_u64_u32 v[2:3], null, 0x54, v75, s[0:1]
	s_lshl_b32 s0, s11, 3
	s_mov_b32 s1, 0
	v_add_nc_u32_e32 v159, s0, v18
	v_add_co_u32 v2, vcc_lo, v2, v76
	v_add_co_ci_u32_e64 v3, null, 0, v3, vcc_lo
	v_mad_u64_u32 v[4:5], null, 0x54, v101, v[2:3]
	global_load_dword v4, v[4:5], off
	s_waitcnt vmcnt(0)
	ds_write_b32 v137, v4
	v_mad_u64_u32 v[4:5], null, 0x54, v108, v[2:3]
	global_load_dword v4, v[4:5], off
	s_waitcnt vmcnt(0)
	ds_write_b32 v138, v4
	v_mad_u64_u32 v[4:5], null, 0x54, v110, v[2:3]
	v_mad_u64_u32 v[2:3], null, 0x54, v111, v[2:3]
	s_clause 0x1
	global_load_dword v4, v[4:5], off
	global_load_dword v2, v[2:3], off
	s_waitcnt vmcnt(1)
	ds_write_b32 v139, v4
	v_add_nc_u32_e32 v4, s0, v64
	s_waitcnt vmcnt(0)
	ds_write_b32 v140, v2
	v_add_nc_u32_e32 v2, v4, v114
	v_mad_i64_i32 v[2:3], null, v2, 36, v[19:20]
	global_load_dword v2, v[2:3], off offset:4
	s_waitcnt vmcnt(0)
	ds_write_b32 v141, v2
	v_add_nc_u32_e32 v2, v4, v115
	v_mad_i64_i32 v[2:3], null, v2, 36, v[19:20]
	global_load_dword v2, v[2:3], off offset:4
	;; [unrolled: 5-line block ×8, first 2 shown]
	s_waitcnt vmcnt(0)
	ds_write_b32 v148, v2
	v_mad_u64_u32 v[2:3], null, v159, 36, s[2:3]
	global_load_dword v2, v[2:3], off
	s_waitcnt vmcnt(0)
	v_cvt_f32_f16_e32 v2, v2
	ds_write_b32 v113, v2
	s_waitcnt lgkmcnt(0)
	s_waitcnt_vscnt null, 0x0
	s_barrier
	buffer_gl0_inv
.LBB167_7:                              ;   Parent Loop BB167_6 Depth=1
                                        ; =>  This Inner Loop Header: Depth=2
	s_and_b32 s15, s1, 0x3ffffff8
	s_and_b32 s14, s1, -16
	v_lshl_add_u32 v230, s15, 2, v126
	ds_read_b128 v[2:5], v160
	ds_read_b128 v[206:209], v160 offset:16
	ds_read_b128 v[177:180], v160 offset:1024
	ds_read_b128 v[14:17], v160 offset:1040
	ds_read_b128 v[181:184], v160 offset:2048
	ds_read_b128 v[10:13], v160 offset:2064
	ds_read_b128 v[185:188], v160 offset:3072
	ds_read_b128 v[6:9], v160 offset:3088
	v_add_nc_u32_e32 v191, 0x1080, v230
	v_add_nc_u32_e32 v193, 0x1088, v230
	s_add_i32 s14, s1, s14
	ds_read2_b32 v[175:176], v230 offset1:1
	ds_read2_b32 v[189:190], v230 offset0:2 offset1:3
	ds_read2_b32 v[222:223], v230 offset0:4 offset1:5
	;; [unrolled: 1-line block ×3, first 2 shown]
	v_add_nc_u32_e32 v195, 0x2100, v230
	v_add_nc_u32_e32 v198, 0x2108, v230
	;; [unrolled: 1-line block ×10, first 2 shown]
	ds_read2_b32 v[191:192], v191 offset1:1
	ds_read2_b32 v[193:194], v193 offset1:1
	;; [unrolled: 1-line block ×6, first 2 shown]
	ds_read_u16 v198, v31
	ds_read_u16 v33, v33
	ds_read2_b32 v[201:202], v203 offset1:1
	ds_read2_b32 v[203:204], v204 offset1:1
	ds_read_u16 v31, v36
	ds_read_u16 v36, v197
	v_mov_b32_e32 v28, 0
	v_mov_b32_e32 v21, 0
	;; [unrolled: 1-line block ×5, first 2 shown]
	s_waitcnt lgkmcnt(15)
	v_ashrrev_i32_e32 v175, s1, v175
	v_ashrrev_i32_e32 v176, s1, v176
	s_waitcnt lgkmcnt(14)
	v_ashrrev_i32_e32 v189, s1, v189
	v_mov_b32_e32 v164, 0
	v_mov_b32_e32 v166, 0
	v_and_b32_e32 v231, 0x3030303, v175
	v_and_b32_e32 v232, 0x3030303, v176
	;; [unrolled: 1-line block ×3, first 2 shown]
	s_waitcnt lgkmcnt(11)
	v_ashrrev_i32_e32 v175, s1, v191
	v_ashrrev_i32_e32 v176, s1, v192
	s_waitcnt lgkmcnt(10)
	v_ashrrev_i32_e32 v189, s1, v193
	v_ashrrev_i32_e32 v191, s1, v194
	;; [unrolled: 3-line block ×6, first 2 shown]
	v_bfe_u32 v201, v198, 4, 4
	v_bfe_u32 v202, v33, 4, 4
	s_waitcnt lgkmcnt(1)
	v_bfe_u32 v203, v31, 4, 4
	s_waitcnt lgkmcnt(0)
	v_bfe_u32 v204, v36, 4, 4
	v_mov_b32_e32 v168, 0
	v_mul_lo_u32 v243, 0x1010101, v201
	v_mul_lo_u32 v244, 0x1010101, v202
	;; [unrolled: 1-line block ×4, first 2 shown]
	v_and_b32_e32 v234, 0x3030303, v175
	v_and_b32_e32 v192, 0x3030303, v192
	;; [unrolled: 1-line block ×3, first 2 shown]
	v_dot4c_i32_i8 v28, v231, v2
	v_and_b32_e32 v235, 0x3030303, v176
	v_and_b32_e32 v193, 0x3030303, v193
	;; [unrolled: 1-line block ×3, first 2 shown]
	v_dot4c_i32_i8 v21, v234, v2
	v_dot4c_i32_i8 v23, v192, v2
	;; [unrolled: 1-line block ×7, first 2 shown]
	v_ashrrev_i32_e32 v190, s1, v190
	v_and_b32_e32 v236, 0x3030303, v189
	v_and_b32_e32 v237, 0x3030303, v194
	;; [unrolled: 1-line block ×3, first 2 shown]
	v_dot4c_i32_i8 v28, v232, v3
	v_dot4c_i32_i8 v21, v235, v3
	;; [unrolled: 1-line block ×8, first 2 shown]
	v_mov_b32_e32 v29, 0
	v_mov_b32_e32 v163, 0
	;; [unrolled: 1-line block ×8, first 2 shown]
	v_and_b32_e32 v190, 0x3030303, v190
	v_and_b32_e32 v191, 0x3030303, v191
	;; [unrolled: 1-line block ×4, first 2 shown]
	v_dot4c_i32_i8 v28, v233, v4
	v_dot4c_i32_i8 v21, v236, v4
	;; [unrolled: 1-line block ×24, first 2 shown]
	ds_read_b128 v[2:5], v160 offset:4096
	ds_read_b128 v[210:213], v160 offset:4112
	v_dot4c_i32_i8 v29, v232, v178
	v_dot4c_i32_i8 v22, v235, v178
	;; [unrolled: 1-line block ×8, first 2 shown]
	v_mov_b32_e32 v30, 0
	v_mov_b32_e32 v170, 0
	;; [unrolled: 1-line block ×8, first 2 shown]
	v_dot4c_i32_i8 v29, v233, v179
	v_dot4c_i32_i8 v22, v236, v179
	;; [unrolled: 1-line block ×24, first 2 shown]
	v_mov_b32_e32 v204, 0
	v_mov_b32_e32 v247, 0
	;; [unrolled: 1-line block ×8, first 2 shown]
	s_waitcnt lgkmcnt(1)
	v_dot4c_i32_i8 v204, v231, v2
	v_dot4c_i32_i8 v247, v234, v2
	;; [unrolled: 1-line block ×32, first 2 shown]
	ds_read_b128 v[2:5], v160 offset:5120
	ds_read_b128 v[214:217], v160 offset:5136
	v_dot4c_i32_i8 v30, v232, v182
	v_dot4c_i32_i8 v27, v235, v182
	;; [unrolled: 1-line block ×8, first 2 shown]
	v_mov_b32_e32 v32, 0
	v_mov_b32_e32 v174, 0
	;; [unrolled: 1-line block ×8, first 2 shown]
	v_dot4c_i32_i8 v30, v233, v183
	v_dot4c_i32_i8 v27, v236, v183
	;; [unrolled: 1-line block ×24, first 2 shown]
	v_mov_b32_e32 v248, 0
	v_mov_b32_e32 v249, 0
	;; [unrolled: 1-line block ×8, first 2 shown]
	s_waitcnt lgkmcnt(1)
	v_dot4c_i32_i8 v248, v231, v2
	v_dot4c_i32_i8 v249, v234, v2
	;; [unrolled: 1-line block ×32, first 2 shown]
	ds_read_b128 v[2:5], v160 offset:6144
	ds_read_b128 v[218:221], v160 offset:6160
	v_dot4c_i32_i8 v32, v232, v186
	v_dot4c_i32_i8 v201, v235, v186
	;; [unrolled: 1-line block ×24, first 2 shown]
	v_mov_b32_e32 v251, 0
	v_mov_b32_e32 v252, 0
	;; [unrolled: 1-line block ×8, first 2 shown]
	s_waitcnt lgkmcnt(1)
	v_dot4c_i32_i8 v251, v231, v2
	v_dot4c_i32_i8 v252, v234, v2
	;; [unrolled: 1-line block ×32, first 2 shown]
	ds_read_b128 v[194:197], v160 offset:7168
	ds_read_b128 v[2:5], v160 offset:7184
	v_mov_b32_e32 v255, 0
	v_mov_b32_e32 v55, 0
	v_ashrrev_i32_e32 v222, s1, v222
	v_ashrrev_i32_e32 v226, s1, v226
	;; [unrolled: 1-line block ×5, first 2 shown]
	v_and_b32_e32 v222, 0x3030303, v222
	v_and_b32_e32 v226, 0x3030303, v226
	v_ashrrev_i32_e32 v228, s1, v228
	v_and_b32_e32 v223, 0x3030303, v223
	v_and_b32_e32 v227, 0x3030303, v227
	v_ashrrev_i32_e32 v225, s1, v225
	v_ashrrev_i32_e32 v229, s1, v229
	v_and_b32_e32 v224, 0x3030303, v224
	v_and_b32_e32 v228, 0x3030303, v228
	v_mov_b32_e32 v81, 0
	v_and_b32_e32 v225, 0x3030303, v225
	s_waitcnt lgkmcnt(1)
	v_dot4c_i32_i8 v255, v231, v194
	v_mov_b32_e32 v231, 0
	v_dot4c_i32_i8 v55, v239, v194
	v_and_b32_e32 v229, 0x3030303, v229
	v_mov_b32_e32 v1, 0
	v_dot4c_i32_i8 v255, v232, v195
	v_dot4c_i32_i8 v231, v234, v194
	v_mov_b32_e32 v234, 0
	v_dot4c_i32_i8 v55, v240, v195
	v_dot4c_i32_i8 v81, v226, v6
	;; [unrolled: 1-line block ×5, first 2 shown]
	v_mov_b32_e32 v192, 0
	v_dot4c_i32_i8 v55, v241, v196
	v_dot4c_i32_i8 v255, v190, v197
	;; [unrolled: 1-line block ×4, first 2 shown]
	v_mov_b32_e32 v190, 0
	v_mov_b32_e32 v193, 0
	v_dot4c_i32_i8 v192, v245, v194
	v_dot4c_i32_i8 v231, v191, v197
	v_mov_b32_e32 v191, 0
	v_dot4c_i32_i8 v190, v243, v194
	v_dot4c_i32_i8 v193, v246, v194
	;; [unrolled: 1-line block ×8, first 2 shown]
	v_add_nc_u32_e32 v194, 0x1090, v230
	v_dot4c_i32_i8 v191, v244, v195
	v_dot4c_i32_i8 v190, v243, v196
	;; [unrolled: 1-line block ×6, first 2 shown]
	v_add_nc_u32_e32 v196, 0x1098, v230
	v_dot4c_i32_i8 v190, v243, v197
	v_dot4c_i32_i8 v192, v245, v197
	;; [unrolled: 1-line block ×4, first 2 shown]
	ds_read2_b32 v[194:195], v194 offset1:1
	ds_read2_b32 v[196:197], v196 offset1:1
	v_mov_b32_e32 v243, 0
	v_mov_b32_e32 v244, 0
	;; [unrolled: 1-line block ×4, first 2 shown]
	v_dot4c_i32_i8 v81, v227, v7
	v_mov_b32_e32 v82, 0
	v_dot4c_i32_i8 v244, v226, v206
	v_mov_b32_e32 v83, 0
	v_mov_b32_e32 v84, 0
	v_dot4c_i32_i8 v81, v228, v8
	v_dot4c_i32_i8 v82, v226, v210
	;; [unrolled: 1-line block ×3, first 2 shown]
	v_mov_b32_e32 v86, 0
	v_mov_b32_e32 v88, 0
	v_dot4c_i32_i8 v81, v229, v9
	v_dot4c_i32_i8 v82, v227, v211
	v_dot4c_i32_i8 v244, v228, v208
	v_dot4c_i32_i8 v86, v226, v214
	s_waitcnt lgkmcnt(1)
	v_ashrrev_i32_e32 v232, s1, v194
	v_add_nc_u32_e32 v194, 0x3190, v230
	s_waitcnt lgkmcnt(0)
	v_ashrrev_i32_e32 v235, s1, v196
	v_add_nc_u32_e32 v196, 0x3198, v230
	v_ashrrev_i32_e32 v233, s1, v195
	v_ashrrev_i32_e32 v236, s1, v197
	ds_read2_b32 v[194:195], v194 offset1:1
	ds_read2_b32 v[196:197], v196 offset1:1
	v_mov_b32_e32 v230, 0
	v_and_b32_e32 v232, 0x3030303, v232
	v_and_b32_e32 v233, 0x3030303, v233
	;; [unrolled: 1-line block ×4, first 2 shown]
	v_dot4c_i32_i8 v230, v222, v206
	v_dot4c_i32_i8 v243, v232, v206
	;; [unrolled: 1-line block ×12, first 2 shown]
	v_mov_b32_e32 v89, 0
	s_waitcnt lgkmcnt(1)
	v_ashrrev_i32_e32 v194, s1, v194
	s_waitcnt lgkmcnt(0)
	v_ashrrev_i32_e32 v196, s1, v196
	v_ashrrev_i32_e32 v195, s1, v195
	;; [unrolled: 1-line block ×3, first 2 shown]
	v_dot4c_i32_i8 v230, v225, v209
	v_and_b32_e32 v237, 0x3030303, v194
	v_and_b32_e32 v239, 0x3030303, v196
	v_and_b32_sdwa v196, v157, v31 dst_sel:DWORD dst_unused:UNUSED_PAD src0_sel:DWORD src1_sel:BYTE_1
	v_and_b32_e32 v238, 0x3030303, v195
	v_and_b32_sdwa v194, v157, v198 dst_sel:DWORD dst_unused:UNUSED_PAD src0_sel:DWORD src1_sel:BYTE_1
	v_and_b32_sdwa v195, v157, v33 dst_sel:DWORD dst_unused:UNUSED_PAD src0_sel:DWORD src1_sel:BYTE_1
	v_and_b32_e32 v240, 0x3030303, v197
	v_lshrrev_b32_e32 v241, 4, v196
	v_and_b32_sdwa v196, v157, v36 dst_sel:DWORD dst_unused:UNUSED_PAD src0_sel:DWORD src1_sel:BYTE_1
	v_lshrrev_b32_e32 v194, 4, v194
	v_lshrrev_b32_e32 v195, 4, v195
	v_dot4c_i32_i8 v245, v237, v206
	v_dot4c_i32_i8 v246, v237, v14
	v_lshrrev_b32_e32 v242, 4, v196
	v_mul_lo_u32 v197, 0x1010101, v194
	v_mul_lo_u32 v196, 0x1010101, v195
	;; [unrolled: 1-line block ×3, first 2 shown]
	v_mov_b32_e32 v241, 0
	v_mul_lo_u32 v194, 0x1010101, v242
	v_mov_b32_e32 v242, 0
	v_dot4c_i32_i8 v246, v238, v15
	v_dot4c_i32_i8 v1, v237, v6
	;; [unrolled: 1-line block ×7, first 2 shown]
	v_mov_b32_e32 v206, 0
	v_dot4c_i32_i8 v242, v226, v14
	v_dot4c_i32_i8 v163, v197, v14
	;; [unrolled: 1-line block ×29, first 2 shown]
	v_mov_b32_e32 v14, 0
	v_mov_b32_e32 v15, 0
	;; [unrolled: 1-line block ×4, first 2 shown]
	v_dot4c_i32_i8 v170, v197, v10
	v_dot4c_i32_i8 v14, v222, v10
	;; [unrolled: 1-line block ×16, first 2 shown]
	v_mov_b32_e32 v10, 0
	v_mov_b32_e32 v11, 0
	v_dot4c_i32_i8 v174, v197, v6
	v_dot4c_i32_i8 v175, v196, v6
	;; [unrolled: 1-line block ×35, first 2 shown]
	v_mov_b32_e32 v9, 0
	v_mov_b32_e32 v12, 0
	v_dot4c_i32_i8 v83, v237, v210
	v_dot4c_i32_i8 v178, v197, v210
	;; [unrolled: 1-line block ×7, first 2 shown]
	v_and_b32_e32 v6, 15, v198
	v_dot4c_i32_i8 v9, v223, v211
	v_dot4c_i32_i8 v12, v233, v211
	;; [unrolled: 1-line block ×7, first 2 shown]
	v_and_b32_sdwa v7, v198, v158 dst_sel:DWORD dst_unused:UNUSED_PAD src0_sel:BYTE_1 src1_sel:DWORD
	v_and_b32_e32 v198, 0xffff, v6
	v_dot4c_i32_i8 v9, v224, v212
	v_dot4c_i32_i8 v12, v235, v212
	;; [unrolled: 1-line block ×7, first 2 shown]
	v_mul_lo_u32 v6, v198, v28
	v_dot4c_i32_i8 v9, v225, v213
	v_dot4c_i32_i8 v12, v236, v213
	;; [unrolled: 1-line block ×7, first 2 shown]
	v_and_b32_e32 v213, 0xffff, v7
	v_dot4c_i32_i8 v14, v225, v13
	v_dot4c_i32_i8 v15, v236, v13
	;; [unrolled: 1-line block ×4, first 2 shown]
	v_mad_u64_u32 v[6:7], null, v213, v230, v[6:7]
	v_mul_lo_u32 v7, v29, v198
	v_dot4c_i32_i8 v170, v197, v13
	v_dot4c_i32_i8 v171, v196, v13
	;; [unrolled: 1-line block ×4, first 2 shown]
	v_mov_b32_e32 v13, 0
	v_dot4c_i32_i8 v245, v238, v207
	v_dot4c_i32_i8 v162, v197, v207
	v_mad_u64_u32 v[7:8], null, v206, v213, v[7:8]
	v_mul_lo_u32 v8, v30, v198
	v_dot4c_i32_i8 v164, v196, v207
	v_dot4c_i32_i8 v166, v195, v207
	;; [unrolled: 1-line block ×4, first 2 shown]
	v_mov_b32_e32 v211, 0
	v_dot4c_i32_i8 v245, v239, v208
	v_dot4c_i32_i8 v162, v197, v208
	v_mad_u64_u32 v[206:207], null, v14, v213, v[8:9]
	v_mul_lo_u32 v8, v32, v198
	v_dot4c_i32_i8 v164, v196, v208
	v_dot4c_i32_i8 v166, v195, v208
	;; [unrolled: 1-line block ×5, first 2 shown]
	v_mov_b32_e32 v212, 0
	v_dot4c_i32_i8 v243, v236, v209
	v_mad_u64_u32 v[207:208], null, v10, v213, v[8:9]
	v_mul_lo_u32 v8, v204, v198
	v_dot4c_i32_i8 v13, v224, v216
	v_dot4c_i32_i8 v245, v240, v209
	;; [unrolled: 1-line block ×7, first 2 shown]
	v_mad_u64_u32 v[208:209], null, v9, v213, v[8:9]
	v_mul_lo_u32 v8, v248, v198
	v_dot4c_i32_i8 v13, v225, v217
	v_dot4c_i32_i8 v212, v222, v2
	;; [unrolled: 1-line block ×3, first 2 shown]
	v_and_b32_sdwa v10, v33, v158 dst_sel:DWORD dst_unused:UNUSED_PAD src0_sel:BYTE_1 src1_sel:DWORD
	v_dot4c_i32_i8 v88, v237, v214
	v_dot4c_i32_i8 v182, v197, v214
	;; [unrolled: 1-line block ×3, first 2 shown]
	v_mad_u64_u32 v[209:210], null, v13, v213, v[8:9]
	v_mul_lo_u32 v8, v251, v198
	v_dot4c_i32_i8 v211, v225, v221
	v_dot4c_i32_i8 v212, v224, v4
	v_and_b32_e32 v10, 0xffff, v10
	v_dot4c_i32_i8 v183, v196, v214
	v_dot4c_i32_i8 v184, v195, v214
	;; [unrolled: 1-line block ×4, first 2 shown]
	v_mad_u64_u32 v[210:211], null, v211, v213, v[8:9]
	v_mul_lo_u32 v8, v255, v198
	v_dot4c_i32_i8 v88, v238, v215
	v_dot4c_i32_i8 v182, v197, v215
	;; [unrolled: 1-line block ×7, first 2 shown]
	v_mad_u64_u32 v[211:212], null, v212, v213, v[8:9]
	v_mov_b32_e32 v9, 0
	v_and_b32_e32 v8, 15, v33
	v_dot4c_i32_i8 v88, v239, v216
	v_dot4c_i32_i8 v182, v197, v216
	;; [unrolled: 1-line block ×4, first 2 shown]
	v_and_b32_e32 v14, 0xffff, v8
	v_dot4c_i32_i8 v184, v195, v216
	v_dot4c_i32_i8 v185, v194, v216
	v_mov_b32_e32 v216, 0
	v_dot4c_i32_i8 v9, v233, v3
	v_mul_lo_u32 v8, v14, v21
	v_dot4c_i32_i8 v84, v236, v217
	v_dot4c_i32_i8 v86, v229, v217
	;; [unrolled: 1-line block ×13, first 2 shown]
	v_mad_u64_u32 v[212:213], null, v10, v243, v[8:9]
	v_mul_lo_u32 v8, v22, v14
	v_dot4c_i32_i8 v89, v227, v219
	v_dot4c_i32_i8 v216, v236, v221
	v_mov_b32_e32 v90, 0
	v_dot4c_i32_i8 v186, v197, v218
	v_dot4c_i32_i8 v187, v196, v218
	;; [unrolled: 1-line block ×4, first 2 shown]
	v_mad_u64_u32 v[213:214], null, v241, v10, v[8:9]
	v_mul_lo_u32 v8, v27, v14
	v_dot4c_i32_i8 v89, v229, v221
	v_dot4c_i32_i8 v90, v237, v218
	v_dot4c_i32_i8 v189, v194, v218
	s_lshr_b32 s14, s1, 2
	v_dot4c_i32_i8 v190, v197, v2
	s_and_b32 s14, s14, 0x3ffffffc
	v_dot4c_i32_i8 v90, v238, v219
	v_mad_u64_u32 v[214:215], null, v15, v10, v[8:9]
	v_mul_lo_u32 v8, v201, v14
	s_addk_i32 s14, 0x7280
	v_dot4c_i32_i8 v90, v239, v220
	v_cvt_f32_i32_e32 v204, v213
	v_dot4c_i32_i8 v191, v196, v2
	v_dot4c_i32_i8 v192, v195, v2
	;; [unrolled: 1-line block ×4, first 2 shown]
	v_mad_u64_u32 v[29:30], null, v11, v10, v[8:9]
	v_mul_lo_u32 v8, v247, v14
	v_and_b32_sdwa v11, v31, v158 dst_sel:DWORD dst_unused:UNUSED_PAD src0_sel:BYTE_1 src1_sel:DWORD
	v_dot4c_i32_i8 v186, v197, v219
	v_dot4c_i32_i8 v187, v196, v219
	;; [unrolled: 1-line block ×4, first 2 shown]
	v_and_b32_e32 v11, 0xffff, v11
	v_dot4c_i32_i8 v190, v197, v3
	v_mad_u64_u32 v[27:28], null, v12, v10, v[8:9]
	v_mul_lo_u32 v8, v249, v14
	v_dot4c_i32_i8 v191, v196, v3
	v_dot4c_i32_i8 v192, v195, v3
	;; [unrolled: 1-line block ×7, first 2 shown]
	v_mad_u64_u32 v[21:22], null, v84, v10, v[8:9]
	v_mul_lo_u32 v8, v252, v14
	v_dot4c_i32_i8 v190, v197, v4
	v_dot4c_i32_i8 v191, v196, v4
	;; [unrolled: 1-line block ×7, first 2 shown]
	v_mad_u64_u32 v[12:13], null, v216, v10, v[8:9]
	v_mul_lo_u32 v8, v231, v14
	v_dot4c_i32_i8 v189, v194, v221
	v_dot4c_i32_i8 v190, v197, v5
	;; [unrolled: 1-line block ×5, first 2 shown]
	v_cvt_f32_i32_e32 v84, v171
	v_cvt_f32_i32_e32 v171, v185
	v_mad_u64_u32 v[8:9], null, v9, v10, v[8:9]
	v_mov_b32_e32 v10, 0
	v_and_b32_e32 v9, 15, v31
	v_cvt_f32_i32_e32 v21, v21
	v_cvt_f32_i32_e32 v12, v12
	v_add_nc_u32_e32 v160, 32, v160
	v_dot4c_i32_i8 v10, v226, v2
	v_and_b32_e32 v15, 0xffff, v9
	v_dot4c_i32_i8 v10, v227, v3
	v_mul_lo_u32 v9, v15, v23
	v_dot4c_i32_i8 v10, v228, v4
	v_dot4c_i32_i8 v10, v229, v5
	v_mad_u64_u32 v[215:216], null, v11, v244, v[9:10]
	v_mul_lo_u32 v9, v24, v15
	v_mad_u64_u32 v[216:217], null, v242, v11, v[9:10]
	v_mul_lo_u32 v9, v25, v15
	v_cvt_f32_i32_e32 v201, v216
	v_mad_u64_u32 v[32:33], null, v16, v11, v[9:10]
	v_mul_lo_u32 v9, v199, v15
	v_mad_u64_u32 v[30:31], null, v81, v11, v[9:10]
	v_mul_lo_u32 v9, v203, v15
	v_add3_u32 v81, s14, v153, v154
	v_cvt_f32_i32_e32 v203, v7
	v_cvt_f32_i32_e32 v30, v30
	v_mad_u64_u32 v[24:25], null, v82, v11, v[9:10]
	v_mul_lo_u32 v9, v250, v15
	v_add3_u32 v82, s14, v155, v156
	v_cvt_f32_i32_e32 v24, v24
	v_mad_u64_u32 v[22:23], null, v86, v11, v[9:10]
	v_mul_lo_u32 v9, v253, v15
	v_cvt_f32_i32_e32 v86, v172
	v_cvt_f32_i32_e32 v172, v186
	;; [unrolled: 1-line block ×3, first 2 shown]
	v_mad_u64_u32 v[13:14], null, v89, v11, v[9:10]
	v_mul_lo_u32 v9, v234, v15
	v_and_b32_sdwa v14, v36, v158 dst_sel:DWORD dst_unused:UNUSED_PAD src0_sel:BYTE_1 src1_sel:DWORD
	v_cvt_f32_i32_e32 v89, v174
	v_cvt_f32_i32_e32 v174, v188
	v_and_b32_e32 v28, 0xffff, v14
	v_cvt_f32_i32_e32 v13, v13
	v_mad_u64_u32 v[9:10], null, v10, v11, v[9:10]
	v_mov_b32_e32 v11, 0
	v_and_b32_e32 v10, 15, v36
	v_dot4c_i32_i8 v11, v237, v2
	v_and_b32_e32 v23, 0xffff, v10
	v_cvt_f32_i32_e32 v2, v9
	v_cvt_f32_i32_e32 v9, v165
	;; [unrolled: 1-line block ×3, first 2 shown]
	v_dot4c_i32_i8 v11, v238, v3
	v_mul_lo_u32 v10, v23, v26
	v_cvt_f32_i32_e32 v179, v193
	v_dot4c_i32_i8 v11, v239, v4
	v_cvt_f32_i32_e32 v4, v162
	v_cvt_f32_i32_e32 v162, v176
	;; [unrolled: 1-line block ×3, first 2 shown]
	v_dot4c_i32_i8 v11, v240, v5
	v_cvt_f32_i32_e32 v5, v163
	v_cvt_f32_i32_e32 v163, v177
	;; [unrolled: 1-line block ×3, first 2 shown]
	v_mad_u64_u32 v[198:199], null, v28, v245, v[10:11]
	v_mul_lo_u32 v10, v34, v23
	v_mad_u64_u32 v[217:218], null, v246, v28, v[10:11]
	v_mul_lo_u32 v10, v35, v23
	v_cvt_f32_i32_e32 v199, v217
	v_mad_u64_u32 v[35:36], null, v17, v28, v[10:11]
	v_mul_lo_u32 v10, v200, v23
	v_cvt_f32_i32_e32 v36, v206
	v_cvt_f32_i32_e32 v206, v212
	;; [unrolled: 1-line block ×5, first 2 shown]
	v_mad_u64_u32 v[33:34], null, v1, v28, v[10:11]
	v_mul_lo_u32 v10, v202, v23
	v_add3_u32 v1, s14, v149, v150
	v_cvt_f32_i32_e32 v34, v207
	v_cvt_f32_i32_e32 v207, v32
	ds_read2_b32 v[31:32], v161 offset0:64 offset1:96
	v_cvt_f32_i32_e32 v202, v215
	v_mad_u64_u32 v[25:26], null, v83, v28, v[10:11]
	v_mul_lo_u32 v10, v205, v23
	v_cvt_f32_i32_e32 v205, v6
	ds_read2_b32 v[6:7], v161 offset1:32
	v_cvt_f32_i32_e32 v83, v170
	v_cvt_f32_i32_e32 v170, v184
	;; [unrolled: 1-line block ×3, first 2 shown]
	v_mad_u64_u32 v[16:17], null, v88, v28, v[10:11]
	v_mul_lo_u32 v10, v254, v23
	v_cvt_f32_i32_e32 v17, v209
	v_cvt_f32_i32_e32 v209, v33
	;; [unrolled: 1-line block ×3, first 2 shown]
	ds_read2_b32 v[26:27], v161 offset0:192 offset1:224
	v_cvt_f32_i32_e32 v88, v173
	v_cvt_f32_i32_e32 v173, v187
	;; [unrolled: 1-line block ×3, first 2 shown]
	v_mad_u64_u32 v[14:15], null, v90, v28, v[10:11]
	v_mul_lo_u32 v10, v55, v23
	v_add3_u32 v55, s14, v151, v152
	v_cvt_f32_i32_e32 v23, v208
	v_cvt_f32_i32_e32 v15, v210
	;; [unrolled: 1-line block ×6, first 2 shown]
	v_mad_u64_u32 v[10:11], null, v11, v28, v[10:11]
	v_cvt_f32_i32_e32 v11, v211
	ds_read2_b32 v[28:29], v161 offset0:128 offset1:160
	ds_read_b32 v210, v1
	ds_read_b32 v211, v55
	;; [unrolled: 1-line block ×4, first 2 shown]
	v_cvt_f32_i32_e32 v1, v8
	v_cvt_f32_i32_e32 v8, v164
	;; [unrolled: 1-line block ×13, first 2 shown]
	v_add_nc_u32_e32 v161, 4, v161
	s_add_i32 s14, s1, 2
	s_cmp_lt_u32 s1, 6
	s_waitcnt lgkmcnt(3)
	v_cvt_f32_f16_sdwa v214, v210 dst_sel:DWORD dst_unused:UNUSED_PAD src0_sel:WORD_1
	s_waitcnt lgkmcnt(2)
	v_cvt_f32_f16_sdwa v215, v211 dst_sel:DWORD dst_unused:UNUSED_PAD src0_sel:WORD_1
	;; [unrolled: 2-line block ×4, first 2 shown]
	s_mov_b32 s1, s14
	v_mul_f32_e32 v4, v214, v4
	v_mul_f32_e32 v5, v214, v5
	;; [unrolled: 1-line block ×32, first 2 shown]
	v_fma_mix_f32 v4, v210, v205, -v4 op_sel_hi:[1,0,0]
	v_fma_mix_f32 v5, v210, v203, -v5 op_sel_hi:[1,0,0]
	;; [unrolled: 1-line block ×32, first 2 shown]
	v_fmac_f32_e32 v119, v6, v4
	v_fmac_f32_e32 v70, v7, v5
	;; [unrolled: 1-line block ×32, first 2 shown]
	s_cbranch_scc1 .LBB167_7
; %bb.8:                                ;   in Loop: Header=BB167_6 Depth=1
	v_add_nc_u32_e32 v1, s0, v123
	v_add_nc_u32_e32 v12, 4, v159
	s_barrier
	buffer_gl0_inv
	v_add_nc_u32_e32 v2, v1, v114
	v_add_nc_u32_e32 v4, v1, v115
	;; [unrolled: 1-line block ×5, first 2 shown]
	v_mad_u64_u32 v[12:13], null, v12, 36, s[2:3]
	v_mad_i64_i32 v[2:3], null, v2, 36, v[19:20]
	v_add_nc_u32_e32 v14, v1, v120
	v_mad_i64_i32 v[4:5], null, v4, 36, v[19:20]
	v_add_nc_u32_e32 v16, v1, v121
	;; [unrolled: 2-line block ×3, first 2 shown]
	v_mad_i64_i32 v[8:9], null, v8, 36, v[19:20]
	v_mad_i64_i32 v[10:11], null, v10, 36, v[19:20]
	;; [unrolled: 1-line block ×5, first 2 shown]
	s_clause 0x8
	global_load_dword v1, v[12:13], off
	global_load_dword v12, v[2:3], off offset:4
	global_load_dword v4, v[4:5], off offset:4
	;; [unrolled: 1-line block ×8, first 2 shown]
	v_mov_b32_e32 v2, v132
	v_mov_b32_e32 v3, v127
	s_mov_b32 s1, 8
	s_waitcnt vmcnt(8)
	v_cvt_f32_f16_e32 v1, v1
	s_waitcnt vmcnt(7)
	ds_write_b32 v141, v12
	s_waitcnt vmcnt(6)
	ds_write_b32 v142, v4
	;; [unrolled: 2-line block ×8, first 2 shown]
	ds_write_b32 v113, v1
	s_waitcnt lgkmcnt(0)
	s_barrier
	buffer_gl0_inv
.LBB167_9:                              ;   Parent Loop BB167_6 Depth=1
                                        ; =>  This Inner Loop Header: Depth=2
	s_and_b32 s15, s1, 0x3ffffff8
	s_add_i32 s14, s1, -8
	v_lshl_add_u32 v1, s15, 2, v126
	s_and_b32 s15, s1, -16
	v_mov_b32_e32 v208, 0
	s_add_i32 s15, s1, s15
	v_mov_b32_e32 v210, 0
	ds_read2_b32 v[4:5], v1 offset1:1
	v_add_nc_u32_e32 v10, s15, v128
	v_mov_b32_e32 v211, 0
	v_mov_b32_e32 v212, 0
	v_mov_b32_e32 v217, 0
	v_mov_b32_e32 v216, 0
	v_mov_b32_e32 v214, 0
	v_mov_b32_e32 v222, 0
	v_mov_b32_e32 v219, 0
	v_mov_b32_e32 v221, 0
	v_mov_b32_e32 v218, 0
	v_mov_b32_e32 v220, 0
	v_mov_b32_e32 v215, 0
	v_mov_b32_e32 v213, 0
	v_mov_b32_e32 v25, 0
	v_mov_b32_e32 v26, 0
	v_mov_b32_e32 v29, 0
	v_mov_b32_e32 v173, 0
	v_mov_b32_e32 v171, 0
	v_mov_b32_e32 v34, 0
	s_waitcnt lgkmcnt(0)
	v_ashrrev_i32_e32 v6, s14, v4
	v_ashrrev_i32_e32 v7, s14, v5
	ds_read2_b32 v[4:5], v1 offset0:2 offset1:3
	v_mov_b32_e32 v174, 0
	v_mov_b32_e32 v35, 0
	v_and_b32_e32 v28, 0x3030303, v6
	v_and_b32_e32 v55, 0x3030303, v7
	v_mov_b32_e32 v7, 0
	v_mov_b32_e32 v175, 0
	;; [unrolled: 1-line block ×3, first 2 shown]
	ds_read_b128 v[166:169], v2 offset:4096
	ds_read_b128 v[180:183], v2 offset:5120
	v_mov_b32_e32 v27, 0
	v_mov_b32_e32 v164, 0
	;; [unrolled: 1-line block ×10, first 2 shown]
	s_waitcnt lgkmcnt(2)
	v_ashrrev_i32_e32 v8, s14, v4
	v_add_nc_u32_e32 v4, 0x1080, v1
	v_ashrrev_i32_e32 v9, s14, v5
	ds_read_u16 v205, v10 offset:25088
	v_add_nc_u32_e32 v10, s15, v129
	v_and_b32_e32 v81, 0x3030303, v8
	ds_read2_b32 v[4:5], v4 offset1:1
	v_and_b32_e32 v82, 0x3030303, v9
	v_mov_b32_e32 v237, 0
	s_waitcnt lgkmcnt(2)
	v_dot4c_i32_i8 v177, v28, v180
	v_mov_b32_e32 v238, 0
	v_mov_b32_e32 v239, 0
	;; [unrolled: 1-line block ×4, first 2 shown]
	v_dot4c_i32_i8 v177, v55, v181
	v_mov_b32_e32 v242, 0
	v_mov_b32_e32 v243, 0
	;; [unrolled: 1-line block ×4, first 2 shown]
	v_dot4c_i32_i8 v177, v81, v182
	v_mov_b32_e32 v197, 0
	v_mov_b32_e32 v198, 0
	;; [unrolled: 1-line block ×3, first 2 shown]
	s_waitcnt lgkmcnt(1)
	v_bfe_u32 v6, v205, 4, 4
	v_dot4c_i32_i8 v177, v82, v183
	v_mov_b32_e32 v204, 0
	s_waitcnt lgkmcnt(0)
	v_ashrrev_i32_e32 v12, s14, v4
	v_add_nc_u32_e32 v4, 0x1088, v1
	v_ashrrev_i32_e32 v13, s14, v5
	ds_read_u16 v207, v10 offset:26112
	v_add_nc_u32_e32 v10, s15, v130
	v_mul_lo_u32 v83, 0x1010101, v6
	ds_read2_b32 v[4:5], v4 offset1:1
	v_and_b32_e32 v89, 0x3030303, v12
	v_and_b32_e32 v90, 0x3030303, v13
	v_mov_b32_e32 v12, 0
	v_mov_b32_e32 v13, 0
	;; [unrolled: 1-line block ×3, first 2 shown]
	v_dot4c_i32_i8 v176, v89, v180
	v_dot4c_i32_i8 v27, v83, v166
	v_mov_b32_e32 v202, 0
	v_mov_b32_e32 v203, 0
	;; [unrolled: 1-line block ×3, first 2 shown]
	v_dot4c_i32_i8 v176, v90, v181
	v_dot4c_i32_i8 v27, v83, v167
	ds_read_u16 v209, v10 offset:27136
	v_add_nc_u32_e32 v10, s15, v131
	ds_read_b128 v[30:33], v2 offset:2048
	ds_read_b128 v[160:163], v2 offset:3072
	s_waitcnt lgkmcnt(4)
	v_bfe_u32 v6, v207, 4, 4
	v_dot4c_i32_i8 v27, v83, v168
	ds_read_u16 v200, v10 offset:28160
	s_waitcnt lgkmcnt(4)
	v_ashrrev_i32_e32 v14, s14, v4
	v_add_nc_u32_e32 v4, 0x2100, v1
	v_ashrrev_i32_e32 v15, s14, v5
	ds_read_b128 v[8:11], v2
	v_mul_lo_u32 v84, 0x1010101, v6
	v_and_b32_e32 v14, 0x3030303, v14
	ds_read2_b32 v[4:5], v4 offset1:1
	v_and_b32_e32 v184, 0x3030303, v15
	v_mov_b32_e32 v15, 0
	v_dot4c_i32_i8 v27, v83, v169
	v_dot4c_i32_i8 v176, v14, v182
	ds_read_b128 v[223:226], v2 offset:6160
	s_waitcnt lgkmcnt(6)
	v_bfe_u32 v6, v209, 4, 4
	s_waitcnt lgkmcnt(5)
	v_dot4c_i32_i8 v25, v89, v30
	s_waitcnt lgkmcnt(4)
	v_dot4c_i32_i8 v173, v28, v160
	v_dot4c_i32_i8 v171, v89, v160
	v_mul_lo_u32 v86, 0x1010101, v6
	s_waitcnt lgkmcnt(3)
	v_bfe_u32 v6, v200, 4, 4
	v_dot4c_i32_i8 v25, v90, v31
	v_dot4c_i32_i8 v34, v84, v160
	v_dot4c_i32_i8 v173, v55, v161
	s_waitcnt lgkmcnt(2)
	v_dot4c_i32_i8 v208, v28, v8
	v_mul_lo_u32 v88, 0x1010101, v6
	v_dot4c_i32_i8 v210, v89, v8
	s_waitcnt lgkmcnt(1)
	v_ashrrev_i32_e32 v16, s14, v4
	v_add_nc_u32_e32 v4, 0x2108, v1
	v_ashrrev_i32_e32 v17, s14, v5
	v_dot4c_i32_i8 v217, v83, v8
	v_dot4c_i32_i8 v216, v84, v8
	v_and_b32_e32 v185, 0x3030303, v16
	ds_read2_b32 v[4:5], v4 offset1:1
	v_and_b32_e32 v186, 0x3030303, v17
	v_dot4c_i32_i8 v214, v86, v8
	v_dot4c_i32_i8 v7, v88, v8
	;; [unrolled: 1-line block ×18, first 2 shown]
	s_waitcnt lgkmcnt(0)
	v_ashrrev_i32_e32 v21, s14, v4
	v_add_nc_u32_e32 v4, 0x3180, v1
	v_ashrrev_i32_e32 v22, s14, v5
	v_dot4c_i32_i8 v217, v83, v11
	v_dot4c_i32_i8 v216, v84, v11
	v_and_b32_e32 v187, 0x3030303, v21
	ds_read2_b32 v[4:5], v4 offset1:1
	v_and_b32_e32 v188, 0x3030303, v22
	v_dot4c_i32_i8 v214, v86, v11
	v_dot4c_i32_i8 v7, v88, v11
	;; [unrolled: 1-line block ×18, first 2 shown]
	s_waitcnt lgkmcnt(0)
	v_ashrrev_i32_e32 v23, s14, v4
	v_add_nc_u32_e32 v4, 0x3188, v1
	v_ashrrev_i32_e32 v24, s14, v5
	v_dot4c_i32_i8 v34, v84, v161
	v_dot4c_i32_i8 v174, v186, v161
	v_and_b32_e32 v22, 0x3030303, v23
	ds_read2_b32 v[4:5], v4 offset1:1
	v_and_b32_e32 v189, 0x3030303, v24
	v_mov_b32_e32 v24, 0
	v_dot4c_i32_i8 v35, v86, v161
	v_dot4c_i32_i8 v212, v22, v8
	;; [unrolled: 1-line block ×17, first 2 shown]
	s_waitcnt lgkmcnt(0)
	v_ashrrev_i32_e32 v4, s14, v4
	v_ashrrev_i32_e32 v5, s14, v5
	v_dot4c_i32_i8 v24, v82, v33
	v_dot4c_i32_i8 v25, v184, v33
	;; [unrolled: 1-line block ×3, first 2 shown]
	v_and_b32_e32 v190, 0x3030303, v4
	v_and_b32_e32 v191, 0x3030303, v5
	v_dot4c_i32_i8 v12, v86, v33
	v_dot4c_i32_i8 v13, v88, v33
	;; [unrolled: 1-line block ×9, first 2 shown]
	ds_read_b128 v[8:11], v2 offset:1024
	v_dot4c_i32_i8 v29, v191, v33
	v_dot4c_i32_i8 v174, v188, v163
	;; [unrolled: 1-line block ×19, first 2 shown]
	s_waitcnt lgkmcnt(0)
	v_dot4c_i32_i8 v222, v28, v8
	v_dot4c_i32_i8 v219, v83, v8
	;; [unrolled: 1-line block ×32, first 2 shown]
	v_mov_b32_e32 v10, 0
	v_mov_b32_e32 v11, 0
	v_dot4c_i32_i8 v164, v188, v169
	v_dot4c_i32_i8 v165, v191, v169
	;; [unrolled: 1-line block ×5, first 2 shown]
	v_mov_b32_e32 v30, 0
	v_dot4c_i32_i8 v176, v184, v183
	v_dot4c_i32_i8 v178, v188, v183
	v_dot4c_i32_i8 v10, v83, v31
	v_dot4c_i32_i8 v11, v84, v31
	v_mov_b32_e32 v31, 0
	v_dot4c_i32_i8 v30, v84, v166
	v_dot4c_i32_i8 v179, v191, v183
	v_dot4c_i32_i8 v10, v83, v32
	v_dot4c_i32_i8 v11, v84, v32
	;; [unrolled: 5-line block ×3, first 2 shown]
	v_dot4c_i32_i8 v32, v83, v160
	v_mov_b32_e32 v33, 0
	v_dot4c_i32_i8 v31, v86, v167
	v_dot4c_i32_i8 v30, v84, v168
	;; [unrolled: 1-line block ×4, first 2 shown]
	v_mov_b32_e32 v161, 0
	v_dot4c_i32_i8 v33, v88, v166
	v_dot4c_i32_i8 v31, v86, v168
	;; [unrolled: 1-line block ×7, first 2 shown]
	v_mov_b32_e32 v23, 0
	v_dot4c_i32_i8 v32, v83, v163
	v_mov_b32_e32 v163, 0
	v_dot4c_i32_i8 v161, v55, v167
	v_dot4c_i32_i8 v33, v88, v168
	v_mov_b32_e32 v8, 0
	v_mov_b32_e32 v21, 0
	v_dot4c_i32_i8 v163, v89, v166
	v_dot4c_i32_i8 v161, v81, v168
	v_dot4c_i32_i8 v33, v88, v169
	v_mov_b32_e32 v6, 0
	v_mov_b32_e32 v17, 0
	v_dot4c_i32_i8 v163, v90, v167
	v_dot4c_i32_i8 v161, v82, v169
	v_mov_b32_e32 v167, 0
	v_mov_b32_e32 v5, 0
	;; [unrolled: 1-line block ×3, first 2 shown]
	v_dot4c_i32_i8 v163, v14, v168
	v_mov_b32_e32 v168, 0
	v_dot4c_i32_i8 v167, v83, v180
	v_mov_b32_e32 v4, 0
	v_mov_b32_e32 v166, 0
	v_dot4c_i32_i8 v163, v184, v169
	v_mov_b32_e32 v169, 0
	v_dot4c_i32_i8 v168, v84, v180
	v_dot4c_i32_i8 v167, v83, v181
	v_mov_b32_e32 v160, 0
	v_mov_b32_e32 v162, 0
	v_dot4c_i32_i8 v169, v86, v180
	v_dot4c_i32_i8 v168, v84, v181
	;; [unrolled: 1-line block ×3, first 2 shown]
	v_mov_b32_e32 v9, 0
	v_dot4c_i32_i8 v169, v86, v181
	v_dot4c_i32_i8 v168, v84, v182
	;; [unrolled: 1-line block ×6, first 2 shown]
	ds_read_b128 v[180:183], v2 offset:6144
	s_waitcnt lgkmcnt(0)
	v_dot4c_i32_i8 v23, v28, v180
	v_dot4c_i32_i8 v8, v83, v180
	;; [unrolled: 1-line block ×32, first 2 shown]
	ds_read_b128 v[180:183], v2 offset:7168
	s_waitcnt lgkmcnt(0)
	v_dot4c_i32_i8 v166, v89, v180
	v_dot4c_i32_i8 v170, v28, v180
	;; [unrolled: 1-line block ×3, first 2 shown]
	v_mov_b32_e32 v28, 0
	v_mov_b32_e32 v22, 0
	v_dot4c_i32_i8 v166, v90, v181
	v_dot4c_i32_i8 v162, v185, v180
	;; [unrolled: 1-line block ×6, first 2 shown]
	v_mov_b32_e32 v14, 0
	v_dot4c_i32_i8 v170, v55, v181
	v_dot4c_i32_i8 v162, v186, v181
	;; [unrolled: 1-line block ×10, first 2 shown]
	ds_read2_b32 v[180:181], v1 offset0:4 offset1:5
	v_dot4c_i32_i8 v22, v84, v182
	v_dot4c_i32_i8 v170, v82, v183
	;; [unrolled: 1-line block ×6, first 2 shown]
	v_add_nc_u32_e32 v84, 0x1090, v1
	v_add_nc_u32_e32 v90, 0x2110, v1
	v_dot4c_i32_i8 v9, v88, v183
	v_add_nc_u32_e32 v88, 0x1098, v1
	v_dot4c_i32_i8 v14, v86, v183
	v_dot4c_i32_i8 v166, v184, v183
	;; [unrolled: 1-line block ×6, first 2 shown]
	s_waitcnt lgkmcnt(0)
	v_ashrrev_i32_e32 v55, s14, v180
	v_ashrrev_i32_e32 v81, s14, v181
	ds_read2_b32 v[180:181], v1 offset0:6 offset1:7
	v_and_b32_e32 v55, 0x3030303, v55
	v_and_b32_e32 v81, 0x3030303, v81
	s_waitcnt lgkmcnt(0)
	v_ashrrev_i32_e32 v82, s14, v180
	v_ashrrev_i32_e32 v83, s14, v181
	ds_read2_b32 v[180:181], v84 offset1:1
	v_and_b32_e32 v82, 0x3030303, v82
	v_and_b32_e32 v83, 0x3030303, v83
	s_waitcnt lgkmcnt(0)
	v_ashrrev_i32_e32 v84, s14, v180
	v_ashrrev_i32_e32 v86, s14, v181
	ds_read2_b32 v[180:181], v88 offset1:1
	;; [unrolled: 6-line block ×3, first 2 shown]
	v_and_b32_e32 v88, 0x3030303, v88
	v_and_b32_e32 v89, 0x3030303, v89
	s_waitcnt lgkmcnt(0)
	v_ashrrev_i32_e32 v90, s14, v180
	v_add_nc_u32_e32 v180, 0x2118, v1
	v_ashrrev_i32_e32 v184, s14, v181
	v_and_b32_e32 v90, 0x3030303, v90
	ds_read2_b32 v[180:181], v180 offset1:1
	v_and_b32_e32 v206, 0x3030303, v184
	v_mov_b32_e32 v184, 0
	s_waitcnt lgkmcnt(0)
	v_ashrrev_i32_e32 v185, s14, v180
	v_add_nc_u32_e32 v180, 0x3190, v1
	v_ashrrev_i32_e32 v186, s14, v181
	v_add_nc_u32_e32 v1, 0x3198, v1
	v_and_b32_e32 v228, 0x3030303, v185
	ds_read2_b32 v[180:181], v180 offset1:1
	v_and_b32_e32 v229, 0x3030303, v186
	v_mov_b32_e32 v185, 0
	v_mov_b32_e32 v186, 0
	s_waitcnt lgkmcnt(0)
	v_ashrrev_i32_e32 v187, s14, v180
	v_ashrrev_i32_e32 v188, s14, v181
	ds_read2_b32 v[180:181], v1 offset1:1
	v_and_b32_e32 v230, 0x3030303, v187
	v_and_b32_e32 v231, 0x3030303, v188
	v_mov_b32_e32 v188, 0
	v_mov_b32_e32 v187, 0
	s_waitcnt lgkmcnt(0)
	v_ashrrev_i32_e32 v1, s14, v180
	v_and_b32_sdwa v180, v157, v205 dst_sel:DWORD dst_unused:UNUSED_PAD src0_sel:DWORD src1_sel:BYTE_1
	v_ashrrev_i32_e32 v189, s14, v181
	s_lshr_b32 s14, s1, 2
	v_and_b32_e32 v1, 0x3030303, v1
	v_lshrrev_b32_e32 v190, 4, v180
	v_and_b32_sdwa v180, v157, v207 dst_sel:DWORD dst_unused:UNUSED_PAD src0_sel:DWORD src1_sel:BYTE_1
	v_and_b32_e32 v232, 0x3030303, v189
	v_mov_b32_e32 v189, 0
	s_and_b32 s14, s14, 0x3ffffffc
	v_mul_lo_u32 v233, 0x1010101, v190
	v_lshrrev_b32_e32 v191, 4, v180
	v_and_b32_sdwa v180, v157, v209 dst_sel:DWORD dst_unused:UNUSED_PAD src0_sel:DWORD src1_sel:BYTE_1
	v_mov_b32_e32 v190, 0
	s_addk_i32 s14, 0x7280
	v_mul_lo_u32 v234, 0x1010101, v191
	v_lshrrev_b32_e32 v192, 4, v180
	v_and_b32_sdwa v180, v157, v200 dst_sel:DWORD dst_unused:UNUSED_PAD src0_sel:DWORD src1_sel:BYTE_1
	v_mov_b32_e32 v191, 0
	v_dot4c_i32_i8 v8, v233, v223
	v_mul_lo_u32 v235, 0x1010101, v192
	v_lshrrev_b32_e32 v193, 4, v180
	ds_read_b128 v[180:183], v2 offset:16
	v_mov_b32_e32 v192, 0
	v_dot4c_i32_i8 v6, v234, v223
	v_dot4c_i32_i8 v8, v233, v224
	v_mul_lo_u32 v236, 0x1010101, v193
	v_mov_b32_e32 v193, 0
	v_dot4c_i32_i8 v5, v235, v223
	v_dot4c_i32_i8 v6, v234, v224
	;; [unrolled: 1-line block ×10, first 2 shown]
	s_waitcnt lgkmcnt(0)
	v_dot4c_i32_i8 v227, v55, v180
	v_dot4c_i32_i8 v237, v84, v180
	;; [unrolled: 1-line block ×32, first 2 shown]
	ds_read_b128 v[180:183], v2 offset:1040
	v_dot4c_i32_i8 v4, v236, v225
	v_dot4c_i32_i8 v5, v235, v226
	v_cvt_f32_i32_e32 v6, v6
	v_dot4c_i32_i8 v4, v236, v226
	v_cvt_f32_i32_e32 v5, v5
	v_cvt_f32_i32_e32 v4, v4
	s_waitcnt lgkmcnt(0)
	v_dot4c_i32_i8 v240, v55, v180
	v_dot4c_i32_i8 v241, v84, v180
	;; [unrolled: 1-line block ×32, first 2 shown]
	ds_read_b128 v[180:183], v2 offset:2064
	s_waitcnt lgkmcnt(0)
	v_dot4c_i32_i8 v188, v55, v180
	v_dot4c_i32_i8 v185, v84, v180
	;; [unrolled: 1-line block ×32, first 2 shown]
	ds_read_b128 v[180:183], v2 offset:3088
	v_cvt_f32_i32_e32 v10, v10
	s_waitcnt lgkmcnt(0)
	v_dot4c_i32_i8 v199, v55, v180
	v_dot4c_i32_i8 v196, v84, v180
	;; [unrolled: 1-line block ×32, first 2 shown]
	ds_read_b128 v[180:183], v2 offset:4112
	s_waitcnt lgkmcnt(0)
	v_dot4c_i32_i8 v195, v55, v180
	v_dot4c_i32_i8 v191, v84, v180
	;; [unrolled: 1-line block ×32, first 2 shown]
	ds_read_b128 v[180:183], v2 offset:5136
	s_waitcnt lgkmcnt(0)
	v_dot4c_i32_i8 v204, v55, v180
	v_dot4c_i32_i8 v201, v84, v180
	v_dot4c_i32_i8 v202, v90, v180
	v_dot4c_i32_i8 v203, v230, v180
	v_dot4c_i32_i8 v167, v233, v180
	v_dot4c_i32_i8 v168, v234, v180
	v_dot4c_i32_i8 v169, v235, v180
	v_dot4c_i32_i8 v172, v236, v180
	v_dot4c_i32_i8 v204, v81, v181
	v_dot4c_i32_i8 v201, v86, v181
	v_dot4c_i32_i8 v202, v206, v181
	v_dot4c_i32_i8 v203, v231, v181
	v_dot4c_i32_i8 v167, v233, v181
	v_dot4c_i32_i8 v168, v234, v181
	v_dot4c_i32_i8 v169, v235, v181
	v_dot4c_i32_i8 v172, v236, v181
	v_dot4c_i32_i8 v204, v82, v182
	v_dot4c_i32_i8 v201, v88, v182
	v_dot4c_i32_i8 v202, v228, v182
	v_dot4c_i32_i8 v203, v1, v182
	v_dot4c_i32_i8 v167, v233, v182
	v_dot4c_i32_i8 v168, v234, v182
	v_dot4c_i32_i8 v169, v235, v182
	v_dot4c_i32_i8 v172, v236, v182
	v_dot4c_i32_i8 v204, v83, v183
	v_dot4c_i32_i8 v201, v89, v183
	v_dot4c_i32_i8 v202, v229, v183
	v_dot4c_i32_i8 v203, v232, v183
	v_dot4c_i32_i8 v167, v233, v183
	v_dot4c_i32_i8 v168, v234, v183
	v_dot4c_i32_i8 v169, v235, v183
	v_dot4c_i32_i8 v172, v236, v183
	v_mov_b32_e32 v183, 0
	v_mov_b32_e32 v182, 0
	;; [unrolled: 1-line block ×4, first 2 shown]
	v_dot4c_i32_i8 v183, v55, v223
	v_dot4c_i32_i8 v182, v84, v223
	v_dot4c_i32_i8 v181, v90, v223
	v_dot4c_i32_i8 v180, v230, v223
	v_dot4c_i32_i8 v183, v81, v224
	v_dot4c_i32_i8 v182, v86, v224
	v_dot4c_i32_i8 v181, v206, v224
	v_dot4c_i32_i8 v180, v231, v224
	v_dot4c_i32_i8 v183, v82, v225
	v_dot4c_i32_i8 v182, v88, v225
	v_dot4c_i32_i8 v181, v228, v225
	v_dot4c_i32_i8 v180, v1, v225
	v_dot4c_i32_i8 v183, v83, v226
	v_dot4c_i32_i8 v182, v89, v226
	v_dot4c_i32_i8 v181, v229, v226
	v_dot4c_i32_i8 v180, v232, v226
	ds_read_b128 v[223:226], v2 offset:7184
	v_add_nc_u32_e32 v2, 32, v2
	s_waitcnt lgkmcnt(0)
	v_dot4c_i32_i8 v184, v230, v223
	v_dot4c_i32_i8 v189, v90, v223
	;; [unrolled: 1-line block ×3, first 2 shown]
	v_and_b32_sdwa v55, v205, v158 dst_sel:DWORD dst_unused:UNUSED_PAD src0_sel:BYTE_1 src1_sel:DWORD
	v_dot4c_i32_i8 v190, v84, v223
	v_dot4c_i32_i8 v184, v231, v224
	;; [unrolled: 1-line block ×7, first 2 shown]
	v_and_b32_e32 v1, 15, v205
	v_dot4c_i32_i8 v9, v236, v223
	v_and_b32_e32 v205, 0xffff, v55
	v_dot4c_i32_i8 v194, v81, v224
	v_dot4c_i32_i8 v190, v86, v224
	v_and_b32_e32 v206, 0xffff, v1
	v_dot4c_i32_i8 v28, v233, v224
	v_dot4c_i32_i8 v22, v234, v224
	;; [unrolled: 1-line block ×4, first 2 shown]
	v_mul_lo_u32 v208, v206, v208
	v_and_b32_e32 v1, 15, v207
	v_dot4c_i32_i8 v194, v82, v225
	v_dot4c_i32_i8 v190, v88, v225
	;; [unrolled: 1-line block ×6, first 2 shown]
	v_mad_u64_u32 v[223:224], null, v205, v227, v[208:209]
	v_mul_lo_u32 v208, v222, v206
	v_dot4c_i32_i8 v9, v236, v225
	v_and_b32_sdwa v55, v207, v158 dst_sel:DWORD dst_unused:UNUSED_PAD src0_sel:BYTE_1 src1_sel:DWORD
	v_dot4c_i32_i8 v194, v83, v226
	v_dot4c_i32_i8 v190, v89, v226
	;; [unrolled: 1-line block ×4, first 2 shown]
	v_and_b32_e32 v207, 0xffff, v55
	v_mad_u64_u32 v[224:225], null, v240, v205, v[208:209]
	v_and_b32_e32 v208, 0xffff, v1
	v_dot4c_i32_i8 v28, v233, v226
	v_dot4c_i32_i8 v22, v234, v226
	;; [unrolled: 1-line block ×4, first 2 shown]
	v_mul_lo_u32 v210, v208, v210
	v_and_b32_e32 v1, 15, v209
	v_and_b32_sdwa v55, v209, v158 dst_sel:DWORD dst_unused:UNUSED_PAD src0_sel:BYTE_1 src1_sel:DWORD
	v_cvt_f32_i32_e32 v225, v223
	v_cvt_f32_i32_e32 v224, v224
	;; [unrolled: 1-line block ×3, first 2 shown]
	v_and_b32_e32 v209, 0xffff, v55
	v_mad_u64_u32 v[226:227], null, v207, v237, v[210:211]
	v_mul_lo_u32 v210, v221, v208
	v_and_b32_sdwa v55, v200, v158 dst_sel:DWORD dst_unused:UNUSED_PAD src0_sel:BYTE_1 src1_sel:DWORD
	v_cvt_f32_i32_e32 v223, v226
	v_mad_u64_u32 v[221:222], null, v241, v207, v[210:211]
	v_and_b32_e32 v210, 0xffff, v1
	v_and_b32_e32 v1, 15, v200
	;; [unrolled: 1-line block ×3, first 2 shown]
	v_mul_lo_u32 v211, v210, v211
	v_cvt_f32_i32_e32 v222, v221
	v_mad_u64_u32 v[227:228], null, v209, v238, v[211:212]
	v_mul_lo_u32 v211, v220, v210
	v_cvt_f32_i32_e32 v221, v227
	v_mad_u64_u32 v[228:229], null, v242, v209, v[211:212]
	v_and_b32_e32 v211, 0xffff, v1
	v_add3_u32 v1, s14, v149, v150
	v_mul_lo_u32 v212, v211, v212
	ds_read_b32 v226, v1
	v_cvt_f32_i32_e32 v1, v217
	v_cvt_f32_i32_e32 v220, v228
	v_mad_u64_u32 v[229:230], null, v200, v239, v[212:213]
	v_mul_lo_u32 v212, v213, v211
	v_mad_u64_u32 v[212:213], null, v243, v200, v[212:213]
	v_cvt_f32_i32_e32 v213, v229
	s_waitcnt lgkmcnt(0)
	v_cvt_f32_f16_sdwa v227, v226 dst_sel:DWORD dst_unused:UNUSED_PAD src0_sel:WORD_1
	v_mul_f32_e32 v1, v227, v1
	v_cvt_f32_i32_e32 v212, v212
	v_mul_f32_e32 v10, v227, v10
	v_fma_mix_f32 v225, v226, v225, -v1 op_sel_hi:[1,0,0]
	v_cvt_f32_i32_e32 v1, v219
	v_mul_f32_e32 v1, v227, v1
	v_fma_mix_f32 v219, v226, v224, -v1 op_sel_hi:[1,0,0]
	v_add3_u32 v1, s14, v151, v152
	ds_read_b32 v217, v1
	v_cvt_f32_i32_e32 v1, v216
	s_waitcnt lgkmcnt(0)
	v_cvt_f32_f16_sdwa v216, v217 dst_sel:DWORD dst_unused:UNUSED_PAD src0_sel:WORD_1
	v_mul_f32_e32 v1, v216, v1
	v_mul_f32_e32 v6, v216, v6
	v_fma_mix_f32 v223, v217, v223, -v1 op_sel_hi:[1,0,0]
	v_cvt_f32_i32_e32 v1, v218
	v_mul_f32_e32 v1, v216, v1
	v_fma_mix_f32 v222, v217, v222, -v1 op_sel_hi:[1,0,0]
	v_add3_u32 v1, s14, v153, v154
	ds_read_b32 v218, v1
	v_cvt_f32_i32_e32 v1, v214
	s_waitcnt lgkmcnt(0)
	v_cvt_f32_f16_sdwa v214, v218 dst_sel:DWORD dst_unused:UNUSED_PAD src0_sel:WORD_1
	v_mul_f32_e32 v1, v214, v1
	v_mul_f32_e32 v5, v214, v5
	v_fma_mix_f32 v221, v218, v221, -v1 op_sel_hi:[1,0,0]
	v_cvt_f32_i32_e32 v1, v215
	v_mul_f32_e32 v1, v214, v1
	v_fma_mix_f32 v220, v218, v220, -v1 op_sel_hi:[1,0,0]
	v_add3_u32 v1, s14, v155, v156
	s_add_i32 s14, s1, 2
	s_cmp_lt_u32 s1, 14
	s_mov_b32 s1, s14
	ds_read_b32 v215, v1
	v_cvt_f32_i32_e32 v1, v7
	v_cvt_f32_i32_e32 v7, v15
	s_waitcnt lgkmcnt(0)
	v_cvt_f32_f16_sdwa v55, v215 dst_sel:DWORD dst_unused:UNUSED_PAD src0_sel:WORD_1
	v_mul_f32_e32 v1, v55, v1
	v_mul_f32_e32 v7, v55, v7
	;; [unrolled: 1-line block ×4, first 2 shown]
	v_fma_mix_f32 v1, v215, v213, -v1 op_sel_hi:[1,0,0]
	v_fma_mix_f32 v7, v215, v212, -v7 op_sel_hi:[1,0,0]
	ds_read2_b32 v[212:213], v3 offset1:32
	s_waitcnt lgkmcnt(0)
	v_fmac_f32_e32 v65, v213, v7
	v_mul_lo_u32 v7, v24, v206
	v_fmac_f32_e32 v119, v212, v225
	v_fmac_f32_e32 v70, v213, v219
	;; [unrolled: 1-line block ×7, first 2 shown]
	v_mad_u64_u32 v[212:213], null, v188, v205, v[7:8]
	v_mul_lo_u32 v7, v173, v206
	v_cvt_f32_i32_e32 v1, v212
	v_mad_u64_u32 v[219:220], null, v199, v205, v[7:8]
	v_mul_lo_u32 v7, v25, v208
	v_fma_mix_f32 v1, v226, v1, -v10 op_sel_hi:[1,0,0]
	v_cvt_f32_i32_e32 v10, v11
	v_mul_f32_e32 v10, v216, v10
	v_mad_u64_u32 v[24:25], null, v185, v207, v[7:8]
	v_mul_lo_u32 v7, v26, v210
	v_cvt_f32_i32_e32 v15, v24
	v_mad_u64_u32 v[25:26], null, v186, v209, v[7:8]
	v_mul_lo_u32 v7, v29, v211
	v_fma_mix_f32 v15, v217, v15, -v10 op_sel_hi:[1,0,0]
	v_cvt_f32_i32_e32 v10, v12
	v_cvt_f32_i32_e32 v24, v25
	v_mul_f32_e32 v10, v214, v10
	v_mad_u64_u32 v[185:186], null, v187, v200, v[7:8]
	v_mul_lo_u32 v7, v171, v208
	v_fma_mix_f32 v12, v218, v24, -v10 op_sel_hi:[1,0,0]
	v_cvt_f32_i32_e32 v10, v13
	v_cvt_f32_i32_e32 v25, v185
	v_mad_u64_u32 v[186:187], null, v196, v207, v[7:8]
	v_mul_lo_u32 v7, v174, v210
	v_mul_f32_e32 v10, v55, v10
	v_fma_mix_f32 v13, v215, v25, -v10 op_sel_hi:[1,0,0]
	v_cvt_f32_i32_e32 v10, v32
	v_mad_u64_u32 v[173:174], null, v197, v209, v[7:8]
	v_mul_lo_u32 v7, v175, v211
	v_cvt_f32_i32_e32 v26, v186
	v_mul_f32_e32 v10, v227, v10
	v_cvt_f32_i32_e32 v29, v173
	v_mad_u64_u32 v[174:175], null, v198, v200, v[7:8]
	v_cvt_f32_i32_e32 v7, v219
	v_fma_mix_f32 v7, v226, v7, -v10 op_sel_hi:[1,0,0]
	v_cvt_f32_i32_e32 v10, v34
	v_cvt_f32_i32_e32 v81, v174
	v_mul_f32_e32 v10, v216, v10
	v_fma_mix_f32 v24, v217, v26, -v10 op_sel_hi:[1,0,0]
	v_cvt_f32_i32_e32 v10, v35
	v_mul_f32_e32 v10, v214, v10
	v_fma_mix_f32 v25, v218, v29, -v10 op_sel_hi:[1,0,0]
	;; [unrolled: 3-line block ×3, first 2 shown]
	ds_read2_b32 v[10:11], v3 offset0:64 offset1:96
	s_waitcnt lgkmcnt(0)
	v_fmac_f32_e32 v57, v11, v7
	v_mul_lo_u32 v7, v161, v206
	v_fmac_f32_e32 v63, v10, v1
	v_fmac_f32_e32 v61, v10, v15
	;; [unrolled: 1-line block ×7, first 2 shown]
	v_mad_u64_u32 v[10:11], null, v195, v205, v[7:8]
	v_mul_lo_u32 v7, v177, v206
	v_cvt_f32_i32_e32 v1, v10
	v_mad_u64_u32 v[11:12], null, v204, v205, v[7:8]
	v_mul_lo_u32 v7, v163, v208
	v_mad_u64_u32 v[12:13], null, v191, v207, v[7:8]
	v_mul_lo_u32 v7, v164, v210
	v_cvt_f32_i32_e32 v10, v12
	v_mad_u64_u32 v[24:25], null, v192, v209, v[7:8]
	v_mul_lo_u32 v7, v165, v211
	v_mad_u64_u32 v[25:26], null, v193, v200, v[7:8]
	v_mul_lo_u32 v7, v176, v208
	v_cvt_f32_i32_e32 v12, v25
	v_cvt_f32_i32_e32 v25, v27
	v_mad_u64_u32 v[34:35], null, v201, v207, v[7:8]
	v_mul_lo_u32 v7, v178, v210
	v_mul_f32_e32 v25, v227, v25
	v_cvt_f32_i32_e32 v13, v34
	v_fma_mix_f32 v1, v226, v1, -v25 op_sel_hi:[1,0,0]
	v_cvt_f32_i32_e32 v25, v30
	v_mad_u64_u32 v[35:36], null, v202, v209, v[7:8]
	v_mul_lo_u32 v7, v179, v211
	v_mul_f32_e32 v25, v216, v25
	v_cvt_f32_i32_e32 v15, v35
	v_fma_mix_f32 v25, v217, v10, -v25 op_sel_hi:[1,0,0]
	v_cvt_f32_i32_e32 v10, v31
	v_mad_u64_u32 v[163:164], null, v203, v200, v[7:8]
	v_cvt_f32_i32_e32 v7, v11
	v_cvt_f32_i32_e32 v11, v24
	v_mul_f32_e32 v10, v214, v10
	v_cvt_f32_i32_e32 v24, v163
	v_fma_mix_f32 v26, v218, v11, -v10 op_sel_hi:[1,0,0]
	v_cvt_f32_i32_e32 v10, v33
	v_mul_f32_e32 v10, v55, v10
	v_fma_mix_f32 v12, v215, v12, -v10 op_sel_hi:[1,0,0]
	v_cvt_f32_i32_e32 v10, v167
	v_mul_f32_e32 v10, v227, v10
	;; [unrolled: 3-line block ×5, first 2 shown]
	v_fma_mix_f32 v24, v215, v24, -v10 op_sel_hi:[1,0,0]
	ds_read2_b32 v[10:11], v3 offset0:128 offset1:160
	s_waitcnt lgkmcnt(0)
	v_fmac_f32_e32 v48, v11, v7
	v_mul_lo_u32 v7, v23, v206
	v_fmac_f32_e32 v52, v10, v1
	v_fmac_f32_e32 v51, v10, v25
	;; [unrolled: 1-line block ×7, first 2 shown]
	v_mad_u64_u32 v[10:11], null, v183, v205, v[7:8]
	v_mul_lo_u32 v7, v170, v206
	v_cvt_f32_i32_e32 v1, v10
	v_cvt_f32_i32_e32 v10, v28
	v_mad_u64_u32 v[11:12], null, v194, v205, v[7:8]
	v_mul_lo_u32 v7, v21, v208
	v_mul_f32_e32 v10, v227, v10
	v_mad_u64_u32 v[12:13], null, v182, v207, v[7:8]
	v_mul_lo_u32 v7, v166, v208
	v_mad_u64_u32 v[23:24], null, v190, v207, v[7:8]
	v_mul_lo_u32 v7, v17, v210
	;; [unrolled: 2-line block ×5, first 2 shown]
	v_mad_u64_u32 v[16:17], null, v184, v200, v[7:8]
	v_cvt_f32_i32_e32 v8, v8
	v_cvt_f32_i32_e32 v7, v11
	;; [unrolled: 1-line block ×3, first 2 shown]
	v_mul_f32_e32 v8, v227, v8
	v_fma_mix_f32 v7, v226, v7, -v10 op_sel_hi:[1,0,0]
	v_cvt_f32_i32_e32 v10, v23
	v_mul_f32_e32 v11, v216, v11
	v_fma_mix_f32 v1, v226, v1, -v8 op_sel_hi:[1,0,0]
	v_cvt_f32_i32_e32 v8, v12
	v_cvt_f32_i32_e32 v12, v14
	v_fma_mix_f32 v6, v217, v8, -v6 op_sel_hi:[1,0,0]
	v_fma_mix_f32 v8, v217, v10, -v11 op_sel_hi:[1,0,0]
	v_cvt_f32_i32_e32 v10, v24
	v_cvt_f32_i32_e32 v11, v25
	v_mul_f32_e32 v12, v214, v12
	v_fma_mix_f32 v10, v218, v10, -v5 op_sel_hi:[1,0,0]
	v_cvt_f32_i32_e32 v5, v15
	v_fma_mix_f32 v11, v218, v11, -v12 op_sel_hi:[1,0,0]
	v_cvt_f32_i32_e32 v12, v16
	v_fma_mix_f32 v13, v215, v5, -v4 op_sel_hi:[1,0,0]
	ds_read2_b32 v[4:5], v3 offset0:192 offset1:224
	v_fma_mix_f32 v9, v215, v12, -v9 op_sel_hi:[1,0,0]
	v_add_nc_u32_e32 v3, 4, v3
	s_waitcnt lgkmcnt(0)
	v_fmac_f32_e32 v44, v4, v1
	v_fmac_f32_e32 v43, v4, v6
	;; [unrolled: 1-line block ×8, first 2 shown]
	s_cbranch_scc1 .LBB167_9
; %bb.10:                               ;   in Loop: Header=BB167_6 Depth=1
	s_or_b32 s1, s11, 1
	s_cmp_ge_i32 s1, s4
	s_barrier
	buffer_gl0_inv
	s_cbranch_scc1 .LBB167_5
; %bb.11:                               ;   in Loop: Header=BB167_6 Depth=1
	v_add_nc_u32_e32 v1, s0, v124
	v_add_nc_u32_e32 v12, 8, v159
	s_mov_b32 s1, 16
	v_add_nc_u32_e32 v2, v1, v114
	v_add_nc_u32_e32 v4, v1, v115
	;; [unrolled: 1-line block ×5, first 2 shown]
	v_mad_u64_u32 v[12:13], null, v12, 36, s[2:3]
	v_mad_i64_i32 v[2:3], null, v2, 36, v[19:20]
	v_add_nc_u32_e32 v14, v1, v120
	v_mad_i64_i32 v[4:5], null, v4, 36, v[19:20]
	v_add_nc_u32_e32 v16, v1, v121
	;; [unrolled: 2-line block ×3, first 2 shown]
	v_mad_i64_i32 v[8:9], null, v8, 36, v[19:20]
	v_mad_i64_i32 v[10:11], null, v10, 36, v[19:20]
	;; [unrolled: 1-line block ×5, first 2 shown]
	s_clause 0x8
	global_load_dword v1, v[12:13], off
	global_load_dword v12, v[2:3], off offset:4
	global_load_dword v4, v[4:5], off offset:4
	;; [unrolled: 1-line block ×8, first 2 shown]
	v_mov_b32_e32 v2, v132
	v_mov_b32_e32 v3, v127
	s_waitcnt vmcnt(8)
	v_cvt_f32_f16_e32 v1, v1
	s_waitcnt vmcnt(7)
	ds_write_b32 v141, v12
	s_waitcnt vmcnt(6)
	ds_write_b32 v142, v4
	;; [unrolled: 2-line block ×8, first 2 shown]
	ds_write_b32 v113, v1
	s_waitcnt lgkmcnt(0)
	s_barrier
	buffer_gl0_inv
.LBB167_12:                             ;   Parent Loop BB167_6 Depth=1
                                        ; =>  This Inner Loop Header: Depth=2
	s_and_b32 s15, s1, 0x3ffffff8
	s_add_i32 s14, s1, -16
	v_lshl_add_u32 v1, s15, 2, v126
	s_and_b32 s15, s1, -16
	v_mov_b32_e32 v208, 0
	s_add_i32 s15, s1, s15
	v_mov_b32_e32 v210, 0
	ds_read2_b32 v[4:5], v1 offset1:1
	v_add_nc_u32_e32 v10, s15, v128
	v_mov_b32_e32 v211, 0
	v_mov_b32_e32 v212, 0
	;; [unrolled: 1-line block ×18, first 2 shown]
	s_waitcnt lgkmcnt(0)
	v_ashrrev_i32_e32 v6, s14, v4
	v_ashrrev_i32_e32 v7, s14, v5
	ds_read2_b32 v[4:5], v1 offset0:2 offset1:3
	v_mov_b32_e32 v174, 0
	v_mov_b32_e32 v35, 0
	v_and_b32_e32 v28, 0x3030303, v6
	v_and_b32_e32 v55, 0x3030303, v7
	v_mov_b32_e32 v7, 0
	v_mov_b32_e32 v175, 0
	v_mov_b32_e32 v36, 0
	ds_read_b128 v[166:169], v2 offset:4096
	ds_read_b128 v[180:183], v2 offset:5120
	v_mov_b32_e32 v27, 0
	v_mov_b32_e32 v164, 0
	;; [unrolled: 1-line block ×10, first 2 shown]
	s_waitcnt lgkmcnt(2)
	v_ashrrev_i32_e32 v8, s14, v4
	v_add_nc_u32_e32 v4, 0x1080, v1
	v_ashrrev_i32_e32 v9, s14, v5
	ds_read_u16 v205, v10 offset:25072
	v_add_nc_u32_e32 v10, s15, v129
	v_and_b32_e32 v81, 0x3030303, v8
	ds_read2_b32 v[4:5], v4 offset1:1
	v_and_b32_e32 v82, 0x3030303, v9
	v_mov_b32_e32 v237, 0
	s_waitcnt lgkmcnt(2)
	v_dot4c_i32_i8 v177, v28, v180
	v_mov_b32_e32 v238, 0
	v_mov_b32_e32 v239, 0
	;; [unrolled: 1-line block ×4, first 2 shown]
	v_dot4c_i32_i8 v177, v55, v181
	v_mov_b32_e32 v242, 0
	v_mov_b32_e32 v243, 0
	;; [unrolled: 1-line block ×4, first 2 shown]
	v_dot4c_i32_i8 v177, v81, v182
	v_mov_b32_e32 v197, 0
	v_mov_b32_e32 v198, 0
	;; [unrolled: 1-line block ×3, first 2 shown]
	s_waitcnt lgkmcnt(1)
	v_bfe_u32 v6, v205, 4, 4
	v_dot4c_i32_i8 v177, v82, v183
	v_mov_b32_e32 v204, 0
	s_waitcnt lgkmcnt(0)
	v_ashrrev_i32_e32 v12, s14, v4
	v_add_nc_u32_e32 v4, 0x1088, v1
	v_ashrrev_i32_e32 v13, s14, v5
	ds_read_u16 v207, v10 offset:26096
	v_add_nc_u32_e32 v10, s15, v130
	v_mul_lo_u32 v83, 0x1010101, v6
	ds_read2_b32 v[4:5], v4 offset1:1
	v_and_b32_e32 v89, 0x3030303, v12
	v_and_b32_e32 v90, 0x3030303, v13
	v_mov_b32_e32 v12, 0
	v_mov_b32_e32 v13, 0
	;; [unrolled: 1-line block ×3, first 2 shown]
	v_dot4c_i32_i8 v176, v89, v180
	v_dot4c_i32_i8 v27, v83, v166
	v_mov_b32_e32 v202, 0
	v_mov_b32_e32 v203, 0
	;; [unrolled: 1-line block ×3, first 2 shown]
	v_dot4c_i32_i8 v176, v90, v181
	v_dot4c_i32_i8 v27, v83, v167
	ds_read_u16 v209, v10 offset:27120
	v_add_nc_u32_e32 v10, s15, v131
	ds_read_b128 v[30:33], v2 offset:2048
	ds_read_b128 v[160:163], v2 offset:3072
	s_waitcnt lgkmcnt(4)
	v_bfe_u32 v6, v207, 4, 4
	v_dot4c_i32_i8 v27, v83, v168
	ds_read_u16 v200, v10 offset:28144
	s_waitcnt lgkmcnt(4)
	v_ashrrev_i32_e32 v14, s14, v4
	v_add_nc_u32_e32 v4, 0x2100, v1
	v_ashrrev_i32_e32 v15, s14, v5
	ds_read_b128 v[8:11], v2
	v_mul_lo_u32 v84, 0x1010101, v6
	v_and_b32_e32 v14, 0x3030303, v14
	ds_read2_b32 v[4:5], v4 offset1:1
	v_and_b32_e32 v184, 0x3030303, v15
	v_mov_b32_e32 v15, 0
	v_dot4c_i32_i8 v27, v83, v169
	v_dot4c_i32_i8 v176, v14, v182
	ds_read_b128 v[223:226], v2 offset:6160
	s_waitcnt lgkmcnt(6)
	v_bfe_u32 v6, v209, 4, 4
	s_waitcnt lgkmcnt(5)
	v_dot4c_i32_i8 v25, v89, v30
	s_waitcnt lgkmcnt(4)
	v_dot4c_i32_i8 v173, v28, v160
	v_dot4c_i32_i8 v171, v89, v160
	v_mul_lo_u32 v86, 0x1010101, v6
	s_waitcnt lgkmcnt(3)
	v_bfe_u32 v6, v200, 4, 4
	v_dot4c_i32_i8 v25, v90, v31
	v_dot4c_i32_i8 v34, v84, v160
	;; [unrolled: 1-line block ×3, first 2 shown]
	s_waitcnt lgkmcnt(2)
	v_dot4c_i32_i8 v208, v28, v8
	v_mul_lo_u32 v88, 0x1010101, v6
	v_dot4c_i32_i8 v210, v89, v8
	s_waitcnt lgkmcnt(1)
	v_ashrrev_i32_e32 v16, s14, v4
	v_add_nc_u32_e32 v4, 0x2108, v1
	v_ashrrev_i32_e32 v17, s14, v5
	v_dot4c_i32_i8 v217, v83, v8
	v_dot4c_i32_i8 v216, v84, v8
	v_and_b32_e32 v185, 0x3030303, v16
	ds_read2_b32 v[4:5], v4 offset1:1
	v_and_b32_e32 v186, 0x3030303, v17
	v_dot4c_i32_i8 v214, v86, v8
	v_dot4c_i32_i8 v7, v88, v8
	;; [unrolled: 1-line block ×18, first 2 shown]
	s_waitcnt lgkmcnt(0)
	v_ashrrev_i32_e32 v21, s14, v4
	v_add_nc_u32_e32 v4, 0x3180, v1
	v_ashrrev_i32_e32 v22, s14, v5
	v_dot4c_i32_i8 v217, v83, v11
	v_dot4c_i32_i8 v216, v84, v11
	v_and_b32_e32 v187, 0x3030303, v21
	ds_read2_b32 v[4:5], v4 offset1:1
	v_and_b32_e32 v188, 0x3030303, v22
	v_dot4c_i32_i8 v214, v86, v11
	v_dot4c_i32_i8 v7, v88, v11
	;; [unrolled: 1-line block ×18, first 2 shown]
	s_waitcnt lgkmcnt(0)
	v_ashrrev_i32_e32 v23, s14, v4
	v_add_nc_u32_e32 v4, 0x3188, v1
	v_ashrrev_i32_e32 v24, s14, v5
	v_dot4c_i32_i8 v34, v84, v161
	v_dot4c_i32_i8 v174, v186, v161
	v_and_b32_e32 v22, 0x3030303, v23
	ds_read2_b32 v[4:5], v4 offset1:1
	v_and_b32_e32 v189, 0x3030303, v24
	v_mov_b32_e32 v24, 0
	v_dot4c_i32_i8 v35, v86, v161
	v_dot4c_i32_i8 v212, v22, v8
	;; [unrolled: 1-line block ×17, first 2 shown]
	s_waitcnt lgkmcnt(0)
	v_ashrrev_i32_e32 v4, s14, v4
	v_ashrrev_i32_e32 v5, s14, v5
	v_dot4c_i32_i8 v24, v82, v33
	v_dot4c_i32_i8 v25, v184, v33
	;; [unrolled: 1-line block ×3, first 2 shown]
	v_and_b32_e32 v190, 0x3030303, v4
	v_and_b32_e32 v191, 0x3030303, v5
	v_dot4c_i32_i8 v12, v86, v33
	v_dot4c_i32_i8 v13, v88, v33
	v_dot4c_i32_i8 v173, v82, v163
	v_dot4c_i32_i8 v212, v190, v10
	v_dot4c_i32_i8 v29, v190, v32
	v_dot4c_i32_i8 v175, v190, v162
	v_dot4c_i32_i8 v171, v184, v163
	v_dot4c_i32_i8 v34, v84, v163
	v_dot4c_i32_i8 v212, v191, v11
	ds_read_b128 v[8:11], v2 offset:1024
	v_dot4c_i32_i8 v29, v191, v33
	v_dot4c_i32_i8 v174, v188, v163
	;; [unrolled: 1-line block ×19, first 2 shown]
	s_waitcnt lgkmcnt(0)
	v_dot4c_i32_i8 v222, v28, v8
	v_dot4c_i32_i8 v219, v83, v8
	;; [unrolled: 1-line block ×32, first 2 shown]
	v_mov_b32_e32 v10, 0
	v_mov_b32_e32 v11, 0
	v_dot4c_i32_i8 v164, v188, v169
	v_dot4c_i32_i8 v165, v191, v169
	;; [unrolled: 1-line block ×5, first 2 shown]
	v_mov_b32_e32 v30, 0
	v_dot4c_i32_i8 v176, v184, v183
	v_dot4c_i32_i8 v178, v188, v183
	v_dot4c_i32_i8 v10, v83, v31
	v_dot4c_i32_i8 v11, v84, v31
	v_mov_b32_e32 v31, 0
	v_dot4c_i32_i8 v30, v84, v166
	v_dot4c_i32_i8 v179, v191, v183
	v_dot4c_i32_i8 v10, v83, v32
	v_dot4c_i32_i8 v11, v84, v32
	;; [unrolled: 5-line block ×3, first 2 shown]
	v_dot4c_i32_i8 v32, v83, v160
	v_mov_b32_e32 v33, 0
	v_dot4c_i32_i8 v31, v86, v167
	v_dot4c_i32_i8 v30, v84, v168
	;; [unrolled: 1-line block ×4, first 2 shown]
	v_mov_b32_e32 v161, 0
	v_dot4c_i32_i8 v33, v88, v166
	v_dot4c_i32_i8 v31, v86, v168
	;; [unrolled: 1-line block ×7, first 2 shown]
	v_mov_b32_e32 v23, 0
	v_dot4c_i32_i8 v32, v83, v163
	v_mov_b32_e32 v163, 0
	v_dot4c_i32_i8 v161, v55, v167
	v_dot4c_i32_i8 v33, v88, v168
	v_mov_b32_e32 v8, 0
	v_mov_b32_e32 v21, 0
	v_dot4c_i32_i8 v163, v89, v166
	v_dot4c_i32_i8 v161, v81, v168
	;; [unrolled: 1-line block ×3, first 2 shown]
	v_mov_b32_e32 v6, 0
	v_mov_b32_e32 v17, 0
	v_dot4c_i32_i8 v163, v90, v167
	v_dot4c_i32_i8 v161, v82, v169
	v_mov_b32_e32 v167, 0
	v_mov_b32_e32 v5, 0
	;; [unrolled: 1-line block ×3, first 2 shown]
	v_dot4c_i32_i8 v163, v14, v168
	v_mov_b32_e32 v168, 0
	v_dot4c_i32_i8 v167, v83, v180
	v_mov_b32_e32 v4, 0
	v_mov_b32_e32 v166, 0
	v_dot4c_i32_i8 v163, v184, v169
	v_mov_b32_e32 v169, 0
	v_dot4c_i32_i8 v168, v84, v180
	v_dot4c_i32_i8 v167, v83, v181
	v_mov_b32_e32 v160, 0
	v_mov_b32_e32 v162, 0
	v_dot4c_i32_i8 v169, v86, v180
	v_dot4c_i32_i8 v168, v84, v181
	;; [unrolled: 1-line block ×3, first 2 shown]
	v_mov_b32_e32 v9, 0
	v_dot4c_i32_i8 v169, v86, v181
	v_dot4c_i32_i8 v168, v84, v182
	;; [unrolled: 1-line block ×6, first 2 shown]
	ds_read_b128 v[180:183], v2 offset:6144
	s_waitcnt lgkmcnt(0)
	v_dot4c_i32_i8 v23, v28, v180
	v_dot4c_i32_i8 v8, v83, v180
	;; [unrolled: 1-line block ×32, first 2 shown]
	ds_read_b128 v[180:183], v2 offset:7168
	s_waitcnt lgkmcnt(0)
	v_dot4c_i32_i8 v166, v89, v180
	v_dot4c_i32_i8 v170, v28, v180
	;; [unrolled: 1-line block ×3, first 2 shown]
	v_mov_b32_e32 v28, 0
	v_mov_b32_e32 v22, 0
	v_dot4c_i32_i8 v166, v90, v181
	v_dot4c_i32_i8 v162, v185, v180
	;; [unrolled: 1-line block ×6, first 2 shown]
	v_mov_b32_e32 v14, 0
	v_dot4c_i32_i8 v170, v55, v181
	v_dot4c_i32_i8 v162, v186, v181
	;; [unrolled: 1-line block ×10, first 2 shown]
	ds_read2_b32 v[180:181], v1 offset0:4 offset1:5
	v_dot4c_i32_i8 v22, v84, v182
	v_dot4c_i32_i8 v170, v82, v183
	;; [unrolled: 1-line block ×6, first 2 shown]
	v_add_nc_u32_e32 v84, 0x1090, v1
	v_add_nc_u32_e32 v90, 0x2110, v1
	v_dot4c_i32_i8 v9, v88, v183
	v_add_nc_u32_e32 v88, 0x1098, v1
	v_dot4c_i32_i8 v14, v86, v183
	v_dot4c_i32_i8 v166, v184, v183
	;; [unrolled: 1-line block ×6, first 2 shown]
	s_waitcnt lgkmcnt(0)
	v_ashrrev_i32_e32 v55, s14, v180
	v_ashrrev_i32_e32 v81, s14, v181
	ds_read2_b32 v[180:181], v1 offset0:6 offset1:7
	v_and_b32_e32 v55, 0x3030303, v55
	v_and_b32_e32 v81, 0x3030303, v81
	s_waitcnt lgkmcnt(0)
	v_ashrrev_i32_e32 v82, s14, v180
	v_ashrrev_i32_e32 v83, s14, v181
	ds_read2_b32 v[180:181], v84 offset1:1
	v_and_b32_e32 v82, 0x3030303, v82
	v_and_b32_e32 v83, 0x3030303, v83
	s_waitcnt lgkmcnt(0)
	v_ashrrev_i32_e32 v84, s14, v180
	v_ashrrev_i32_e32 v86, s14, v181
	ds_read2_b32 v[180:181], v88 offset1:1
	;; [unrolled: 6-line block ×3, first 2 shown]
	v_and_b32_e32 v88, 0x3030303, v88
	v_and_b32_e32 v89, 0x3030303, v89
	s_waitcnt lgkmcnt(0)
	v_ashrrev_i32_e32 v90, s14, v180
	v_add_nc_u32_e32 v180, 0x2118, v1
	v_ashrrev_i32_e32 v184, s14, v181
	v_and_b32_e32 v90, 0x3030303, v90
	ds_read2_b32 v[180:181], v180 offset1:1
	v_and_b32_e32 v206, 0x3030303, v184
	v_mov_b32_e32 v184, 0
	s_waitcnt lgkmcnt(0)
	v_ashrrev_i32_e32 v185, s14, v180
	v_add_nc_u32_e32 v180, 0x3190, v1
	v_ashrrev_i32_e32 v186, s14, v181
	v_add_nc_u32_e32 v1, 0x3198, v1
	v_and_b32_e32 v228, 0x3030303, v185
	ds_read2_b32 v[180:181], v180 offset1:1
	v_and_b32_e32 v229, 0x3030303, v186
	v_mov_b32_e32 v185, 0
	v_mov_b32_e32 v186, 0
	s_waitcnt lgkmcnt(0)
	v_ashrrev_i32_e32 v187, s14, v180
	v_ashrrev_i32_e32 v188, s14, v181
	ds_read2_b32 v[180:181], v1 offset1:1
	v_and_b32_e32 v230, 0x3030303, v187
	v_and_b32_e32 v231, 0x3030303, v188
	v_mov_b32_e32 v188, 0
	v_mov_b32_e32 v187, 0
	s_waitcnt lgkmcnt(0)
	v_ashrrev_i32_e32 v1, s14, v180
	v_and_b32_sdwa v180, v157, v205 dst_sel:DWORD dst_unused:UNUSED_PAD src0_sel:DWORD src1_sel:BYTE_1
	v_ashrrev_i32_e32 v189, s14, v181
	s_lshr_b32 s14, s1, 2
	v_and_b32_e32 v1, 0x3030303, v1
	v_lshrrev_b32_e32 v190, 4, v180
	v_and_b32_sdwa v180, v157, v207 dst_sel:DWORD dst_unused:UNUSED_PAD src0_sel:DWORD src1_sel:BYTE_1
	v_and_b32_e32 v232, 0x3030303, v189
	v_mov_b32_e32 v189, 0
	s_and_b32 s14, s14, 0x3ffffffc
	v_mul_lo_u32 v233, 0x1010101, v190
	v_lshrrev_b32_e32 v191, 4, v180
	v_and_b32_sdwa v180, v157, v209 dst_sel:DWORD dst_unused:UNUSED_PAD src0_sel:DWORD src1_sel:BYTE_1
	v_mov_b32_e32 v190, 0
	s_addk_i32 s14, 0x7280
	v_mul_lo_u32 v234, 0x1010101, v191
	v_lshrrev_b32_e32 v192, 4, v180
	v_and_b32_sdwa v180, v157, v200 dst_sel:DWORD dst_unused:UNUSED_PAD src0_sel:DWORD src1_sel:BYTE_1
	v_mov_b32_e32 v191, 0
	v_dot4c_i32_i8 v8, v233, v223
	v_mul_lo_u32 v235, 0x1010101, v192
	v_lshrrev_b32_e32 v193, 4, v180
	ds_read_b128 v[180:183], v2 offset:16
	v_mov_b32_e32 v192, 0
	v_dot4c_i32_i8 v6, v234, v223
	v_dot4c_i32_i8 v8, v233, v224
	v_mul_lo_u32 v236, 0x1010101, v193
	v_mov_b32_e32 v193, 0
	v_dot4c_i32_i8 v5, v235, v223
	v_dot4c_i32_i8 v6, v234, v224
	;; [unrolled: 1-line block ×10, first 2 shown]
	s_waitcnt lgkmcnt(0)
	v_dot4c_i32_i8 v227, v55, v180
	v_dot4c_i32_i8 v237, v84, v180
	v_dot4c_i32_i8 v238, v90, v180
	v_dot4c_i32_i8 v239, v230, v180
	v_dot4c_i32_i8 v217, v233, v180
	v_dot4c_i32_i8 v216, v234, v180
	v_dot4c_i32_i8 v214, v235, v180
	v_dot4c_i32_i8 v7, v236, v180
	v_dot4c_i32_i8 v227, v81, v181
	v_dot4c_i32_i8 v237, v86, v181
	v_dot4c_i32_i8 v238, v206, v181
	v_dot4c_i32_i8 v239, v231, v181
	v_dot4c_i32_i8 v217, v233, v181
	v_dot4c_i32_i8 v216, v234, v181
	v_dot4c_i32_i8 v214, v235, v181
	v_dot4c_i32_i8 v7, v236, v181
	v_dot4c_i32_i8 v227, v82, v182
	v_dot4c_i32_i8 v237, v88, v182
	v_dot4c_i32_i8 v238, v228, v182
	v_dot4c_i32_i8 v239, v1, v182
	v_dot4c_i32_i8 v217, v233, v182
	v_dot4c_i32_i8 v216, v234, v182
	v_dot4c_i32_i8 v214, v235, v182
	v_dot4c_i32_i8 v7, v236, v182
	v_dot4c_i32_i8 v227, v83, v183
	v_dot4c_i32_i8 v237, v89, v183
	v_dot4c_i32_i8 v238, v229, v183
	v_dot4c_i32_i8 v239, v232, v183
	v_dot4c_i32_i8 v217, v233, v183
	v_dot4c_i32_i8 v216, v234, v183
	v_dot4c_i32_i8 v214, v235, v183
	v_dot4c_i32_i8 v7, v236, v183
	ds_read_b128 v[180:183], v2 offset:1040
	v_dot4c_i32_i8 v4, v236, v225
	v_dot4c_i32_i8 v5, v235, v226
	v_cvt_f32_i32_e32 v6, v6
	v_dot4c_i32_i8 v4, v236, v226
	v_cvt_f32_i32_e32 v5, v5
	v_cvt_f32_i32_e32 v4, v4
	s_waitcnt lgkmcnt(0)
	v_dot4c_i32_i8 v240, v55, v180
	v_dot4c_i32_i8 v241, v84, v180
	;; [unrolled: 1-line block ×32, first 2 shown]
	ds_read_b128 v[180:183], v2 offset:2064
	s_waitcnt lgkmcnt(0)
	v_dot4c_i32_i8 v188, v55, v180
	v_dot4c_i32_i8 v185, v84, v180
	;; [unrolled: 1-line block ×32, first 2 shown]
	ds_read_b128 v[180:183], v2 offset:3088
	v_cvt_f32_i32_e32 v10, v10
	s_waitcnt lgkmcnt(0)
	v_dot4c_i32_i8 v199, v55, v180
	v_dot4c_i32_i8 v196, v84, v180
	;; [unrolled: 1-line block ×32, first 2 shown]
	ds_read_b128 v[180:183], v2 offset:4112
	s_waitcnt lgkmcnt(0)
	v_dot4c_i32_i8 v195, v55, v180
	v_dot4c_i32_i8 v191, v84, v180
	;; [unrolled: 1-line block ×32, first 2 shown]
	ds_read_b128 v[180:183], v2 offset:5136
	s_waitcnt lgkmcnt(0)
	v_dot4c_i32_i8 v204, v55, v180
	v_dot4c_i32_i8 v201, v84, v180
	;; [unrolled: 1-line block ×32, first 2 shown]
	v_mov_b32_e32 v183, 0
	v_mov_b32_e32 v182, 0
	;; [unrolled: 1-line block ×4, first 2 shown]
	v_dot4c_i32_i8 v183, v55, v223
	v_dot4c_i32_i8 v182, v84, v223
	v_dot4c_i32_i8 v181, v90, v223
	v_dot4c_i32_i8 v180, v230, v223
	v_dot4c_i32_i8 v183, v81, v224
	v_dot4c_i32_i8 v182, v86, v224
	v_dot4c_i32_i8 v181, v206, v224
	v_dot4c_i32_i8 v180, v231, v224
	v_dot4c_i32_i8 v183, v82, v225
	v_dot4c_i32_i8 v182, v88, v225
	v_dot4c_i32_i8 v181, v228, v225
	v_dot4c_i32_i8 v180, v1, v225
	v_dot4c_i32_i8 v183, v83, v226
	v_dot4c_i32_i8 v182, v89, v226
	v_dot4c_i32_i8 v181, v229, v226
	v_dot4c_i32_i8 v180, v232, v226
	ds_read_b128 v[223:226], v2 offset:7184
	v_add_nc_u32_e32 v2, 32, v2
	s_waitcnt lgkmcnt(0)
	v_dot4c_i32_i8 v184, v230, v223
	v_dot4c_i32_i8 v189, v90, v223
	v_dot4c_i32_i8 v194, v55, v223
	v_and_b32_sdwa v55, v205, v158 dst_sel:DWORD dst_unused:UNUSED_PAD src0_sel:BYTE_1 src1_sel:DWORD
	v_dot4c_i32_i8 v190, v84, v223
	v_dot4c_i32_i8 v184, v231, v224
	;; [unrolled: 1-line block ×7, first 2 shown]
	v_and_b32_e32 v1, 15, v205
	v_dot4c_i32_i8 v9, v236, v223
	v_and_b32_e32 v205, 0xffff, v55
	v_dot4c_i32_i8 v194, v81, v224
	v_dot4c_i32_i8 v190, v86, v224
	v_and_b32_e32 v206, 0xffff, v1
	v_dot4c_i32_i8 v28, v233, v224
	v_dot4c_i32_i8 v22, v234, v224
	;; [unrolled: 1-line block ×4, first 2 shown]
	v_mul_lo_u32 v208, v206, v208
	v_and_b32_e32 v1, 15, v207
	v_dot4c_i32_i8 v194, v82, v225
	v_dot4c_i32_i8 v190, v88, v225
	;; [unrolled: 1-line block ×6, first 2 shown]
	v_mad_u64_u32 v[223:224], null, v205, v227, v[208:209]
	v_mul_lo_u32 v208, v222, v206
	v_dot4c_i32_i8 v9, v236, v225
	v_and_b32_sdwa v55, v207, v158 dst_sel:DWORD dst_unused:UNUSED_PAD src0_sel:BYTE_1 src1_sel:DWORD
	v_dot4c_i32_i8 v194, v83, v226
	v_dot4c_i32_i8 v190, v89, v226
	;; [unrolled: 1-line block ×4, first 2 shown]
	v_and_b32_e32 v207, 0xffff, v55
	v_mad_u64_u32 v[224:225], null, v240, v205, v[208:209]
	v_and_b32_e32 v208, 0xffff, v1
	v_dot4c_i32_i8 v28, v233, v226
	v_dot4c_i32_i8 v22, v234, v226
	;; [unrolled: 1-line block ×4, first 2 shown]
	v_mul_lo_u32 v210, v208, v210
	v_and_b32_e32 v1, 15, v209
	v_and_b32_sdwa v55, v209, v158 dst_sel:DWORD dst_unused:UNUSED_PAD src0_sel:BYTE_1 src1_sel:DWORD
	v_cvt_f32_i32_e32 v225, v223
	v_cvt_f32_i32_e32 v224, v224
	;; [unrolled: 1-line block ×3, first 2 shown]
	v_and_b32_e32 v209, 0xffff, v55
	v_mad_u64_u32 v[226:227], null, v207, v237, v[210:211]
	v_mul_lo_u32 v210, v221, v208
	v_and_b32_sdwa v55, v200, v158 dst_sel:DWORD dst_unused:UNUSED_PAD src0_sel:BYTE_1 src1_sel:DWORD
	v_cvt_f32_i32_e32 v223, v226
	v_mad_u64_u32 v[221:222], null, v241, v207, v[210:211]
	v_and_b32_e32 v210, 0xffff, v1
	v_and_b32_e32 v1, 15, v200
	v_and_b32_e32 v200, 0xffff, v55
	v_mul_lo_u32 v211, v210, v211
	v_cvt_f32_i32_e32 v222, v221
	v_mad_u64_u32 v[227:228], null, v209, v238, v[211:212]
	v_mul_lo_u32 v211, v220, v210
	v_cvt_f32_i32_e32 v221, v227
	v_mad_u64_u32 v[228:229], null, v242, v209, v[211:212]
	v_and_b32_e32 v211, 0xffff, v1
	v_add3_u32 v1, s14, v149, v150
	v_mul_lo_u32 v212, v211, v212
	ds_read_b32 v226, v1
	v_cvt_f32_i32_e32 v1, v217
	v_cvt_f32_i32_e32 v220, v228
	v_mad_u64_u32 v[229:230], null, v200, v239, v[212:213]
	v_mul_lo_u32 v212, v213, v211
	v_mad_u64_u32 v[212:213], null, v243, v200, v[212:213]
	v_cvt_f32_i32_e32 v213, v229
	s_waitcnt lgkmcnt(0)
	v_cvt_f32_f16_sdwa v227, v226 dst_sel:DWORD dst_unused:UNUSED_PAD src0_sel:WORD_1
	v_mul_f32_e32 v1, v227, v1
	v_cvt_f32_i32_e32 v212, v212
	v_mul_f32_e32 v10, v227, v10
	v_fma_mix_f32 v225, v226, v225, -v1 op_sel_hi:[1,0,0]
	v_cvt_f32_i32_e32 v1, v219
	v_mul_f32_e32 v1, v227, v1
	v_fma_mix_f32 v219, v226, v224, -v1 op_sel_hi:[1,0,0]
	v_add3_u32 v1, s14, v151, v152
	ds_read_b32 v217, v1
	v_cvt_f32_i32_e32 v1, v216
	s_waitcnt lgkmcnt(0)
	v_cvt_f32_f16_sdwa v216, v217 dst_sel:DWORD dst_unused:UNUSED_PAD src0_sel:WORD_1
	v_mul_f32_e32 v1, v216, v1
	v_mul_f32_e32 v6, v216, v6
	v_fma_mix_f32 v223, v217, v223, -v1 op_sel_hi:[1,0,0]
	v_cvt_f32_i32_e32 v1, v218
	v_mul_f32_e32 v1, v216, v1
	v_fma_mix_f32 v222, v217, v222, -v1 op_sel_hi:[1,0,0]
	v_add3_u32 v1, s14, v153, v154
	ds_read_b32 v218, v1
	v_cvt_f32_i32_e32 v1, v214
	s_waitcnt lgkmcnt(0)
	v_cvt_f32_f16_sdwa v214, v218 dst_sel:DWORD dst_unused:UNUSED_PAD src0_sel:WORD_1
	v_mul_f32_e32 v1, v214, v1
	v_mul_f32_e32 v5, v214, v5
	v_fma_mix_f32 v221, v218, v221, -v1 op_sel_hi:[1,0,0]
	v_cvt_f32_i32_e32 v1, v215
	v_mul_f32_e32 v1, v214, v1
	v_fma_mix_f32 v220, v218, v220, -v1 op_sel_hi:[1,0,0]
	v_add3_u32 v1, s14, v155, v156
	s_add_i32 s14, s1, 2
	s_cmp_lt_u32 s1, 22
	s_mov_b32 s1, s14
	ds_read_b32 v215, v1
	v_cvt_f32_i32_e32 v1, v7
	v_cvt_f32_i32_e32 v7, v15
	s_waitcnt lgkmcnt(0)
	v_cvt_f32_f16_sdwa v55, v215 dst_sel:DWORD dst_unused:UNUSED_PAD src0_sel:WORD_1
	v_mul_f32_e32 v1, v55, v1
	v_mul_f32_e32 v7, v55, v7
	;; [unrolled: 1-line block ×4, first 2 shown]
	v_fma_mix_f32 v1, v215, v213, -v1 op_sel_hi:[1,0,0]
	v_fma_mix_f32 v7, v215, v212, -v7 op_sel_hi:[1,0,0]
	ds_read2_b32 v[212:213], v3 offset1:32
	s_waitcnt lgkmcnt(0)
	v_fmac_f32_e32 v65, v213, v7
	v_mul_lo_u32 v7, v24, v206
	v_fmac_f32_e32 v119, v212, v225
	v_fmac_f32_e32 v70, v213, v219
	;; [unrolled: 1-line block ×7, first 2 shown]
	v_mad_u64_u32 v[212:213], null, v188, v205, v[7:8]
	v_mul_lo_u32 v7, v173, v206
	v_cvt_f32_i32_e32 v1, v212
	v_mad_u64_u32 v[219:220], null, v199, v205, v[7:8]
	v_mul_lo_u32 v7, v25, v208
	v_fma_mix_f32 v1, v226, v1, -v10 op_sel_hi:[1,0,0]
	v_cvt_f32_i32_e32 v10, v11
	v_mul_f32_e32 v10, v216, v10
	v_mad_u64_u32 v[24:25], null, v185, v207, v[7:8]
	v_mul_lo_u32 v7, v26, v210
	v_cvt_f32_i32_e32 v15, v24
	v_mad_u64_u32 v[25:26], null, v186, v209, v[7:8]
	v_mul_lo_u32 v7, v29, v211
	v_fma_mix_f32 v15, v217, v15, -v10 op_sel_hi:[1,0,0]
	v_cvt_f32_i32_e32 v10, v12
	v_cvt_f32_i32_e32 v24, v25
	v_mul_f32_e32 v10, v214, v10
	v_mad_u64_u32 v[185:186], null, v187, v200, v[7:8]
	v_mul_lo_u32 v7, v171, v208
	v_fma_mix_f32 v12, v218, v24, -v10 op_sel_hi:[1,0,0]
	v_cvt_f32_i32_e32 v10, v13
	v_cvt_f32_i32_e32 v25, v185
	v_mad_u64_u32 v[186:187], null, v196, v207, v[7:8]
	v_mul_lo_u32 v7, v174, v210
	v_mul_f32_e32 v10, v55, v10
	v_fma_mix_f32 v13, v215, v25, -v10 op_sel_hi:[1,0,0]
	v_cvt_f32_i32_e32 v10, v32
	v_mad_u64_u32 v[173:174], null, v197, v209, v[7:8]
	v_mul_lo_u32 v7, v175, v211
	v_cvt_f32_i32_e32 v26, v186
	v_mul_f32_e32 v10, v227, v10
	v_cvt_f32_i32_e32 v29, v173
	v_mad_u64_u32 v[174:175], null, v198, v200, v[7:8]
	v_cvt_f32_i32_e32 v7, v219
	v_fma_mix_f32 v7, v226, v7, -v10 op_sel_hi:[1,0,0]
	v_cvt_f32_i32_e32 v10, v34
	v_cvt_f32_i32_e32 v81, v174
	v_mul_f32_e32 v10, v216, v10
	v_fma_mix_f32 v24, v217, v26, -v10 op_sel_hi:[1,0,0]
	v_cvt_f32_i32_e32 v10, v35
	v_mul_f32_e32 v10, v214, v10
	v_fma_mix_f32 v25, v218, v29, -v10 op_sel_hi:[1,0,0]
	;; [unrolled: 3-line block ×3, first 2 shown]
	ds_read2_b32 v[10:11], v3 offset0:64 offset1:96
	s_waitcnt lgkmcnt(0)
	v_fmac_f32_e32 v57, v11, v7
	v_mul_lo_u32 v7, v161, v206
	v_fmac_f32_e32 v63, v10, v1
	v_fmac_f32_e32 v61, v10, v15
	v_fmac_f32_e32 v59, v10, v12
	v_fmac_f32_e32 v58, v10, v13
	v_fmac_f32_e32 v56, v11, v24
	v_fmac_f32_e32 v54, v11, v25
	v_fmac_f32_e32 v53, v11, v26
	v_mad_u64_u32 v[10:11], null, v195, v205, v[7:8]
	v_mul_lo_u32 v7, v177, v206
	v_cvt_f32_i32_e32 v1, v10
	v_mad_u64_u32 v[11:12], null, v204, v205, v[7:8]
	v_mul_lo_u32 v7, v163, v208
	v_mad_u64_u32 v[12:13], null, v191, v207, v[7:8]
	v_mul_lo_u32 v7, v164, v210
	v_cvt_f32_i32_e32 v10, v12
	v_mad_u64_u32 v[24:25], null, v192, v209, v[7:8]
	v_mul_lo_u32 v7, v165, v211
	v_mad_u64_u32 v[25:26], null, v193, v200, v[7:8]
	v_mul_lo_u32 v7, v176, v208
	v_cvt_f32_i32_e32 v12, v25
	v_cvt_f32_i32_e32 v25, v27
	v_mad_u64_u32 v[34:35], null, v201, v207, v[7:8]
	v_mul_lo_u32 v7, v178, v210
	v_mul_f32_e32 v25, v227, v25
	v_cvt_f32_i32_e32 v13, v34
	v_fma_mix_f32 v1, v226, v1, -v25 op_sel_hi:[1,0,0]
	v_cvt_f32_i32_e32 v25, v30
	v_mad_u64_u32 v[35:36], null, v202, v209, v[7:8]
	v_mul_lo_u32 v7, v179, v211
	v_mul_f32_e32 v25, v216, v25
	v_cvt_f32_i32_e32 v15, v35
	v_fma_mix_f32 v25, v217, v10, -v25 op_sel_hi:[1,0,0]
	v_cvt_f32_i32_e32 v10, v31
	v_mad_u64_u32 v[163:164], null, v203, v200, v[7:8]
	v_cvt_f32_i32_e32 v7, v11
	v_cvt_f32_i32_e32 v11, v24
	v_mul_f32_e32 v10, v214, v10
	v_cvt_f32_i32_e32 v24, v163
	v_fma_mix_f32 v26, v218, v11, -v10 op_sel_hi:[1,0,0]
	v_cvt_f32_i32_e32 v10, v33
	v_mul_f32_e32 v10, v55, v10
	v_fma_mix_f32 v12, v215, v12, -v10 op_sel_hi:[1,0,0]
	v_cvt_f32_i32_e32 v10, v167
	v_mul_f32_e32 v10, v227, v10
	;; [unrolled: 3-line block ×5, first 2 shown]
	v_fma_mix_f32 v24, v215, v24, -v10 op_sel_hi:[1,0,0]
	ds_read2_b32 v[10:11], v3 offset0:128 offset1:160
	s_waitcnt lgkmcnt(0)
	v_fmac_f32_e32 v48, v11, v7
	v_mul_lo_u32 v7, v23, v206
	v_fmac_f32_e32 v52, v10, v1
	v_fmac_f32_e32 v51, v10, v25
	;; [unrolled: 1-line block ×7, first 2 shown]
	v_mad_u64_u32 v[10:11], null, v183, v205, v[7:8]
	v_mul_lo_u32 v7, v170, v206
	v_cvt_f32_i32_e32 v1, v10
	v_cvt_f32_i32_e32 v10, v28
	v_mad_u64_u32 v[11:12], null, v194, v205, v[7:8]
	v_mul_lo_u32 v7, v21, v208
	v_mul_f32_e32 v10, v227, v10
	v_mad_u64_u32 v[12:13], null, v182, v207, v[7:8]
	v_mul_lo_u32 v7, v166, v208
	v_mad_u64_u32 v[23:24], null, v190, v207, v[7:8]
	v_mul_lo_u32 v7, v17, v210
	;; [unrolled: 2-line block ×5, first 2 shown]
	v_mad_u64_u32 v[16:17], null, v184, v200, v[7:8]
	v_cvt_f32_i32_e32 v8, v8
	v_cvt_f32_i32_e32 v7, v11
	v_cvt_f32_i32_e32 v11, v22
	v_mul_f32_e32 v8, v227, v8
	v_fma_mix_f32 v7, v226, v7, -v10 op_sel_hi:[1,0,0]
	v_cvt_f32_i32_e32 v10, v23
	v_mul_f32_e32 v11, v216, v11
	v_fma_mix_f32 v1, v226, v1, -v8 op_sel_hi:[1,0,0]
	v_cvt_f32_i32_e32 v8, v12
	v_cvt_f32_i32_e32 v12, v14
	v_fma_mix_f32 v6, v217, v8, -v6 op_sel_hi:[1,0,0]
	v_fma_mix_f32 v8, v217, v10, -v11 op_sel_hi:[1,0,0]
	v_cvt_f32_i32_e32 v10, v24
	v_cvt_f32_i32_e32 v11, v25
	v_mul_f32_e32 v12, v214, v12
	v_fma_mix_f32 v10, v218, v10, -v5 op_sel_hi:[1,0,0]
	v_cvt_f32_i32_e32 v5, v15
	v_fma_mix_f32 v11, v218, v11, -v12 op_sel_hi:[1,0,0]
	v_cvt_f32_i32_e32 v12, v16
	v_fma_mix_f32 v13, v215, v5, -v4 op_sel_hi:[1,0,0]
	ds_read2_b32 v[4:5], v3 offset0:192 offset1:224
	v_fma_mix_f32 v9, v215, v12, -v9 op_sel_hi:[1,0,0]
	v_add_nc_u32_e32 v3, 4, v3
	s_waitcnt lgkmcnt(0)
	v_fmac_f32_e32 v44, v4, v1
	v_fmac_f32_e32 v43, v4, v6
	;; [unrolled: 1-line block ×8, first 2 shown]
	s_cbranch_scc1 .LBB167_12
; %bb.13:                               ;   in Loop: Header=BB167_6 Depth=1
	v_add_nc_u32_e32 v1, s0, v125
	v_add_nc_u32_e32 v12, 12, v159
	s_barrier
	buffer_gl0_inv
	v_add_nc_u32_e32 v2, v1, v114
	v_add_nc_u32_e32 v4, v1, v115
	;; [unrolled: 1-line block ×5, first 2 shown]
	v_mad_u64_u32 v[12:13], null, v12, 36, s[2:3]
	v_mad_i64_i32 v[2:3], null, v2, 36, v[19:20]
	v_add_nc_u32_e32 v14, v1, v120
	v_mad_i64_i32 v[4:5], null, v4, 36, v[19:20]
	v_add_nc_u32_e32 v16, v1, v121
	v_mad_i64_i32 v[6:7], null, v6, 36, v[19:20]
	v_add_nc_u32_e32 v1, v1, v122
	v_mad_i64_i32 v[8:9], null, v8, 36, v[19:20]
	v_mad_i64_i32 v[10:11], null, v10, 36, v[19:20]
	;; [unrolled: 1-line block ×5, first 2 shown]
	s_clause 0x8
	global_load_dword v1, v[12:13], off
	global_load_dword v12, v[2:3], off offset:4
	global_load_dword v4, v[4:5], off offset:4
	;; [unrolled: 1-line block ×8, first 2 shown]
	v_mov_b32_e32 v2, v132
	v_mov_b32_e32 v3, v127
	s_mov_b32 s0, 24
	s_waitcnt vmcnt(8)
	v_cvt_f32_f16_e32 v1, v1
	s_waitcnt vmcnt(7)
	ds_write_b32 v141, v12
	s_waitcnt vmcnt(6)
	ds_write_b32 v142, v4
	;; [unrolled: 2-line block ×8, first 2 shown]
	ds_write_b32 v113, v1
	s_waitcnt lgkmcnt(0)
	s_barrier
	buffer_gl0_inv
.LBB167_14:                             ;   Parent Loop BB167_6 Depth=1
                                        ; =>  This Inner Loop Header: Depth=2
	s_and_b32 s14, s0, 0x3ffffff8
	s_sub_i32 s1, s0, 24
	v_lshl_add_u32 v1, s14, 2, v126
	s_and_b32 s14, s0, -16
	v_mov_b32_e32 v207, 0
	s_add_i32 s14, s0, s14
	v_mov_b32_e32 v209, 0
	ds_read2_b32 v[4:5], v1 offset1:1
	v_add_nc_u32_e32 v10, s14, v128
	v_mov_b32_e32 v210, 0
	v_mov_b32_e32 v211, 0
	;; [unrolled: 1-line block ×18, first 2 shown]
	s_waitcnt lgkmcnt(0)
	v_ashrrev_i32_e32 v6, s1, v4
	v_ashrrev_i32_e32 v7, s1, v5
	ds_read2_b32 v[4:5], v1 offset0:2 offset1:3
	v_mov_b32_e32 v173, 0
	v_mov_b32_e32 v35, 0
	v_and_b32_e32 v28, 0x3030303, v6
	v_and_b32_e32 v55, 0x3030303, v7
	v_mov_b32_e32 v7, 0
	v_mov_b32_e32 v174, 0
	;; [unrolled: 1-line block ×3, first 2 shown]
	ds_read_b128 v[165:168], v2 offset:4096
	ds_read_b128 v[179:182], v2 offset:5120
	v_mov_b32_e32 v27, 0
	v_mov_b32_e32 v163, 0
	;; [unrolled: 1-line block ×10, first 2 shown]
	s_waitcnt lgkmcnt(2)
	v_ashrrev_i32_e32 v8, s1, v4
	v_add_nc_u32_e32 v4, 0x1080, v1
	v_ashrrev_i32_e32 v9, s1, v5
	ds_read_u16 v204, v10 offset:25072
	v_add_nc_u32_e32 v10, s14, v129
	v_and_b32_e32 v81, 0x3030303, v8
	ds_read2_b32 v[4:5], v4 offset1:1
	v_and_b32_e32 v82, 0x3030303, v9
	v_mov_b32_e32 v236, 0
	s_waitcnt lgkmcnt(2)
	v_dot4c_i32_i8 v176, v28, v179
	v_mov_b32_e32 v237, 0
	v_mov_b32_e32 v238, 0
	;; [unrolled: 1-line block ×4, first 2 shown]
	v_dot4c_i32_i8 v176, v55, v180
	v_mov_b32_e32 v241, 0
	v_mov_b32_e32 v242, 0
	;; [unrolled: 1-line block ×4, first 2 shown]
	v_dot4c_i32_i8 v176, v81, v181
	v_mov_b32_e32 v196, 0
	v_mov_b32_e32 v197, 0
	;; [unrolled: 1-line block ×3, first 2 shown]
	s_waitcnt lgkmcnt(1)
	v_bfe_u32 v6, v204, 4, 4
	v_dot4c_i32_i8 v176, v82, v182
	v_mov_b32_e32 v203, 0
	s_waitcnt lgkmcnt(0)
	v_ashrrev_i32_e32 v12, s1, v4
	v_add_nc_u32_e32 v4, 0x1088, v1
	v_ashrrev_i32_e32 v13, s1, v5
	ds_read_u16 v206, v10 offset:26096
	v_add_nc_u32_e32 v10, s14, v130
	v_mul_lo_u32 v83, 0x1010101, v6
	ds_read2_b32 v[4:5], v4 offset1:1
	v_and_b32_e32 v89, 0x3030303, v12
	v_and_b32_e32 v90, 0x3030303, v13
	v_mov_b32_e32 v12, 0
	v_mov_b32_e32 v13, 0
	;; [unrolled: 1-line block ×3, first 2 shown]
	v_dot4c_i32_i8 v175, v89, v179
	v_dot4c_i32_i8 v27, v83, v165
	v_mov_b32_e32 v201, 0
	v_mov_b32_e32 v202, 0
	;; [unrolled: 1-line block ×3, first 2 shown]
	v_dot4c_i32_i8 v175, v90, v180
	v_dot4c_i32_i8 v27, v83, v166
	ds_read_u16 v208, v10 offset:27120
	v_add_nc_u32_e32 v10, s14, v131
	ds_read_b128 v[30:33], v2 offset:2048
	ds_read_b128 v[159:162], v2 offset:3072
	s_waitcnt lgkmcnt(4)
	v_bfe_u32 v6, v206, 4, 4
	v_dot4c_i32_i8 v27, v83, v167
	ds_read_u16 v199, v10 offset:28144
	s_waitcnt lgkmcnt(4)
	v_ashrrev_i32_e32 v14, s1, v4
	v_add_nc_u32_e32 v4, 0x2100, v1
	v_ashrrev_i32_e32 v15, s1, v5
	ds_read_b128 v[8:11], v2
	v_mul_lo_u32 v84, 0x1010101, v6
	v_and_b32_e32 v14, 0x3030303, v14
	ds_read2_b32 v[4:5], v4 offset1:1
	v_and_b32_e32 v183, 0x3030303, v15
	v_mov_b32_e32 v15, 0
	v_dot4c_i32_i8 v27, v83, v168
	v_dot4c_i32_i8 v175, v14, v181
	ds_read_b128 v[222:225], v2 offset:6160
	s_waitcnt lgkmcnt(6)
	v_bfe_u32 v6, v208, 4, 4
	s_waitcnt lgkmcnt(5)
	v_dot4c_i32_i8 v25, v89, v30
	s_waitcnt lgkmcnt(4)
	v_dot4c_i32_i8 v172, v28, v159
	v_dot4c_i32_i8 v170, v89, v159
	v_mul_lo_u32 v86, 0x1010101, v6
	s_waitcnt lgkmcnt(3)
	v_bfe_u32 v6, v199, 4, 4
	v_dot4c_i32_i8 v25, v90, v31
	v_dot4c_i32_i8 v34, v84, v159
	;; [unrolled: 1-line block ×3, first 2 shown]
	s_waitcnt lgkmcnt(2)
	v_dot4c_i32_i8 v207, v28, v8
	v_mul_lo_u32 v88, 0x1010101, v6
	v_dot4c_i32_i8 v209, v89, v8
	s_waitcnt lgkmcnt(1)
	v_ashrrev_i32_e32 v16, s1, v4
	v_add_nc_u32_e32 v4, 0x2108, v1
	v_ashrrev_i32_e32 v17, s1, v5
	v_dot4c_i32_i8 v216, v83, v8
	v_dot4c_i32_i8 v215, v84, v8
	v_and_b32_e32 v184, 0x3030303, v16
	ds_read2_b32 v[4:5], v4 offset1:1
	v_and_b32_e32 v185, 0x3030303, v17
	v_dot4c_i32_i8 v213, v86, v8
	v_dot4c_i32_i8 v7, v88, v8
	v_dot4c_i32_i8 v210, v184, v8
	v_dot4c_i32_i8 v207, v55, v9
	v_dot4c_i32_i8 v209, v90, v9
	v_dot4c_i32_i8 v216, v83, v9
	v_dot4c_i32_i8 v215, v84, v9
	v_dot4c_i32_i8 v210, v185, v9
	v_dot4c_i32_i8 v213, v86, v9
	v_dot4c_i32_i8 v7, v88, v9
	v_dot4c_i32_i8 v207, v81, v10
	v_dot4c_i32_i8 v209, v14, v10
	v_dot4c_i32_i8 v216, v83, v10
	v_dot4c_i32_i8 v215, v84, v10
	v_dot4c_i32_i8 v213, v86, v10
	v_dot4c_i32_i8 v7, v88, v10
	v_dot4c_i32_i8 v207, v82, v11
	v_dot4c_i32_i8 v209, v183, v11
	s_waitcnt lgkmcnt(0)
	v_ashrrev_i32_e32 v21, s1, v4
	v_add_nc_u32_e32 v4, 0x3180, v1
	v_ashrrev_i32_e32 v22, s1, v5
	v_dot4c_i32_i8 v216, v83, v11
	v_dot4c_i32_i8 v215, v84, v11
	v_and_b32_e32 v186, 0x3030303, v21
	ds_read2_b32 v[4:5], v4 offset1:1
	v_and_b32_e32 v187, 0x3030303, v22
	v_dot4c_i32_i8 v213, v86, v11
	v_dot4c_i32_i8 v7, v88, v11
	;; [unrolled: 1-line block ×18, first 2 shown]
	s_waitcnt lgkmcnt(0)
	v_ashrrev_i32_e32 v23, s1, v4
	v_add_nc_u32_e32 v4, 0x3188, v1
	v_ashrrev_i32_e32 v24, s1, v5
	v_dot4c_i32_i8 v34, v84, v160
	v_dot4c_i32_i8 v173, v185, v160
	v_and_b32_e32 v22, 0x3030303, v23
	ds_read2_b32 v[4:5], v4 offset1:1
	v_and_b32_e32 v188, 0x3030303, v24
	v_mov_b32_e32 v24, 0
	v_dot4c_i32_i8 v35, v86, v160
	v_dot4c_i32_i8 v211, v22, v8
	;; [unrolled: 1-line block ×17, first 2 shown]
	s_waitcnt lgkmcnt(0)
	v_ashrrev_i32_e32 v4, s1, v4
	v_ashrrev_i32_e32 v5, s1, v5
	v_dot4c_i32_i8 v24, v82, v33
	v_dot4c_i32_i8 v25, v183, v33
	;; [unrolled: 1-line block ×3, first 2 shown]
	v_and_b32_e32 v189, 0x3030303, v4
	v_and_b32_e32 v190, 0x3030303, v5
	v_dot4c_i32_i8 v12, v86, v33
	v_dot4c_i32_i8 v13, v88, v33
	;; [unrolled: 1-line block ×9, first 2 shown]
	ds_read_b128 v[8:11], v2 offset:1024
	v_dot4c_i32_i8 v29, v190, v33
	v_dot4c_i32_i8 v173, v187, v162
	v_dot4c_i32_i8 v35, v86, v162
	v_dot4c_i32_i8 v174, v190, v162
	v_dot4c_i32_i8 v36, v88, v162
	v_dot4c_i32_i8 v163, v184, v165
	v_dot4c_i32_i8 v164, v22, v165
	v_dot4c_i32_i8 v177, v184, v179
	v_dot4c_i32_i8 v178, v22, v179
	v_dot4c_i32_i8 v171, v88, v179
	v_dot4c_i32_i8 v163, v185, v166
	v_dot4c_i32_i8 v164, v188, v166
	v_dot4c_i32_i8 v177, v185, v180
	v_dot4c_i32_i8 v178, v188, v180
	v_dot4c_i32_i8 v171, v88, v180
	v_dot4c_i32_i8 v163, v186, v167
	v_dot4c_i32_i8 v164, v189, v167
	v_dot4c_i32_i8 v177, v186, v181
	v_dot4c_i32_i8 v178, v189, v181
	s_waitcnt lgkmcnt(0)
	v_dot4c_i32_i8 v221, v28, v8
	v_dot4c_i32_i8 v218, v83, v8
	;; [unrolled: 1-line block ×32, first 2 shown]
	v_mov_b32_e32 v10, 0
	v_mov_b32_e32 v11, 0
	v_dot4c_i32_i8 v163, v187, v168
	v_dot4c_i32_i8 v164, v190, v168
	;; [unrolled: 1-line block ×5, first 2 shown]
	v_mov_b32_e32 v30, 0
	v_dot4c_i32_i8 v175, v183, v182
	v_dot4c_i32_i8 v177, v187, v182
	v_dot4c_i32_i8 v10, v83, v31
	v_dot4c_i32_i8 v11, v84, v31
	v_mov_b32_e32 v31, 0
	v_dot4c_i32_i8 v30, v84, v165
	v_dot4c_i32_i8 v178, v190, v182
	v_dot4c_i32_i8 v10, v83, v32
	v_dot4c_i32_i8 v11, v84, v32
	;; [unrolled: 5-line block ×3, first 2 shown]
	v_dot4c_i32_i8 v32, v83, v159
	v_mov_b32_e32 v33, 0
	v_dot4c_i32_i8 v31, v86, v166
	v_dot4c_i32_i8 v30, v84, v167
	;; [unrolled: 1-line block ×4, first 2 shown]
	v_mov_b32_e32 v160, 0
	v_dot4c_i32_i8 v33, v88, v165
	v_dot4c_i32_i8 v31, v86, v167
	;; [unrolled: 1-line block ×7, first 2 shown]
	v_mov_b32_e32 v23, 0
	v_dot4c_i32_i8 v32, v83, v162
	v_mov_b32_e32 v162, 0
	v_dot4c_i32_i8 v160, v55, v166
	v_dot4c_i32_i8 v33, v88, v167
	v_mov_b32_e32 v8, 0
	v_mov_b32_e32 v21, 0
	v_dot4c_i32_i8 v162, v89, v165
	v_dot4c_i32_i8 v160, v81, v167
	;; [unrolled: 1-line block ×3, first 2 shown]
	v_mov_b32_e32 v6, 0
	v_mov_b32_e32 v17, 0
	v_dot4c_i32_i8 v162, v90, v166
	v_dot4c_i32_i8 v160, v82, v168
	v_mov_b32_e32 v166, 0
	v_mov_b32_e32 v5, 0
	v_mov_b32_e32 v16, 0
	v_dot4c_i32_i8 v162, v14, v167
	v_mov_b32_e32 v167, 0
	v_dot4c_i32_i8 v166, v83, v179
	v_mov_b32_e32 v4, 0
	v_mov_b32_e32 v165, 0
	v_dot4c_i32_i8 v162, v183, v168
	v_mov_b32_e32 v168, 0
	v_dot4c_i32_i8 v167, v84, v179
	v_dot4c_i32_i8 v166, v83, v180
	v_mov_b32_e32 v159, 0
	v_mov_b32_e32 v161, 0
	v_dot4c_i32_i8 v168, v86, v179
	v_dot4c_i32_i8 v167, v84, v180
	;; [unrolled: 1-line block ×3, first 2 shown]
	v_mov_b32_e32 v9, 0
	v_dot4c_i32_i8 v168, v86, v180
	v_dot4c_i32_i8 v167, v84, v181
	v_dot4c_i32_i8 v166, v83, v182
	v_dot4c_i32_i8 v168, v86, v181
	v_dot4c_i32_i8 v167, v84, v182
	v_dot4c_i32_i8 v168, v86, v182
	ds_read_b128 v[179:182], v2 offset:6144
	s_waitcnt lgkmcnt(0)
	v_dot4c_i32_i8 v23, v28, v179
	v_dot4c_i32_i8 v8, v83, v179
	;; [unrolled: 1-line block ×32, first 2 shown]
	ds_read_b128 v[179:182], v2 offset:7168
	s_waitcnt lgkmcnt(0)
	v_dot4c_i32_i8 v165, v89, v179
	v_dot4c_i32_i8 v169, v28, v179
	;; [unrolled: 1-line block ×3, first 2 shown]
	v_mov_b32_e32 v28, 0
	v_mov_b32_e32 v22, 0
	v_dot4c_i32_i8 v165, v90, v180
	v_dot4c_i32_i8 v161, v184, v179
	;; [unrolled: 1-line block ×6, first 2 shown]
	v_mov_b32_e32 v14, 0
	v_dot4c_i32_i8 v169, v55, v180
	v_dot4c_i32_i8 v161, v185, v180
	;; [unrolled: 1-line block ×10, first 2 shown]
	ds_read2_b32 v[179:180], v1 offset0:4 offset1:5
	v_dot4c_i32_i8 v22, v84, v181
	v_dot4c_i32_i8 v169, v82, v182
	;; [unrolled: 1-line block ×6, first 2 shown]
	v_add_nc_u32_e32 v84, 0x1090, v1
	v_add_nc_u32_e32 v90, 0x2110, v1
	v_dot4c_i32_i8 v9, v88, v182
	v_add_nc_u32_e32 v88, 0x1098, v1
	v_dot4c_i32_i8 v14, v86, v182
	v_dot4c_i32_i8 v165, v183, v182
	v_dot4c_i32_i8 v161, v186, v181
	v_dot4c_i32_i8 v159, v189, v181
	v_dot4c_i32_i8 v161, v187, v182
	v_dot4c_i32_i8 v159, v190, v182
	s_waitcnt lgkmcnt(0)
	v_ashrrev_i32_e32 v55, s1, v179
	v_ashrrev_i32_e32 v81, s1, v180
	ds_read2_b32 v[179:180], v1 offset0:6 offset1:7
	v_and_b32_e32 v55, 0x3030303, v55
	v_and_b32_e32 v81, 0x3030303, v81
	s_waitcnt lgkmcnt(0)
	v_ashrrev_i32_e32 v82, s1, v179
	v_ashrrev_i32_e32 v83, s1, v180
	ds_read2_b32 v[179:180], v84 offset1:1
	v_and_b32_e32 v82, 0x3030303, v82
	v_and_b32_e32 v83, 0x3030303, v83
	s_waitcnt lgkmcnt(0)
	v_ashrrev_i32_e32 v84, s1, v179
	v_ashrrev_i32_e32 v86, s1, v180
	ds_read2_b32 v[179:180], v88 offset1:1
	;; [unrolled: 6-line block ×3, first 2 shown]
	v_and_b32_e32 v88, 0x3030303, v88
	v_and_b32_e32 v89, 0x3030303, v89
	s_waitcnt lgkmcnt(0)
	v_ashrrev_i32_e32 v90, s1, v179
	v_add_nc_u32_e32 v179, 0x2118, v1
	v_ashrrev_i32_e32 v183, s1, v180
	v_and_b32_e32 v90, 0x3030303, v90
	ds_read2_b32 v[179:180], v179 offset1:1
	v_and_b32_e32 v205, 0x3030303, v183
	v_mov_b32_e32 v183, 0
	s_waitcnt lgkmcnt(0)
	v_ashrrev_i32_e32 v184, s1, v179
	v_add_nc_u32_e32 v179, 0x3190, v1
	v_ashrrev_i32_e32 v185, s1, v180
	v_add_nc_u32_e32 v1, 0x3198, v1
	v_and_b32_e32 v227, 0x3030303, v184
	ds_read2_b32 v[179:180], v179 offset1:1
	v_and_b32_e32 v228, 0x3030303, v185
	v_mov_b32_e32 v184, 0
	v_mov_b32_e32 v185, 0
	s_waitcnt lgkmcnt(0)
	v_ashrrev_i32_e32 v186, s1, v179
	v_ashrrev_i32_e32 v187, s1, v180
	ds_read2_b32 v[179:180], v1 offset1:1
	v_and_b32_e32 v229, 0x3030303, v186
	v_and_b32_e32 v230, 0x3030303, v187
	v_mov_b32_e32 v187, 0
	v_mov_b32_e32 v186, 0
	s_waitcnt lgkmcnt(0)
	v_ashrrev_i32_e32 v1, s1, v179
	v_and_b32_sdwa v179, v157, v204 dst_sel:DWORD dst_unused:UNUSED_PAD src0_sel:DWORD src1_sel:BYTE_1
	v_ashrrev_i32_e32 v188, s1, v180
	s_lshr_b32 s1, s0, 2
	v_and_b32_e32 v1, 0x3030303, v1
	v_lshrrev_b32_e32 v189, 4, v179
	v_and_b32_sdwa v179, v157, v206 dst_sel:DWORD dst_unused:UNUSED_PAD src0_sel:DWORD src1_sel:BYTE_1
	v_and_b32_e32 v231, 0x3030303, v188
	v_mov_b32_e32 v188, 0
	s_and_b32 s1, s1, 0x3ffffffc
	v_mul_lo_u32 v232, 0x1010101, v189
	v_lshrrev_b32_e32 v190, 4, v179
	v_and_b32_sdwa v179, v157, v208 dst_sel:DWORD dst_unused:UNUSED_PAD src0_sel:DWORD src1_sel:BYTE_1
	v_mov_b32_e32 v189, 0
	s_addk_i32 s1, 0x7280
	v_mul_lo_u32 v233, 0x1010101, v190
	v_lshrrev_b32_e32 v191, 4, v179
	v_and_b32_sdwa v179, v157, v199 dst_sel:DWORD dst_unused:UNUSED_PAD src0_sel:DWORD src1_sel:BYTE_1
	v_mov_b32_e32 v190, 0
	v_dot4c_i32_i8 v8, v232, v222
	v_mul_lo_u32 v234, 0x1010101, v191
	v_lshrrev_b32_e32 v192, 4, v179
	ds_read_b128 v[179:182], v2 offset:16
	v_mov_b32_e32 v191, 0
	v_dot4c_i32_i8 v6, v233, v222
	v_dot4c_i32_i8 v8, v232, v223
	v_mul_lo_u32 v235, 0x1010101, v192
	v_mov_b32_e32 v192, 0
	v_dot4c_i32_i8 v5, v234, v222
	v_dot4c_i32_i8 v6, v233, v223
	;; [unrolled: 1-line block ×10, first 2 shown]
	s_waitcnt lgkmcnt(0)
	v_dot4c_i32_i8 v226, v55, v179
	v_dot4c_i32_i8 v236, v84, v179
	;; [unrolled: 1-line block ×32, first 2 shown]
	ds_read_b128 v[179:182], v2 offset:1040
	v_dot4c_i32_i8 v4, v235, v224
	v_dot4c_i32_i8 v5, v234, v225
	v_cvt_f32_i32_e32 v6, v6
	v_dot4c_i32_i8 v4, v235, v225
	v_cvt_f32_i32_e32 v5, v5
	v_cvt_f32_i32_e32 v4, v4
	s_waitcnt lgkmcnt(0)
	v_dot4c_i32_i8 v239, v55, v179
	v_dot4c_i32_i8 v240, v84, v179
	;; [unrolled: 1-line block ×32, first 2 shown]
	ds_read_b128 v[179:182], v2 offset:2064
	s_waitcnt lgkmcnt(0)
	v_dot4c_i32_i8 v187, v55, v179
	v_dot4c_i32_i8 v184, v84, v179
	;; [unrolled: 1-line block ×32, first 2 shown]
	ds_read_b128 v[179:182], v2 offset:3088
	v_cvt_f32_i32_e32 v10, v10
	s_waitcnt lgkmcnt(0)
	v_dot4c_i32_i8 v198, v55, v179
	v_dot4c_i32_i8 v195, v84, v179
	;; [unrolled: 1-line block ×32, first 2 shown]
	ds_read_b128 v[179:182], v2 offset:4112
	s_waitcnt lgkmcnt(0)
	v_dot4c_i32_i8 v194, v55, v179
	v_dot4c_i32_i8 v190, v84, v179
	;; [unrolled: 1-line block ×32, first 2 shown]
	ds_read_b128 v[179:182], v2 offset:5136
	s_waitcnt lgkmcnt(0)
	v_dot4c_i32_i8 v203, v55, v179
	v_dot4c_i32_i8 v200, v84, v179
	;; [unrolled: 1-line block ×32, first 2 shown]
	v_mov_b32_e32 v182, 0
	v_mov_b32_e32 v181, 0
	;; [unrolled: 1-line block ×4, first 2 shown]
	v_dot4c_i32_i8 v182, v55, v222
	v_dot4c_i32_i8 v181, v84, v222
	;; [unrolled: 1-line block ×16, first 2 shown]
	ds_read_b128 v[222:225], v2 offset:7184
	v_add_nc_u32_e32 v2, 32, v2
	s_waitcnt lgkmcnt(0)
	v_dot4c_i32_i8 v183, v229, v222
	v_dot4c_i32_i8 v188, v90, v222
	;; [unrolled: 1-line block ×3, first 2 shown]
	v_and_b32_sdwa v55, v204, v158 dst_sel:DWORD dst_unused:UNUSED_PAD src0_sel:BYTE_1 src1_sel:DWORD
	v_dot4c_i32_i8 v189, v84, v222
	v_dot4c_i32_i8 v183, v230, v223
	;; [unrolled: 1-line block ×7, first 2 shown]
	v_and_b32_e32 v1, 15, v204
	v_dot4c_i32_i8 v9, v235, v222
	v_and_b32_e32 v204, 0xffff, v55
	v_dot4c_i32_i8 v193, v81, v223
	v_dot4c_i32_i8 v189, v86, v223
	v_and_b32_e32 v205, 0xffff, v1
	v_dot4c_i32_i8 v28, v232, v223
	v_dot4c_i32_i8 v22, v233, v223
	;; [unrolled: 1-line block ×4, first 2 shown]
	v_mul_lo_u32 v207, v205, v207
	v_and_b32_e32 v1, 15, v206
	v_dot4c_i32_i8 v193, v82, v224
	v_dot4c_i32_i8 v189, v88, v224
	;; [unrolled: 1-line block ×6, first 2 shown]
	v_mad_u64_u32 v[222:223], null, v204, v226, v[207:208]
	v_mul_lo_u32 v207, v221, v205
	v_dot4c_i32_i8 v9, v235, v224
	v_and_b32_sdwa v55, v206, v158 dst_sel:DWORD dst_unused:UNUSED_PAD src0_sel:BYTE_1 src1_sel:DWORD
	v_dot4c_i32_i8 v193, v83, v225
	v_dot4c_i32_i8 v189, v89, v225
	;; [unrolled: 1-line block ×4, first 2 shown]
	v_and_b32_e32 v206, 0xffff, v55
	v_mad_u64_u32 v[223:224], null, v239, v204, v[207:208]
	v_and_b32_e32 v207, 0xffff, v1
	v_dot4c_i32_i8 v28, v232, v225
	v_dot4c_i32_i8 v22, v233, v225
	;; [unrolled: 1-line block ×4, first 2 shown]
	v_mul_lo_u32 v209, v207, v209
	v_and_b32_e32 v1, 15, v208
	v_and_b32_sdwa v55, v208, v158 dst_sel:DWORD dst_unused:UNUSED_PAD src0_sel:BYTE_1 src1_sel:DWORD
	v_cvt_f32_i32_e32 v224, v222
	v_cvt_f32_i32_e32 v223, v223
	;; [unrolled: 1-line block ×3, first 2 shown]
	v_and_b32_e32 v208, 0xffff, v55
	v_mad_u64_u32 v[225:226], null, v206, v236, v[209:210]
	v_mul_lo_u32 v209, v220, v207
	v_and_b32_sdwa v55, v199, v158 dst_sel:DWORD dst_unused:UNUSED_PAD src0_sel:BYTE_1 src1_sel:DWORD
	v_cvt_f32_i32_e32 v222, v225
	v_mad_u64_u32 v[220:221], null, v240, v206, v[209:210]
	v_and_b32_e32 v209, 0xffff, v1
	v_and_b32_e32 v1, 15, v199
	;; [unrolled: 1-line block ×3, first 2 shown]
	v_mul_lo_u32 v210, v209, v210
	v_cvt_f32_i32_e32 v221, v220
	v_mad_u64_u32 v[226:227], null, v208, v237, v[210:211]
	v_mul_lo_u32 v210, v219, v209
	v_cvt_f32_i32_e32 v220, v226
	v_mad_u64_u32 v[227:228], null, v241, v208, v[210:211]
	v_and_b32_e32 v210, 0xffff, v1
	v_add3_u32 v1, s1, v149, v150
	v_mul_lo_u32 v211, v210, v211
	ds_read_b32 v225, v1
	v_cvt_f32_i32_e32 v1, v216
	v_cvt_f32_i32_e32 v219, v227
	v_mad_u64_u32 v[228:229], null, v199, v238, v[211:212]
	v_mul_lo_u32 v211, v212, v210
	v_mad_u64_u32 v[211:212], null, v242, v199, v[211:212]
	v_cvt_f32_i32_e32 v212, v228
	s_waitcnt lgkmcnt(0)
	v_cvt_f32_f16_sdwa v226, v225 dst_sel:DWORD dst_unused:UNUSED_PAD src0_sel:WORD_1
	v_mul_f32_e32 v1, v226, v1
	v_cvt_f32_i32_e32 v211, v211
	v_mul_f32_e32 v10, v226, v10
	v_fma_mix_f32 v224, v225, v224, -v1 op_sel_hi:[1,0,0]
	v_cvt_f32_i32_e32 v1, v218
	v_mul_f32_e32 v1, v226, v1
	v_fma_mix_f32 v218, v225, v223, -v1 op_sel_hi:[1,0,0]
	v_add3_u32 v1, s1, v151, v152
	ds_read_b32 v216, v1
	v_cvt_f32_i32_e32 v1, v215
	s_waitcnt lgkmcnt(0)
	v_cvt_f32_f16_sdwa v215, v216 dst_sel:DWORD dst_unused:UNUSED_PAD src0_sel:WORD_1
	v_mul_f32_e32 v1, v215, v1
	v_mul_f32_e32 v6, v215, v6
	v_fma_mix_f32 v222, v216, v222, -v1 op_sel_hi:[1,0,0]
	v_cvt_f32_i32_e32 v1, v217
	v_mul_f32_e32 v1, v215, v1
	v_fma_mix_f32 v221, v216, v221, -v1 op_sel_hi:[1,0,0]
	v_add3_u32 v1, s1, v153, v154
	ds_read_b32 v217, v1
	v_cvt_f32_i32_e32 v1, v213
	s_waitcnt lgkmcnt(0)
	v_cvt_f32_f16_sdwa v213, v217 dst_sel:DWORD dst_unused:UNUSED_PAD src0_sel:WORD_1
	v_mul_f32_e32 v1, v213, v1
	v_mul_f32_e32 v5, v213, v5
	v_fma_mix_f32 v220, v217, v220, -v1 op_sel_hi:[1,0,0]
	v_cvt_f32_i32_e32 v1, v214
	v_mul_f32_e32 v1, v213, v1
	v_fma_mix_f32 v219, v217, v219, -v1 op_sel_hi:[1,0,0]
	v_add3_u32 v1, s1, v155, v156
	s_add_i32 s1, s0, 2
	s_cmp_lt_u32 s0, 30
	s_mov_b32 s0, s1
	ds_read_b32 v214, v1
	v_cvt_f32_i32_e32 v1, v7
	v_cvt_f32_i32_e32 v7, v15
	s_waitcnt lgkmcnt(0)
	v_cvt_f32_f16_sdwa v55, v214 dst_sel:DWORD dst_unused:UNUSED_PAD src0_sel:WORD_1
	v_mul_f32_e32 v1, v55, v1
	v_mul_f32_e32 v7, v55, v7
	;; [unrolled: 1-line block ×4, first 2 shown]
	v_fma_mix_f32 v1, v214, v212, -v1 op_sel_hi:[1,0,0]
	v_fma_mix_f32 v7, v214, v211, -v7 op_sel_hi:[1,0,0]
	ds_read2_b32 v[211:212], v3 offset1:32
	s_waitcnt lgkmcnt(0)
	v_fmac_f32_e32 v65, v212, v7
	v_mul_lo_u32 v7, v24, v205
	v_fmac_f32_e32 v119, v211, v224
	v_fmac_f32_e32 v70, v212, v218
	;; [unrolled: 1-line block ×7, first 2 shown]
	v_mad_u64_u32 v[211:212], null, v187, v204, v[7:8]
	v_mul_lo_u32 v7, v172, v205
	v_cvt_f32_i32_e32 v1, v211
	v_mad_u64_u32 v[218:219], null, v198, v204, v[7:8]
	v_mul_lo_u32 v7, v25, v207
	v_fma_mix_f32 v1, v225, v1, -v10 op_sel_hi:[1,0,0]
	v_cvt_f32_i32_e32 v10, v11
	v_mul_f32_e32 v10, v215, v10
	v_mad_u64_u32 v[24:25], null, v184, v206, v[7:8]
	v_mul_lo_u32 v7, v26, v209
	v_cvt_f32_i32_e32 v15, v24
	v_mad_u64_u32 v[25:26], null, v185, v208, v[7:8]
	v_mul_lo_u32 v7, v29, v210
	v_fma_mix_f32 v15, v216, v15, -v10 op_sel_hi:[1,0,0]
	v_cvt_f32_i32_e32 v10, v12
	v_cvt_f32_i32_e32 v24, v25
	v_mul_f32_e32 v10, v213, v10
	v_mad_u64_u32 v[184:185], null, v186, v199, v[7:8]
	v_mul_lo_u32 v7, v170, v207
	v_fma_mix_f32 v12, v217, v24, -v10 op_sel_hi:[1,0,0]
	v_cvt_f32_i32_e32 v10, v13
	v_cvt_f32_i32_e32 v25, v184
	v_mad_u64_u32 v[185:186], null, v195, v206, v[7:8]
	v_mul_lo_u32 v7, v173, v209
	v_mul_f32_e32 v10, v55, v10
	v_fma_mix_f32 v13, v214, v25, -v10 op_sel_hi:[1,0,0]
	v_cvt_f32_i32_e32 v10, v32
	v_mad_u64_u32 v[172:173], null, v196, v208, v[7:8]
	v_mul_lo_u32 v7, v174, v210
	v_cvt_f32_i32_e32 v26, v185
	v_mul_f32_e32 v10, v226, v10
	v_cvt_f32_i32_e32 v29, v172
	v_mad_u64_u32 v[173:174], null, v197, v199, v[7:8]
	v_cvt_f32_i32_e32 v7, v218
	v_fma_mix_f32 v7, v225, v7, -v10 op_sel_hi:[1,0,0]
	v_cvt_f32_i32_e32 v10, v34
	v_cvt_f32_i32_e32 v81, v173
	v_mul_f32_e32 v10, v215, v10
	v_fma_mix_f32 v24, v216, v26, -v10 op_sel_hi:[1,0,0]
	v_cvt_f32_i32_e32 v10, v35
	v_mul_f32_e32 v10, v213, v10
	v_fma_mix_f32 v25, v217, v29, -v10 op_sel_hi:[1,0,0]
	;; [unrolled: 3-line block ×3, first 2 shown]
	ds_read2_b32 v[10:11], v3 offset0:64 offset1:96
	s_waitcnt lgkmcnt(0)
	v_fmac_f32_e32 v57, v11, v7
	v_mul_lo_u32 v7, v160, v205
	v_fmac_f32_e32 v63, v10, v1
	v_fmac_f32_e32 v61, v10, v15
	;; [unrolled: 1-line block ×7, first 2 shown]
	v_mad_u64_u32 v[10:11], null, v194, v204, v[7:8]
	v_mul_lo_u32 v7, v176, v205
	v_cvt_f32_i32_e32 v1, v10
	v_mad_u64_u32 v[11:12], null, v203, v204, v[7:8]
	v_mul_lo_u32 v7, v162, v207
	v_mad_u64_u32 v[12:13], null, v190, v206, v[7:8]
	v_mul_lo_u32 v7, v163, v209
	v_cvt_f32_i32_e32 v10, v12
	v_mad_u64_u32 v[24:25], null, v191, v208, v[7:8]
	v_mul_lo_u32 v7, v164, v210
	v_mad_u64_u32 v[25:26], null, v192, v199, v[7:8]
	v_mul_lo_u32 v7, v175, v207
	v_cvt_f32_i32_e32 v12, v25
	v_cvt_f32_i32_e32 v25, v27
	v_mad_u64_u32 v[34:35], null, v200, v206, v[7:8]
	v_mul_lo_u32 v7, v177, v209
	v_mul_f32_e32 v25, v226, v25
	v_cvt_f32_i32_e32 v13, v34
	v_fma_mix_f32 v1, v225, v1, -v25 op_sel_hi:[1,0,0]
	v_cvt_f32_i32_e32 v25, v30
	v_mad_u64_u32 v[35:36], null, v201, v208, v[7:8]
	v_mul_lo_u32 v7, v178, v210
	v_mul_f32_e32 v25, v215, v25
	v_cvt_f32_i32_e32 v15, v35
	v_fma_mix_f32 v25, v216, v10, -v25 op_sel_hi:[1,0,0]
	v_cvt_f32_i32_e32 v10, v31
	v_mad_u64_u32 v[162:163], null, v202, v199, v[7:8]
	v_cvt_f32_i32_e32 v7, v11
	v_cvt_f32_i32_e32 v11, v24
	v_mul_f32_e32 v10, v213, v10
	v_cvt_f32_i32_e32 v24, v162
	v_fma_mix_f32 v26, v217, v11, -v10 op_sel_hi:[1,0,0]
	v_cvt_f32_i32_e32 v10, v33
	v_mul_f32_e32 v10, v55, v10
	v_fma_mix_f32 v12, v214, v12, -v10 op_sel_hi:[1,0,0]
	v_cvt_f32_i32_e32 v10, v166
	v_mul_f32_e32 v10, v226, v10
	;; [unrolled: 3-line block ×5, first 2 shown]
	v_fma_mix_f32 v24, v214, v24, -v10 op_sel_hi:[1,0,0]
	ds_read2_b32 v[10:11], v3 offset0:128 offset1:160
	s_waitcnt lgkmcnt(0)
	v_fmac_f32_e32 v48, v11, v7
	v_mul_lo_u32 v7, v23, v205
	v_fmac_f32_e32 v52, v10, v1
	v_fmac_f32_e32 v51, v10, v25
	v_fmac_f32_e32 v50, v10, v26
	v_fmac_f32_e32 v49, v10, v12
	v_fmac_f32_e32 v47, v11, v13
	v_fmac_f32_e32 v46, v11, v15
	v_fmac_f32_e32 v45, v11, v24
	v_mad_u64_u32 v[10:11], null, v182, v204, v[7:8]
	v_mul_lo_u32 v7, v169, v205
	v_cvt_f32_i32_e32 v1, v10
	v_cvt_f32_i32_e32 v10, v28
	v_mad_u64_u32 v[11:12], null, v193, v204, v[7:8]
	v_mul_lo_u32 v7, v21, v207
	v_mul_f32_e32 v10, v226, v10
	v_mad_u64_u32 v[12:13], null, v181, v206, v[7:8]
	v_mul_lo_u32 v7, v165, v207
	v_mad_u64_u32 v[23:24], null, v189, v206, v[7:8]
	v_mul_lo_u32 v7, v17, v209
	;; [unrolled: 2-line block ×5, first 2 shown]
	v_mad_u64_u32 v[16:17], null, v183, v199, v[7:8]
	v_cvt_f32_i32_e32 v8, v8
	v_cvt_f32_i32_e32 v7, v11
	;; [unrolled: 1-line block ×3, first 2 shown]
	v_mul_f32_e32 v8, v226, v8
	v_fma_mix_f32 v7, v225, v7, -v10 op_sel_hi:[1,0,0]
	v_cvt_f32_i32_e32 v10, v23
	v_mul_f32_e32 v11, v215, v11
	v_fma_mix_f32 v1, v225, v1, -v8 op_sel_hi:[1,0,0]
	v_cvt_f32_i32_e32 v8, v12
	v_cvt_f32_i32_e32 v12, v14
	v_fma_mix_f32 v6, v216, v8, -v6 op_sel_hi:[1,0,0]
	v_fma_mix_f32 v8, v216, v10, -v11 op_sel_hi:[1,0,0]
	v_cvt_f32_i32_e32 v10, v24
	v_cvt_f32_i32_e32 v11, v25
	v_mul_f32_e32 v12, v213, v12
	v_fma_mix_f32 v10, v217, v10, -v5 op_sel_hi:[1,0,0]
	v_cvt_f32_i32_e32 v5, v15
	v_fma_mix_f32 v11, v217, v11, -v12 op_sel_hi:[1,0,0]
	v_cvt_f32_i32_e32 v12, v16
	v_fma_mix_f32 v13, v214, v5, -v4 op_sel_hi:[1,0,0]
	ds_read2_b32 v[4:5], v3 offset0:192 offset1:224
	v_fma_mix_f32 v9, v214, v12, -v9 op_sel_hi:[1,0,0]
	v_add_nc_u32_e32 v3, 4, v3
	s_waitcnt lgkmcnt(0)
	v_fmac_f32_e32 v44, v4, v1
	v_fmac_f32_e32 v43, v4, v6
	;; [unrolled: 1-line block ×8, first 2 shown]
	s_cbranch_scc1 .LBB167_14
; %bb.15:                               ;   in Loop: Header=BB167_6 Depth=1
	s_barrier
	buffer_gl0_inv
	s_branch .LBB167_5
.LBB167_16:
	s_clause 0x1
	buffer_load_dword v2, off, s[16:19], 0 offset:4
	buffer_load_dword v30, off, s[16:19], 0
.LBB167_17:
	s_mov_b32 s0, exec_lo
	s_waitcnt vmcnt(1)
	v_cmpx_gt_u32_e64 s8, v2
	s_cbranch_execz .LBB167_68
; %bb.18:
	v_add_nc_u32_e32 v0, s6, v0
	v_mul_lo_u32 v5, v2, s10
	v_cmp_gt_u32_e64 s0, s10, v0
	s_and_saveexec_b32 s1, s0
	s_cbranch_execz .LBB167_20
; %bb.19:
	v_add_nc_u32_e32 v2, v0, v5
	v_mov_b32_e32 v3, 0
	v_bfe_u32 v1, v119, 16, 1
	v_cmp_o_f32_e32 vcc_lo, v119, v119
	v_mov_b32_e32 v4, 0x7fc0
	v_lshlrev_b64 v[2:3], 1, v[2:3]
	v_add3_u32 v1, v119, v1, 0x7fff
	v_cndmask_b32_sdwa v1, v4, v1, vcc_lo dst_sel:DWORD dst_unused:UNUSED_PAD src0_sel:DWORD src1_sel:WORD_1
	s_waitcnt lgkmcnt(0)
	v_add_co_u32 v2, vcc_lo, s12, v2
	v_add_co_ci_u32_e64 v3, null, s13, v3, vcc_lo
	global_store_short v[2:3], v1, off
.LBB167_20:
	s_or_b32 exec_lo, exec_lo, s1
	v_add_nc_u32_e32 v2, 32, v0
	v_cmp_gt_u32_e64 s1, s10, v2
	s_and_saveexec_b32 s2, s1
	s_cbranch_execz .LBB167_22
; %bb.21:
	v_add_nc_u32_e32 v3, v2, v5
	v_mov_b32_e32 v4, 0
	v_bfe_u32 v1, v112, 16, 1
	v_cmp_o_f32_e32 vcc_lo, v112, v112
	v_mov_b32_e32 v6, 0x7fc0
	v_lshlrev_b64 v[3:4], 1, v[3:4]
	v_add3_u32 v1, v112, v1, 0x7fff
	v_cndmask_b32_sdwa v1, v6, v1, vcc_lo dst_sel:DWORD dst_unused:UNUSED_PAD src0_sel:DWORD src1_sel:WORD_1
	s_waitcnt lgkmcnt(0)
	v_add_co_u32 v3, vcc_lo, s12, v3
	v_add_co_ci_u32_e64 v4, null, s13, v4, vcc_lo
	global_store_short v[3:4], v1, off
.LBB167_22:
	s_or_b32 exec_lo, exec_lo, s2
	v_add_nc_u32_e32 v3, 64, v0
	;; [unrolled: 19-line block ×3, first 2 shown]
	v_cmp_gt_u32_e64 s3, s10, v4
	s_and_saveexec_b32 s4, s3
	s_cbranch_execz .LBB167_26
; %bb.25:
	v_add_nc_u32_e32 v5, v4, v5
	v_mov_b32_e32 v6, 0
	v_bfe_u32 v1, v87, 16, 1
	v_cmp_o_f32_e32 vcc_lo, v87, v87
	v_mov_b32_e32 v7, 0x7fc0
	v_lshlrev_b64 v[5:6], 1, v[5:6]
	v_add3_u32 v1, v87, v1, 0x7fff
	v_cndmask_b32_sdwa v1, v7, v1, vcc_lo dst_sel:DWORD dst_unused:UNUSED_PAD src0_sel:DWORD src1_sel:WORD_1
	s_waitcnt lgkmcnt(0)
	v_add_co_u32 v5, vcc_lo, s12, v5
	v_add_co_ci_u32_e64 v6, null, s13, v6, vcc_lo
	global_store_short v[5:6], v1, off
.LBB167_26:
	s_or_b32 exec_lo, exec_lo, s4
	s_waitcnt vmcnt(0)
	v_add3_u32 v5, v30, s7, 8
	v_cmp_gt_u32_e32 vcc_lo, s8, v5
	s_and_b32 exec_lo, exec_lo, vcc_lo
	s_cbranch_execz .LBB167_68
; %bb.27:
	v_mul_lo_u32 v5, v5, s10
	s_and_saveexec_b32 s4, s0
	s_cbranch_execnz .LBB167_69
; %bb.28:
	s_or_b32 exec_lo, exec_lo, s4
	s_and_saveexec_b32 s4, s1
	s_cbranch_execnz .LBB167_70
.LBB167_29:
	s_or_b32 exec_lo, exec_lo, s4
	s_and_saveexec_b32 s4, s2
	s_cbranch_execnz .LBB167_71
.LBB167_30:
	s_or_b32 exec_lo, exec_lo, s4
	s_and_saveexec_b32 s4, s3
	s_cbranch_execz .LBB167_32
.LBB167_31:
	v_add_nc_u32_e32 v5, v5, v4
	v_mov_b32_e32 v6, 0
	v_bfe_u32 v1, v65, 16, 1
	v_cmp_o_f32_e32 vcc_lo, v65, v65
	v_mov_b32_e32 v7, 0x7fc0
	v_lshlrev_b64 v[5:6], 1, v[5:6]
	v_add3_u32 v1, v65, v1, 0x7fff
	v_cndmask_b32_sdwa v1, v7, v1, vcc_lo dst_sel:DWORD dst_unused:UNUSED_PAD src0_sel:DWORD src1_sel:WORD_1
	s_waitcnt lgkmcnt(0)
	v_add_co_u32 v5, vcc_lo, s12, v5
	v_add_co_ci_u32_e64 v6, null, s13, v6, vcc_lo
	global_store_short v[5:6], v1, off
.LBB167_32:
	s_or_b32 exec_lo, exec_lo, s4
	v_add3_u32 v5, v30, s7, 16
	v_cmp_gt_u32_e32 vcc_lo, s8, v5
	s_and_b32 exec_lo, exec_lo, vcc_lo
	s_cbranch_execz .LBB167_68
; %bb.33:
	v_mul_lo_u32 v5, v5, s10
	s_and_saveexec_b32 s4, s0
	s_cbranch_execnz .LBB167_72
; %bb.34:
	s_or_b32 exec_lo, exec_lo, s4
	s_and_saveexec_b32 s4, s1
	s_cbranch_execnz .LBB167_73
.LBB167_35:
	s_or_b32 exec_lo, exec_lo, s4
	s_and_saveexec_b32 s4, s2
	s_cbranch_execnz .LBB167_74
.LBB167_36:
	s_or_b32 exec_lo, exec_lo, s4
	s_and_saveexec_b32 s4, s3
	s_cbranch_execz .LBB167_38
.LBB167_37:
	v_add_nc_u32_e32 v5, v5, v4
	v_mov_b32_e32 v6, 0
	v_bfe_u32 v1, v58, 16, 1
	v_cmp_o_f32_e32 vcc_lo, v58, v58
	v_mov_b32_e32 v7, 0x7fc0
	v_lshlrev_b64 v[5:6], 1, v[5:6]
	v_add3_u32 v1, v58, v1, 0x7fff
	v_cndmask_b32_sdwa v1, v7, v1, vcc_lo dst_sel:DWORD dst_unused:UNUSED_PAD src0_sel:DWORD src1_sel:WORD_1
	s_waitcnt lgkmcnt(0)
	v_add_co_u32 v5, vcc_lo, s12, v5
	v_add_co_ci_u32_e64 v6, null, s13, v6, vcc_lo
	global_store_short v[5:6], v1, off
.LBB167_38:
	s_or_b32 exec_lo, exec_lo, s4
	v_add3_u32 v5, v30, s7, 24
	v_cmp_gt_u32_e32 vcc_lo, s8, v5
	s_and_b32 exec_lo, exec_lo, vcc_lo
	s_cbranch_execz .LBB167_68
; %bb.39:
	v_mul_lo_u32 v5, v5, s10
	s_and_saveexec_b32 s4, s0
	s_cbranch_execnz .LBB167_75
; %bb.40:
	s_or_b32 exec_lo, exec_lo, s4
	s_and_saveexec_b32 s4, s1
	s_cbranch_execnz .LBB167_76
.LBB167_41:
	s_or_b32 exec_lo, exec_lo, s4
	s_and_saveexec_b32 s4, s2
	s_cbranch_execnz .LBB167_77
.LBB167_42:
	s_or_b32 exec_lo, exec_lo, s4
	s_and_saveexec_b32 s4, s3
	s_cbranch_execz .LBB167_44
.LBB167_43:
	v_add_nc_u32_e32 v5, v5, v4
	v_mov_b32_e32 v6, 0
	v_bfe_u32 v1, v53, 16, 1
	v_cmp_o_f32_e32 vcc_lo, v53, v53
	v_mov_b32_e32 v7, 0x7fc0
	v_lshlrev_b64 v[5:6], 1, v[5:6]
	v_add3_u32 v1, v53, v1, 0x7fff
	v_cndmask_b32_sdwa v1, v7, v1, vcc_lo dst_sel:DWORD dst_unused:UNUSED_PAD src0_sel:DWORD src1_sel:WORD_1
	s_waitcnt lgkmcnt(0)
	v_add_co_u32 v5, vcc_lo, s12, v5
	v_add_co_ci_u32_e64 v6, null, s13, v6, vcc_lo
	global_store_short v[5:6], v1, off
.LBB167_44:
	s_or_b32 exec_lo, exec_lo, s4
	v_add3_u32 v5, v30, s7, 32
	v_cmp_gt_u32_e32 vcc_lo, s8, v5
	s_and_b32 exec_lo, exec_lo, vcc_lo
	s_cbranch_execz .LBB167_68
; %bb.45:
	v_mul_lo_u32 v5, v5, s10
	s_and_saveexec_b32 s4, s0
	s_cbranch_execnz .LBB167_78
; %bb.46:
	s_or_b32 exec_lo, exec_lo, s4
	s_and_saveexec_b32 s4, s1
	s_cbranch_execnz .LBB167_79
.LBB167_47:
	s_or_b32 exec_lo, exec_lo, s4
	s_and_saveexec_b32 s4, s2
	s_cbranch_execnz .LBB167_80
.LBB167_48:
	s_or_b32 exec_lo, exec_lo, s4
	s_and_saveexec_b32 s4, s3
	s_cbranch_execz .LBB167_50
.LBB167_49:
	v_add_nc_u32_e32 v5, v5, v4
	v_mov_b32_e32 v6, 0
	v_bfe_u32 v1, v49, 16, 1
	v_cmp_o_f32_e32 vcc_lo, v49, v49
	v_mov_b32_e32 v7, 0x7fc0
	v_lshlrev_b64 v[5:6], 1, v[5:6]
	v_add3_u32 v1, v49, v1, 0x7fff
	v_cndmask_b32_sdwa v1, v7, v1, vcc_lo dst_sel:DWORD dst_unused:UNUSED_PAD src0_sel:DWORD src1_sel:WORD_1
	s_waitcnt lgkmcnt(0)
	v_add_co_u32 v5, vcc_lo, s12, v5
	v_add_co_ci_u32_e64 v6, null, s13, v6, vcc_lo
	global_store_short v[5:6], v1, off
.LBB167_50:
	s_or_b32 exec_lo, exec_lo, s4
	v_add3_u32 v5, v30, s7, 40
	v_cmp_gt_u32_e32 vcc_lo, s8, v5
	s_and_b32 exec_lo, exec_lo, vcc_lo
	s_cbranch_execz .LBB167_68
; %bb.51:
	v_mul_lo_u32 v5, v5, s10
	s_and_saveexec_b32 s4, s0
	s_cbranch_execnz .LBB167_81
; %bb.52:
	s_or_b32 exec_lo, exec_lo, s4
	s_and_saveexec_b32 s4, s1
	s_cbranch_execnz .LBB167_82
.LBB167_53:
	s_or_b32 exec_lo, exec_lo, s4
	s_and_saveexec_b32 s4, s2
	s_cbranch_execnz .LBB167_83
.LBB167_54:
	s_or_b32 exec_lo, exec_lo, s4
	s_and_saveexec_b32 s4, s3
	s_cbranch_execz .LBB167_56
.LBB167_55:
	v_add_nc_u32_e32 v5, v5, v4
	v_mov_b32_e32 v6, 0
	v_bfe_u32 v1, v45, 16, 1
	v_cmp_o_f32_e32 vcc_lo, v45, v45
	v_mov_b32_e32 v7, 0x7fc0
	v_lshlrev_b64 v[5:6], 1, v[5:6]
	v_add3_u32 v1, v45, v1, 0x7fff
	v_cndmask_b32_sdwa v1, v7, v1, vcc_lo dst_sel:DWORD dst_unused:UNUSED_PAD src0_sel:DWORD src1_sel:WORD_1
	s_waitcnt lgkmcnt(0)
	v_add_co_u32 v5, vcc_lo, s12, v5
	v_add_co_ci_u32_e64 v6, null, s13, v6, vcc_lo
	global_store_short v[5:6], v1, off
.LBB167_56:
	s_or_b32 exec_lo, exec_lo, s4
	v_add3_u32 v5, v30, s7, 48
	v_cmp_gt_u32_e32 vcc_lo, s8, v5
	s_and_b32 exec_lo, exec_lo, vcc_lo
	s_cbranch_execz .LBB167_68
; %bb.57:
	v_mul_lo_u32 v5, v5, s10
	s_and_saveexec_b32 s4, s0
	s_cbranch_execnz .LBB167_84
; %bb.58:
	s_or_b32 exec_lo, exec_lo, s4
	s_and_saveexec_b32 s4, s1
	s_cbranch_execnz .LBB167_85
.LBB167_59:
	s_or_b32 exec_lo, exec_lo, s4
	s_and_saveexec_b32 s4, s2
	s_cbranch_execnz .LBB167_86
.LBB167_60:
	s_or_b32 exec_lo, exec_lo, s4
	s_and_saveexec_b32 s4, s3
	s_cbranch_execz .LBB167_62
.LBB167_61:
	v_add_nc_u32_e32 v5, v5, v4
	v_mov_b32_e32 v6, 0
	v_bfe_u32 v1, v41, 16, 1
	v_cmp_o_f32_e32 vcc_lo, v41, v41
	v_mov_b32_e32 v7, 0x7fc0
	v_lshlrev_b64 v[5:6], 1, v[5:6]
	v_add3_u32 v1, v41, v1, 0x7fff
	v_cndmask_b32_sdwa v1, v7, v1, vcc_lo dst_sel:DWORD dst_unused:UNUSED_PAD src0_sel:DWORD src1_sel:WORD_1
	s_waitcnt lgkmcnt(0)
	v_add_co_u32 v5, vcc_lo, s12, v5
	v_add_co_ci_u32_e64 v6, null, s13, v6, vcc_lo
	global_store_short v[5:6], v1, off
.LBB167_62:
	s_or_b32 exec_lo, exec_lo, s4
	v_add3_u32 v1, v30, s7, 56
	v_cmp_gt_u32_e32 vcc_lo, s8, v1
	s_and_b32 exec_lo, exec_lo, vcc_lo
	s_cbranch_execz .LBB167_68
; %bb.63:
	v_mul_lo_u32 v1, v1, s10
	s_and_saveexec_b32 s4, s0
	s_cbranch_execnz .LBB167_87
; %bb.64:
	s_or_b32 exec_lo, exec_lo, s4
	s_and_saveexec_b32 s0, s1
	s_cbranch_execnz .LBB167_88
.LBB167_65:
	s_or_b32 exec_lo, exec_lo, s0
	s_and_saveexec_b32 s0, s2
	s_cbranch_execnz .LBB167_89
.LBB167_66:
	s_or_b32 exec_lo, exec_lo, s0
	s_and_b32 exec_lo, exec_lo, s3
	s_cbranch_execz .LBB167_68
.LBB167_67:
	v_add_nc_u32_e32 v0, v1, v4
	v_mov_b32_e32 v1, 0
	v_bfe_u32 v2, v37, 16, 1
	v_cmp_o_f32_e32 vcc_lo, v37, v37
	v_mov_b32_e32 v3, 0x7fc0
	v_lshlrev_b64 v[0:1], 1, v[0:1]
	v_add3_u32 v2, v37, v2, 0x7fff
	v_cndmask_b32_sdwa v2, v3, v2, vcc_lo dst_sel:DWORD dst_unused:UNUSED_PAD src0_sel:DWORD src1_sel:WORD_1
	s_waitcnt lgkmcnt(0)
	v_add_co_u32 v0, vcc_lo, s12, v0
	v_add_co_ci_u32_e64 v1, null, s13, v1, vcc_lo
	global_store_short v[0:1], v2, off
.LBB167_68:
	s_endpgm
.LBB167_69:
	v_add_nc_u32_e32 v6, v5, v0
	v_mov_b32_e32 v7, 0
	v_bfe_u32 v1, v70, 16, 1
	v_cmp_o_f32_e32 vcc_lo, v70, v70
	v_mov_b32_e32 v8, 0x7fc0
	v_lshlrev_b64 v[6:7], 1, v[6:7]
	v_add3_u32 v1, v70, v1, 0x7fff
	v_cndmask_b32_sdwa v1, v8, v1, vcc_lo dst_sel:DWORD dst_unused:UNUSED_PAD src0_sel:DWORD src1_sel:WORD_1
	s_waitcnt lgkmcnt(0)
	v_add_co_u32 v6, vcc_lo, s12, v6
	v_add_co_ci_u32_e64 v7, null, s13, v7, vcc_lo
	global_store_short v[6:7], v1, off
	s_or_b32 exec_lo, exec_lo, s4
	s_and_saveexec_b32 s4, s1
	s_cbranch_execz .LBB167_29
.LBB167_70:
	v_add_nc_u32_e32 v6, v5, v2
	v_mov_b32_e32 v7, 0
	v_bfe_u32 v1, v68, 16, 1
	v_cmp_o_f32_e32 vcc_lo, v68, v68
	v_mov_b32_e32 v8, 0x7fc0
	v_lshlrev_b64 v[6:7], 1, v[6:7]
	v_add3_u32 v1, v68, v1, 0x7fff
	v_cndmask_b32_sdwa v1, v8, v1, vcc_lo dst_sel:DWORD dst_unused:UNUSED_PAD src0_sel:DWORD src1_sel:WORD_1
	s_waitcnt lgkmcnt(0)
	v_add_co_u32 v6, vcc_lo, s12, v6
	v_add_co_ci_u32_e64 v7, null, s13, v7, vcc_lo
	global_store_short v[6:7], v1, off
	s_or_b32 exec_lo, exec_lo, s4
	s_and_saveexec_b32 s4, s2
	s_cbranch_execz .LBB167_30
.LBB167_71:
	v_add_nc_u32_e32 v6, v5, v3
	v_mov_b32_e32 v7, 0
	v_bfe_u32 v1, v66, 16, 1
	v_cmp_o_f32_e32 vcc_lo, v66, v66
	v_mov_b32_e32 v8, 0x7fc0
	v_lshlrev_b64 v[6:7], 1, v[6:7]
	v_add3_u32 v1, v66, v1, 0x7fff
	v_cndmask_b32_sdwa v1, v8, v1, vcc_lo dst_sel:DWORD dst_unused:UNUSED_PAD src0_sel:DWORD src1_sel:WORD_1
	s_waitcnt lgkmcnt(0)
	v_add_co_u32 v6, vcc_lo, s12, v6
	v_add_co_ci_u32_e64 v7, null, s13, v7, vcc_lo
	global_store_short v[6:7], v1, off
	s_or_b32 exec_lo, exec_lo, s4
	s_and_saveexec_b32 s4, s3
	s_cbranch_execnz .LBB167_31
	s_branch .LBB167_32
.LBB167_72:
	v_add_nc_u32_e32 v6, v5, v0
	v_mov_b32_e32 v7, 0
	v_bfe_u32 v1, v63, 16, 1
	v_cmp_o_f32_e32 vcc_lo, v63, v63
	v_mov_b32_e32 v8, 0x7fc0
	v_lshlrev_b64 v[6:7], 1, v[6:7]
	v_add3_u32 v1, v63, v1, 0x7fff
	v_cndmask_b32_sdwa v1, v8, v1, vcc_lo dst_sel:DWORD dst_unused:UNUSED_PAD src0_sel:DWORD src1_sel:WORD_1
	s_waitcnt lgkmcnt(0)
	v_add_co_u32 v6, vcc_lo, s12, v6
	v_add_co_ci_u32_e64 v7, null, s13, v7, vcc_lo
	global_store_short v[6:7], v1, off
	s_or_b32 exec_lo, exec_lo, s4
	s_and_saveexec_b32 s4, s1
	s_cbranch_execz .LBB167_35
.LBB167_73:
	v_add_nc_u32_e32 v6, v5, v2
	v_mov_b32_e32 v7, 0
	v_bfe_u32 v1, v61, 16, 1
	v_cmp_o_f32_e32 vcc_lo, v61, v61
	v_mov_b32_e32 v8, 0x7fc0
	v_lshlrev_b64 v[6:7], 1, v[6:7]
	v_add3_u32 v1, v61, v1, 0x7fff
	v_cndmask_b32_sdwa v1, v8, v1, vcc_lo dst_sel:DWORD dst_unused:UNUSED_PAD src0_sel:DWORD src1_sel:WORD_1
	s_waitcnt lgkmcnt(0)
	v_add_co_u32 v6, vcc_lo, s12, v6
	v_add_co_ci_u32_e64 v7, null, s13, v7, vcc_lo
	global_store_short v[6:7], v1, off
	s_or_b32 exec_lo, exec_lo, s4
	s_and_saveexec_b32 s4, s2
	s_cbranch_execz .LBB167_36
.LBB167_74:
	v_add_nc_u32_e32 v6, v5, v3
	v_mov_b32_e32 v7, 0
	v_bfe_u32 v1, v59, 16, 1
	v_cmp_o_f32_e32 vcc_lo, v59, v59
	v_mov_b32_e32 v8, 0x7fc0
	v_lshlrev_b64 v[6:7], 1, v[6:7]
	v_add3_u32 v1, v59, v1, 0x7fff
	v_cndmask_b32_sdwa v1, v8, v1, vcc_lo dst_sel:DWORD dst_unused:UNUSED_PAD src0_sel:DWORD src1_sel:WORD_1
	s_waitcnt lgkmcnt(0)
	v_add_co_u32 v6, vcc_lo, s12, v6
	v_add_co_ci_u32_e64 v7, null, s13, v7, vcc_lo
	global_store_short v[6:7], v1, off
	s_or_b32 exec_lo, exec_lo, s4
	s_and_saveexec_b32 s4, s3
	s_cbranch_execnz .LBB167_37
	s_branch .LBB167_38
.LBB167_75:
	v_add_nc_u32_e32 v6, v5, v0
	v_mov_b32_e32 v7, 0
	v_bfe_u32 v1, v57, 16, 1
	v_cmp_o_f32_e32 vcc_lo, v57, v57
	v_mov_b32_e32 v8, 0x7fc0
	v_lshlrev_b64 v[6:7], 1, v[6:7]
	v_add3_u32 v1, v57, v1, 0x7fff
	v_cndmask_b32_sdwa v1, v8, v1, vcc_lo dst_sel:DWORD dst_unused:UNUSED_PAD src0_sel:DWORD src1_sel:WORD_1
	s_waitcnt lgkmcnt(0)
	v_add_co_u32 v6, vcc_lo, s12, v6
	v_add_co_ci_u32_e64 v7, null, s13, v7, vcc_lo
	global_store_short v[6:7], v1, off
	s_or_b32 exec_lo, exec_lo, s4
	s_and_saveexec_b32 s4, s1
	s_cbranch_execz .LBB167_41
.LBB167_76:
	v_add_nc_u32_e32 v6, v5, v2
	v_mov_b32_e32 v7, 0
	v_bfe_u32 v1, v56, 16, 1
	v_cmp_o_f32_e32 vcc_lo, v56, v56
	v_mov_b32_e32 v8, 0x7fc0
	v_lshlrev_b64 v[6:7], 1, v[6:7]
	v_add3_u32 v1, v56, v1, 0x7fff
	v_cndmask_b32_sdwa v1, v8, v1, vcc_lo dst_sel:DWORD dst_unused:UNUSED_PAD src0_sel:DWORD src1_sel:WORD_1
	s_waitcnt lgkmcnt(0)
	v_add_co_u32 v6, vcc_lo, s12, v6
	v_add_co_ci_u32_e64 v7, null, s13, v7, vcc_lo
	global_store_short v[6:7], v1, off
	s_or_b32 exec_lo, exec_lo, s4
	s_and_saveexec_b32 s4, s2
	s_cbranch_execz .LBB167_42
.LBB167_77:
	v_add_nc_u32_e32 v6, v5, v3
	v_mov_b32_e32 v7, 0
	v_bfe_u32 v1, v54, 16, 1
	v_cmp_o_f32_e32 vcc_lo, v54, v54
	v_mov_b32_e32 v8, 0x7fc0
	v_lshlrev_b64 v[6:7], 1, v[6:7]
	v_add3_u32 v1, v54, v1, 0x7fff
	v_cndmask_b32_sdwa v1, v8, v1, vcc_lo dst_sel:DWORD dst_unused:UNUSED_PAD src0_sel:DWORD src1_sel:WORD_1
	s_waitcnt lgkmcnt(0)
	v_add_co_u32 v6, vcc_lo, s12, v6
	v_add_co_ci_u32_e64 v7, null, s13, v7, vcc_lo
	global_store_short v[6:7], v1, off
	s_or_b32 exec_lo, exec_lo, s4
	s_and_saveexec_b32 s4, s3
	s_cbranch_execnz .LBB167_43
	s_branch .LBB167_44
.LBB167_78:
	v_add_nc_u32_e32 v6, v5, v0
	v_mov_b32_e32 v7, 0
	v_bfe_u32 v1, v52, 16, 1
	v_cmp_o_f32_e32 vcc_lo, v52, v52
	v_mov_b32_e32 v8, 0x7fc0
	v_lshlrev_b64 v[6:7], 1, v[6:7]
	v_add3_u32 v1, v52, v1, 0x7fff
	v_cndmask_b32_sdwa v1, v8, v1, vcc_lo dst_sel:DWORD dst_unused:UNUSED_PAD src0_sel:DWORD src1_sel:WORD_1
	s_waitcnt lgkmcnt(0)
	v_add_co_u32 v6, vcc_lo, s12, v6
	v_add_co_ci_u32_e64 v7, null, s13, v7, vcc_lo
	global_store_short v[6:7], v1, off
	s_or_b32 exec_lo, exec_lo, s4
	s_and_saveexec_b32 s4, s1
	s_cbranch_execz .LBB167_47
.LBB167_79:
	v_add_nc_u32_e32 v6, v5, v2
	v_mov_b32_e32 v7, 0
	v_bfe_u32 v1, v51, 16, 1
	v_cmp_o_f32_e32 vcc_lo, v51, v51
	v_mov_b32_e32 v8, 0x7fc0
	v_lshlrev_b64 v[6:7], 1, v[6:7]
	v_add3_u32 v1, v51, v1, 0x7fff
	v_cndmask_b32_sdwa v1, v8, v1, vcc_lo dst_sel:DWORD dst_unused:UNUSED_PAD src0_sel:DWORD src1_sel:WORD_1
	s_waitcnt lgkmcnt(0)
	v_add_co_u32 v6, vcc_lo, s12, v6
	v_add_co_ci_u32_e64 v7, null, s13, v7, vcc_lo
	global_store_short v[6:7], v1, off
	s_or_b32 exec_lo, exec_lo, s4
	s_and_saveexec_b32 s4, s2
	s_cbranch_execz .LBB167_48
.LBB167_80:
	v_add_nc_u32_e32 v6, v5, v3
	v_mov_b32_e32 v7, 0
	v_bfe_u32 v1, v50, 16, 1
	v_cmp_o_f32_e32 vcc_lo, v50, v50
	v_mov_b32_e32 v8, 0x7fc0
	v_lshlrev_b64 v[6:7], 1, v[6:7]
	v_add3_u32 v1, v50, v1, 0x7fff
	v_cndmask_b32_sdwa v1, v8, v1, vcc_lo dst_sel:DWORD dst_unused:UNUSED_PAD src0_sel:DWORD src1_sel:WORD_1
	s_waitcnt lgkmcnt(0)
	v_add_co_u32 v6, vcc_lo, s12, v6
	v_add_co_ci_u32_e64 v7, null, s13, v7, vcc_lo
	global_store_short v[6:7], v1, off
	s_or_b32 exec_lo, exec_lo, s4
	s_and_saveexec_b32 s4, s3
	s_cbranch_execnz .LBB167_49
	s_branch .LBB167_50
.LBB167_81:
	v_add_nc_u32_e32 v6, v5, v0
	v_mov_b32_e32 v7, 0
	v_bfe_u32 v1, v48, 16, 1
	v_cmp_o_f32_e32 vcc_lo, v48, v48
	v_mov_b32_e32 v8, 0x7fc0
	v_lshlrev_b64 v[6:7], 1, v[6:7]
	v_add3_u32 v1, v48, v1, 0x7fff
	v_cndmask_b32_sdwa v1, v8, v1, vcc_lo dst_sel:DWORD dst_unused:UNUSED_PAD src0_sel:DWORD src1_sel:WORD_1
	s_waitcnt lgkmcnt(0)
	v_add_co_u32 v6, vcc_lo, s12, v6
	v_add_co_ci_u32_e64 v7, null, s13, v7, vcc_lo
	global_store_short v[6:7], v1, off
	s_or_b32 exec_lo, exec_lo, s4
	s_and_saveexec_b32 s4, s1
	s_cbranch_execz .LBB167_53
.LBB167_82:
	v_add_nc_u32_e32 v6, v5, v2
	v_mov_b32_e32 v7, 0
	v_bfe_u32 v1, v47, 16, 1
	v_cmp_o_f32_e32 vcc_lo, v47, v47
	v_mov_b32_e32 v8, 0x7fc0
	v_lshlrev_b64 v[6:7], 1, v[6:7]
	v_add3_u32 v1, v47, v1, 0x7fff
	v_cndmask_b32_sdwa v1, v8, v1, vcc_lo dst_sel:DWORD dst_unused:UNUSED_PAD src0_sel:DWORD src1_sel:WORD_1
	s_waitcnt lgkmcnt(0)
	v_add_co_u32 v6, vcc_lo, s12, v6
	v_add_co_ci_u32_e64 v7, null, s13, v7, vcc_lo
	global_store_short v[6:7], v1, off
	s_or_b32 exec_lo, exec_lo, s4
	s_and_saveexec_b32 s4, s2
	s_cbranch_execz .LBB167_54
.LBB167_83:
	v_add_nc_u32_e32 v6, v5, v3
	v_mov_b32_e32 v7, 0
	v_bfe_u32 v1, v46, 16, 1
	v_cmp_o_f32_e32 vcc_lo, v46, v46
	v_mov_b32_e32 v8, 0x7fc0
	v_lshlrev_b64 v[6:7], 1, v[6:7]
	v_add3_u32 v1, v46, v1, 0x7fff
	v_cndmask_b32_sdwa v1, v8, v1, vcc_lo dst_sel:DWORD dst_unused:UNUSED_PAD src0_sel:DWORD src1_sel:WORD_1
	s_waitcnt lgkmcnt(0)
	v_add_co_u32 v6, vcc_lo, s12, v6
	v_add_co_ci_u32_e64 v7, null, s13, v7, vcc_lo
	global_store_short v[6:7], v1, off
	s_or_b32 exec_lo, exec_lo, s4
	s_and_saveexec_b32 s4, s3
	s_cbranch_execnz .LBB167_55
	s_branch .LBB167_56
.LBB167_84:
	v_add_nc_u32_e32 v6, v5, v0
	v_mov_b32_e32 v7, 0
	v_bfe_u32 v1, v44, 16, 1
	v_cmp_o_f32_e32 vcc_lo, v44, v44
	v_mov_b32_e32 v8, 0x7fc0
	v_lshlrev_b64 v[6:7], 1, v[6:7]
	v_add3_u32 v1, v44, v1, 0x7fff
	v_cndmask_b32_sdwa v1, v8, v1, vcc_lo dst_sel:DWORD dst_unused:UNUSED_PAD src0_sel:DWORD src1_sel:WORD_1
	s_waitcnt lgkmcnt(0)
	v_add_co_u32 v6, vcc_lo, s12, v6
	v_add_co_ci_u32_e64 v7, null, s13, v7, vcc_lo
	global_store_short v[6:7], v1, off
	s_or_b32 exec_lo, exec_lo, s4
	s_and_saveexec_b32 s4, s1
	s_cbranch_execz .LBB167_59
.LBB167_85:
	v_add_nc_u32_e32 v6, v5, v2
	v_mov_b32_e32 v7, 0
	v_bfe_u32 v1, v43, 16, 1
	v_cmp_o_f32_e32 vcc_lo, v43, v43
	v_mov_b32_e32 v8, 0x7fc0
	v_lshlrev_b64 v[6:7], 1, v[6:7]
	v_add3_u32 v1, v43, v1, 0x7fff
	v_cndmask_b32_sdwa v1, v8, v1, vcc_lo dst_sel:DWORD dst_unused:UNUSED_PAD src0_sel:DWORD src1_sel:WORD_1
	s_waitcnt lgkmcnt(0)
	v_add_co_u32 v6, vcc_lo, s12, v6
	v_add_co_ci_u32_e64 v7, null, s13, v7, vcc_lo
	global_store_short v[6:7], v1, off
	s_or_b32 exec_lo, exec_lo, s4
	s_and_saveexec_b32 s4, s2
	s_cbranch_execz .LBB167_60
.LBB167_86:
	v_add_nc_u32_e32 v6, v5, v3
	v_mov_b32_e32 v7, 0
	v_bfe_u32 v1, v42, 16, 1
	v_cmp_o_f32_e32 vcc_lo, v42, v42
	v_mov_b32_e32 v8, 0x7fc0
	v_lshlrev_b64 v[6:7], 1, v[6:7]
	v_add3_u32 v1, v42, v1, 0x7fff
	v_cndmask_b32_sdwa v1, v8, v1, vcc_lo dst_sel:DWORD dst_unused:UNUSED_PAD src0_sel:DWORD src1_sel:WORD_1
	s_waitcnt lgkmcnt(0)
	v_add_co_u32 v6, vcc_lo, s12, v6
	v_add_co_ci_u32_e64 v7, null, s13, v7, vcc_lo
	global_store_short v[6:7], v1, off
	s_or_b32 exec_lo, exec_lo, s4
	s_and_saveexec_b32 s4, s3
	s_cbranch_execnz .LBB167_61
	s_branch .LBB167_62
.LBB167_87:
	v_add_nc_u32_e32 v5, v1, v0
	v_mov_b32_e32 v6, 0
	v_bfe_u32 v7, v40, 16, 1
	v_cmp_o_f32_e32 vcc_lo, v40, v40
	v_mov_b32_e32 v0, 0x7fc0
	v_lshlrev_b64 v[5:6], 1, v[5:6]
	v_add3_u32 v7, v40, v7, 0x7fff
	v_cndmask_b32_sdwa v0, v0, v7, vcc_lo dst_sel:DWORD dst_unused:UNUSED_PAD src0_sel:DWORD src1_sel:WORD_1
	s_waitcnt lgkmcnt(0)
	v_add_co_u32 v5, vcc_lo, s12, v5
	v_add_co_ci_u32_e64 v6, null, s13, v6, vcc_lo
	global_store_short v[5:6], v0, off
	s_or_b32 exec_lo, exec_lo, s4
	s_and_saveexec_b32 s0, s1
	s_cbranch_execz .LBB167_65
.LBB167_88:
	v_add_nc_u32_e32 v5, v1, v2
	v_mov_b32_e32 v6, 0
	v_bfe_u32 v0, v39, 16, 1
	v_cmp_o_f32_e32 vcc_lo, v39, v39
	v_mov_b32_e32 v2, 0x7fc0
	v_lshlrev_b64 v[5:6], 1, v[5:6]
	v_add3_u32 v0, v39, v0, 0x7fff
	v_cndmask_b32_sdwa v0, v2, v0, vcc_lo dst_sel:DWORD dst_unused:UNUSED_PAD src0_sel:DWORD src1_sel:WORD_1
	s_waitcnt lgkmcnt(0)
	v_add_co_u32 v5, vcc_lo, s12, v5
	v_add_co_ci_u32_e64 v6, null, s13, v6, vcc_lo
	global_store_short v[5:6], v0, off
	s_or_b32 exec_lo, exec_lo, s0
	s_and_saveexec_b32 s0, s2
	s_cbranch_execz .LBB167_66
.LBB167_89:
	v_add_nc_u32_e32 v2, v1, v3
	v_mov_b32_e32 v3, 0
	v_bfe_u32 v0, v38, 16, 1
	v_cmp_o_f32_e32 vcc_lo, v38, v38
	v_mov_b32_e32 v5, 0x7fc0
	v_lshlrev_b64 v[2:3], 1, v[2:3]
	v_add3_u32 v0, v38, v0, 0x7fff
	v_cndmask_b32_sdwa v0, v5, v0, vcc_lo dst_sel:DWORD dst_unused:UNUSED_PAD src0_sel:DWORD src1_sel:WORD_1
	s_waitcnt lgkmcnt(0)
	v_add_co_u32 v2, vcc_lo, s12, v2
	v_add_co_ci_u32_e64 v3, null, s13, v3, vcc_lo
	global_store_short v[2:3], v0, off
	s_or_b32 exec_lo, exec_lo, s0
	s_and_b32 exec_lo, exec_lo, s3
	s_cbranch_execnz .LBB167_67
	s_branch .LBB167_68
	.section	.rodata,"a",@progbits
	.p2align	6, 0x0
	.amdhsa_kernel _ZL12mul_mat_q2_KIN3c108BFloat16ELb0EEvPKvS3_PT_iiiii
		.amdhsa_group_segment_fixed_size 31392
		.amdhsa_private_segment_fixed_size 12
		.amdhsa_kernarg_size 44
		.amdhsa_user_sgpr_count 6
		.amdhsa_user_sgpr_private_segment_buffer 1
		.amdhsa_user_sgpr_dispatch_ptr 0
		.amdhsa_user_sgpr_queue_ptr 0
		.amdhsa_user_sgpr_kernarg_segment_ptr 1
		.amdhsa_user_sgpr_dispatch_id 0
		.amdhsa_user_sgpr_flat_scratch_init 0
		.amdhsa_user_sgpr_private_segment_size 0
		.amdhsa_wavefront_size32 1
		.amdhsa_uses_dynamic_stack 0
		.amdhsa_system_sgpr_private_segment_wavefront_offset 1
		.amdhsa_system_sgpr_workgroup_id_x 1
		.amdhsa_system_sgpr_workgroup_id_y 1
		.amdhsa_system_sgpr_workgroup_id_z 0
		.amdhsa_system_sgpr_workgroup_info 0
		.amdhsa_system_vgpr_workitem_id 1
		.amdhsa_next_free_vgpr 256
		.amdhsa_next_free_sgpr 20
		.amdhsa_reserve_vcc 1
		.amdhsa_reserve_flat_scratch 0
		.amdhsa_float_round_mode_32 0
		.amdhsa_float_round_mode_16_64 0
		.amdhsa_float_denorm_mode_32 3
		.amdhsa_float_denorm_mode_16_64 3
		.amdhsa_dx10_clamp 1
		.amdhsa_ieee_mode 1
		.amdhsa_fp16_overflow 0
		.amdhsa_workgroup_processor_mode 1
		.amdhsa_memory_ordered 1
		.amdhsa_forward_progress 1
		.amdhsa_shared_vgpr_count 0
		.amdhsa_exception_fp_ieee_invalid_op 0
		.amdhsa_exception_fp_denorm_src 0
		.amdhsa_exception_fp_ieee_div_zero 0
		.amdhsa_exception_fp_ieee_overflow 0
		.amdhsa_exception_fp_ieee_underflow 0
		.amdhsa_exception_fp_ieee_inexact 0
		.amdhsa_exception_int_div_zero 0
	.end_amdhsa_kernel
	.section	.text._ZL12mul_mat_q2_KIN3c108BFloat16ELb0EEvPKvS3_PT_iiiii,"axG",@progbits,_ZL12mul_mat_q2_KIN3c108BFloat16ELb0EEvPKvS3_PT_iiiii,comdat
.Lfunc_end167:
	.size	_ZL12mul_mat_q2_KIN3c108BFloat16ELb0EEvPKvS3_PT_iiiii, .Lfunc_end167-_ZL12mul_mat_q2_KIN3c108BFloat16ELb0EEvPKvS3_PT_iiiii
                                        ; -- End function
	.set _ZL12mul_mat_q2_KIN3c108BFloat16ELb0EEvPKvS3_PT_iiiii.num_vgpr, 256
	.set _ZL12mul_mat_q2_KIN3c108BFloat16ELb0EEvPKvS3_PT_iiiii.num_agpr, 0
	.set _ZL12mul_mat_q2_KIN3c108BFloat16ELb0EEvPKvS3_PT_iiiii.numbered_sgpr, 20
	.set _ZL12mul_mat_q2_KIN3c108BFloat16ELb0EEvPKvS3_PT_iiiii.num_named_barrier, 0
	.set _ZL12mul_mat_q2_KIN3c108BFloat16ELb0EEvPKvS3_PT_iiiii.private_seg_size, 12
	.set _ZL12mul_mat_q2_KIN3c108BFloat16ELb0EEvPKvS3_PT_iiiii.uses_vcc, 1
	.set _ZL12mul_mat_q2_KIN3c108BFloat16ELb0EEvPKvS3_PT_iiiii.uses_flat_scratch, 0
	.set _ZL12mul_mat_q2_KIN3c108BFloat16ELb0EEvPKvS3_PT_iiiii.has_dyn_sized_stack, 0
	.set _ZL12mul_mat_q2_KIN3c108BFloat16ELb0EEvPKvS3_PT_iiiii.has_recursion, 0
	.set _ZL12mul_mat_q2_KIN3c108BFloat16ELb0EEvPKvS3_PT_iiiii.has_indirect_call, 0
	.section	.AMDGPU.csdata,"",@progbits
; Kernel info:
; codeLenInByte = 28096
; TotalNumSgprs: 22
; NumVgprs: 256
; ScratchSize: 12
; MemoryBound: 0
; FloatMode: 240
; IeeeMode: 1
; LDSByteSize: 31392 bytes/workgroup (compile time only)
; SGPRBlocks: 0
; VGPRBlocks: 31
; NumSGPRsForWavesPerEU: 22
; NumVGPRsForWavesPerEU: 256
; Occupancy: 4
; WaveLimiterHint : 0
; COMPUTE_PGM_RSRC2:SCRATCH_EN: 1
; COMPUTE_PGM_RSRC2:USER_SGPR: 6
; COMPUTE_PGM_RSRC2:TRAP_HANDLER: 0
; COMPUTE_PGM_RSRC2:TGID_X_EN: 1
; COMPUTE_PGM_RSRC2:TGID_Y_EN: 1
; COMPUTE_PGM_RSRC2:TGID_Z_EN: 0
; COMPUTE_PGM_RSRC2:TIDIG_COMP_CNT: 1
	.section	.text._ZL12mul_mat_q2_KIN3c108BFloat16ELb1EEvPKvS3_PT_iiiii,"axG",@progbits,_ZL12mul_mat_q2_KIN3c108BFloat16ELb1EEvPKvS3_PT_iiiii,comdat
	.globl	_ZL12mul_mat_q2_KIN3c108BFloat16ELb1EEvPKvS3_PT_iiiii ; -- Begin function _ZL12mul_mat_q2_KIN3c108BFloat16ELb1EEvPKvS3_PT_iiiii
	.p2align	8
	.type	_ZL12mul_mat_q2_KIN3c108BFloat16ELb1EEvPKvS3_PT_iiiii,@function
_ZL12mul_mat_q2_KIN3c108BFloat16ELb1EEvPKvS3_PT_iiiii: ; @_ZL12mul_mat_q2_KIN3c108BFloat16ELb1EEvPKvS3_PT_iiiii
; %bb.0:
	s_mov_b64 s[18:19], s[2:3]
	s_mov_b64 s[16:17], s[0:1]
	v_mov_b32_e32 v18, v1
	s_add_u32 s16, s16, s8
	s_clause 0x1
	s_load_dwordx4 s[8:11], s[4:5], 0x18
	s_load_dword s14, s[4:5], 0x28
	s_addc_u32 s17, s17, 0
	s_lshl_b32 s7, s7, 6
	v_add_nc_u32_e32 v1, s7, v18
	s_waitcnt lgkmcnt(0)
	s_cmpk_gt_i32 s8, 0xff
	s_cbranch_scc1 .LBB168_2
; %bb.1:
	v_add_nc_u32_e32 v2, s7, v18
	s_mov_b32 s0, 0
	s_branch .LBB168_3
.LBB168_2:
	s_mov_b32 s0, -1
                                        ; implicit-def: $vgpr2
.LBB168_3:
	s_load_dwordx2 s[12:13], s[4:5], 0x10
	v_mov_b32_e32 v53, 0
	v_mov_b32_e32 v57, 0
	;; [unrolled: 1-line block ×32, first 2 shown]
	s_andn2_b32 vcc_lo, exec_lo, s0
	s_lshl_b32 s6, s6, 7
	s_cbranch_vccnz .LBB168_17
; %bb.4:
	s_load_dwordx4 s[0:3], s[4:5], 0x0
	s_ashr_i32 s4, s8, 31
	s_ashr_i32 s5, s11, 31
	s_lshr_b32 s4, s4, 24
	s_lshr_b32 s5, s5, 27
	s_add_i32 s4, s8, s4
	s_add_i32 s5, s11, s5
	s_ashr_i32 s4, s4, 8
	s_ashr_i32 s11, s5, 5
	s_mul_i32 s8, s4, s6
	v_add_nc_u32_e32 v17, 8, v18
	s_mul_i32 s5, s8, 0x54
	s_mul_hi_i32 s8, s8, 0x54
	v_lshlrev_b32_e32 v2, 2, v0
	v_add_nc_u32_e32 v38, 16, v18
	v_add_nc_u32_e32 v39, 24, v18
	;; [unrolled: 1-line block ×6, first 2 shown]
	s_waitcnt lgkmcnt(0)
	s_add_u32 s5, s0, s5
	s_addc_u32 s8, s1, s8
	s_not_b32 s0, s6
	v_lshlrev_b32_e32 v44, 4, v18
	s_add_i32 s0, s9, s0
	v_lshrrev_b32_e32 v8, 3, v0
	v_min_i32_e32 v3, s0, v18
	v_min_i32_e32 v4, s0, v17
	;; [unrolled: 1-line block ×3, first 2 shown]
	v_add_nc_u32_e32 v9, 16, v1
	v_lshl_add_u32 v35, v18, 2, v8
	v_mul_lo_u32 v6, v3, s4
	v_mov_b32_e32 v19, v8
	v_and_b32_e32 v8, 7, v0
	v_add_nc_u32_e32 v11, 24, v1
	v_min_i32_e32 v45, s0, v35
	v_add_nc_u32_e32 v13, 32, v1
	v_add_nc_u32_e32 v15, 40, v1
	v_lshlrev_b32_e32 v49, 2, v8
	buffer_store_dword v6, off, s[16:19], 0 ; 4-byte Folded Spill
	v_mad_u64_u32 v[6:7], null, 0x84, v3, v[2:3]
	v_mul_lo_u32 v3, v4, s4
	s_add_i32 s1, s10, -1
	v_cvt_f64_u32_e32 v[9:10], v9
	v_cvt_f64_u32_e32 v[11:12], v11
	buffer_store_dword v6, off, s[16:19], 0 offset:4 ; 4-byte Folded Spill
	buffer_store_dword v7, off, s[16:19], 0 offset:8 ; 4-byte Folded Spill
	v_lshrrev_b32_e32 v6, 1, v0
	buffer_store_dword v3, off, s[16:19], 0 offset:12 ; 4-byte Folded Spill
	v_mad_u64_u32 v[3:4], null, 0x84, v4, v[2:3]
	v_add_nc_u32_e32 v7, 0x78, v18
	buffer_store_dword v3, off, s[16:19], 0 offset:16 ; 4-byte Folded Spill
	buffer_store_dword v4, off, s[16:19], 0 offset:20 ; 4-byte Folded Spill
	v_mul_lo_u32 v4, v5, s4
	v_min_i32_e32 v3, s0, v39
	v_add_nc_u32_e32 v6, v6, v44
	v_cvt_f64_u32_e32 v[13:14], v13
	v_cvt_f64_u32_e32 v[15:16], v15
	v_add_nc_u32_e32 v52, 0x60, v35
	v_mad_u64_u32 v[20:21], null, 0x84, v5, v[2:3]
	buffer_store_dword v4, off, s[16:19], 0 offset:24 ; 4-byte Folded Spill
	v_mul_lo_u32 v81, v3, s4
	v_min_i32_e32 v4, s0, v40
	v_mad_u64_u32 v[21:22], null, 0x84, v3, v[2:3]
	v_min_i32_e32 v3, s0, v41
	v_add_nc_u32_e32 v5, 64, v18
	v_mul_lo_u32 v83, v4, s4
	v_cmp_lt_u32_e32 vcc_lo, 3, v8
	v_add_nc_u32_e32 v37, 56, v1
	v_mad_u64_u32 v[22:23], null, 0x84, v4, v[2:3]
	v_min_i32_e32 v4, s0, v42
	v_mul_lo_u32 v84, v3, s4
	v_mad_u64_u32 v[23:24], null, 0x84, v3, v[2:3]
	v_min_i32_e32 v3, s0, v43
	v_mul_lo_u32 v85, v4, s4
	v_min_i32_e32 v5, s0, v5
	v_min_i32_e32 v52, s0, v52
	v_and_b32_e32 v77, 60, v2
	v_mad_u64_u32 v[24:25], null, 0x84, v4, v[2:3]
	v_add_nc_u32_e32 v4, 0x48, v18
	v_mul_lo_u32 v86, v3, s4
	v_mad_u64_u32 v[25:26], null, 0x84, v3, v[2:3]
	v_mul_lo_u32 v88, v5, s4
	v_min_i32_e32 v3, s0, v4
	v_add_nc_u32_e32 v4, 0x50, v18
	v_ashrrev_i32_e32 v55, 31, v52
	v_and_b32_e32 v103, 12, v2
	buffer_store_dword v1, off, s[16:19], 0 offset:44 ; 4-byte Folded Spill
	v_mad_u64_u32 v[26:27], null, 0x84, v5, v[2:3]
	v_add_nc_u32_e32 v5, 0x58, v18
	v_mul_lo_u32 v89, v3, s4
	v_min_i32_e32 v4, s0, v4
	v_mad_u64_u32 v[27:28], null, 0x84, v3, v[2:3]
	v_min_i32_e32 v3, s0, v5
	v_add_nc_u32_e32 v5, 0x60, v18
	v_mul_lo_u32 v91, v4, s4
	v_lshrrev_b32_e32 v55, 30, v55
	v_lshrrev_b32_e32 v56, 4, v0
	v_mad_u64_u32 v[28:29], null, 0x84, v4, v[2:3]
	v_min_i32_e32 v4, s0, v5
	v_and_b32_e32 v5, 0x7f, v6
	v_mul_lo_u32 v92, v3, s4
	v_mad_u64_u32 v[29:30], null, 0x84, v3, v[2:3]
	v_add_nc_u32_e32 v6, 0x68, v18
	v_min_i32_e32 v3, s0, v5
	v_mul_lo_u32 v93, v4, s4
	v_add_nc_u32_e32 v55, v52, v55
	v_mul_lo_u32 v104, v45, s4
	v_min_i32_e32 v5, s0, v6
	v_mad_u64_u32 v[30:31], null, 0x84, v4, v[2:3]
	v_ashrrev_i32_e32 v4, 31, v3
	v_add_nc_u32_e32 v6, 0x70, v18
	v_mad_u64_u32 v[31:32], null, 0x84, v5, v[2:3]
	v_mul_lo_u32 v96, v5, s4
	v_lshrrev_b32_e32 v4, 28, v4
	v_min_i32_e32 v6, s0, v6
	v_min_i32_e32 v5, s0, v7
	v_and_b32_e32 v7, 1, v0
	v_mul_lo_u32 v100, v3, s4
	v_add_nc_u32_e32 v4, v3, v4
	v_mul_lo_u32 v97, v6, s4
	v_mad_u64_u32 v[32:33], null, 0x84, v6, v[2:3]
	v_ashrrev_i32_e32 v6, 31, v45
	v_ashrrev_i32_e32 v4, 4, v4
	v_mul_lo_u32 v98, v5, s4
	v_mad_u64_u32 v[33:34], null, 0x84, v5, v[2:3]
	v_mov_b32_e32 v80, v7
	v_lshlrev_b32_e32 v4, 2, v4
	v_lshlrev_b32_e32 v5, 2, v7
	v_lshrrev_b32_e32 v6, 30, v6
	v_add_nc_u32_e32 v7, 32, v35
	v_lshlrev_b32_e32 v47, 3, v3
	v_add_nc_u32_e32 v34, 48, v1
	v_add3_u32 v46, v4, v5, 0x7280
	v_add_nc_u32_e32 v4, v45, v6
	v_min_i32_e32 v48, s0, v7
	v_add_nc_u32_e32 v5, 64, v35
	v_add_nc_u32_e32 v7, 8, v1
	v_cvt_f64_u32_e32 v[34:35], v34
	v_and_b32_e32 v3, -4, v4
	v_ashrrev_i32_e32 v4, 31, v48
	v_min_i32_e32 v51, s0, v5
	v_cvt_f64_u32_e32 v[5:6], v1
	v_cvt_f64_u32_e32 v[7:8], v7
	v_add3_u32 v50, v3, v49, 0x6200
	v_lshrrev_b32_e32 v36, 30, v4
	v_cvt_f64_i32_e32 v[3:4], s1
	v_ashrrev_i32_e32 v54, 31, v51
	v_and_b32_e32 v2, 28, v2
	v_lshlrev_b32_e32 v45, 5, v45
	v_add_nc_u32_e32 v53, v48, v36
	v_cvt_f64_u32_e32 v[36:37], v37
	v_lshrrev_b32_e32 v54, 30, v54
	v_mul_lo_u32 v108, v48, s4
	v_lshlrev_b32_e32 v48, 5, v48
	v_and_b32_e32 v53, -4, v53
	v_mul_lo_u32 v110, v51, s4
	v_add_nc_u32_e32 v54, v51, v54
	v_lshlrev_b32_e32 v51, 5, v51
	v_mul_lo_u32 v111, v52, s4
	v_add3_u32 v53, v53, v49, 0x6200
	v_cndmask_b32_e64 v102, 0, 1, vcc_lo
	v_and_b32_e32 v54, -4, v54
	v_add_nc_u32_e32 v126, 0x76a0, v44
	v_add_nc_u32_e32 v136, v46, v47
	;; [unrolled: 1-line block ×4, first 2 shown]
	v_add3_u32 v54, v54, v49, 0x6200
	v_min_f64 v[9:10], v[9:10], v[3:4]
	v_min_f64 v[11:12], v[11:12], v[3:4]
	;; [unrolled: 1-line block ×8, first 2 shown]
	v_lshrrev_b32_e32 v36, 2, v0
	v_and_b32_e32 v37, -4, v55
	v_add_nc_u32_e32 v139, v54, v51
	v_mov_b32_e32 v79, v56
	v_lshlrev_b32_e32 v149, 2, v56
	v_lshl_add_u32 v36, v18, 3, v36
	v_add3_u32 v37, v37, v49, 0x6200
	v_lshlrev_b32_e32 v49, 5, v52
	v_mov_b32_e32 v157, 0xffff
	v_mov_b32_e32 v158, 15
	;; [unrolled: 1-line block ×4, first 2 shown]
	v_add_nc_u32_e32 v140, v37, v49
	v_mov_b32_e32 v87, 0
	v_cvt_i32_f64_e32 v9, v[9:10]
	v_cvt_i32_f64_e32 v10, v[11:12]
	;; [unrolled: 1-line block ×8, first 2 shown]
	v_and_b32_e32 v8, 63, v36
	v_and_b32_e32 v5, 3, v0
	;; [unrolled: 1-line block ×3, first 2 shown]
	v_mov_b32_e32 v73, 0
	v_mov_b32_e32 v68, 0
	v_or_b32_e32 v13, s7, v8
	v_lshlrev_b32_e32 v15, 2, v5
	v_lshl_or_b32 v11, v11, 2, 0x4200
	v_mov_b32_e32 v64, 0
	v_mov_b32_e32 v60, 0
	v_min_i32_e32 v4, s1, v13
	v_lshl_or_b32 v8, v8, 4, v15
	v_mul_u32_u24_e32 v13, 33, v0
	v_lshlrev_b32_e32 v15, 1, v0
	v_mul_lo_u32 v116, s11, v9
	v_mul_lo_u32 v117, s11, v10
	;; [unrolled: 1-line block ×4, first 2 shown]
	v_add_nc_u32_e32 v14, 64, v0
	v_mul_lo_u32 v120, s11, v16
	v_add_nc_u32_e32 v12, 32, v0
	v_add_nc_u32_e32 v16, 0x60, v0
	v_mad_u64_u32 v[34:35], null, v4, s11, v[5:6]
	v_lshrrev_b32_e32 v1, 3, v14
	v_add_nc_u32_e32 v113, 0x76a0, v8
	v_mul_lo_u32 v114, s11, v6
	v_mul_lo_u32 v115, s11, v7
	v_lshlrev_b32_e32 v5, 7, v17
	v_lshlrev_b32_e32 v6, 7, v38
	;; [unrolled: 1-line block ×7, first 2 shown]
	v_lshrrev_b32_e32 v38, 4, v12
	v_lshlrev_b32_e32 v39, 1, v14
	v_lshrrev_b32_e32 v40, 4, v14
	v_lshlrev_b32_e32 v41, 1, v16
	v_lshrrev_b32_e32 v42, 4, v16
	v_lshrrev_b32_e32 v122, 3, v12
	buffer_store_dword v1, off, s[16:19], 0 offset:28 ; 4-byte Folded Spill
	v_lshrrev_b32_e32 v1, 3, v16
	v_add_co_u32 v35, s0, s2, v2
	v_lshlrev_b32_e32 v125, 2, v13
	v_lshlrev_b32_e32 v2, 5, v0
	v_and_b32_e32 v13, 0xfc, v0
	v_and_b32_e32 v12, 0x1fc, v12
	v_and_b32_e32 v14, 0x1fc, v14
	v_and_b32_e32 v16, 0x1fc, v16
	v_lshlrev_b32_e32 v4, 7, v18
	v_mul_lo_u32 v121, s11, v3
	v_lshlrev_b32_e32 v3, 7, v43
	v_add_nc_u32_e32 v127, v2, v13
	v_add_nc_u32_e32 v128, v2, v12
	;; [unrolled: 1-line block ×4, first 2 shown]
	v_add_co_ci_u32_e64 v36, null, s3, 0, s0
	v_add_nc_u32_e32 v131, 0x4200, v4
	v_add_nc_u32_e32 v132, 0x6200, v127
	;; [unrolled: 1-line block ×13, first 2 shown]
	v_lshlrev_b32_e32 v150, 2, v15
	v_lshlrev_b32_e32 v151, 2, v38
	;; [unrolled: 1-line block ×7, first 2 shown]
	v_mov_b32_e32 v56, 0
	v_mov_b32_e32 v109, 0
	;; [unrolled: 1-line block ×25, first 2 shown]
	s_mov_b32 s9, 0
	buffer_store_dword v18, off, s[16:19], 0 offset:36 ; 4-byte Folded Spill
	buffer_store_dword v1, off, s[16:19], 0 offset:32 ; 4-byte Folded Spill
	;; [unrolled: 1-line block ×3, first 2 shown]
	s_branch .LBB168_6
.LBB168_5:                              ;   in Loop: Header=BB168_6 Depth=1
	s_add_i32 s9, s9, 2
	s_cmp_ge_i32 s9, s4
	s_cbranch_scc1 .LBB168_16
.LBB168_6:                              ; =>This Loop Header: Depth=1
                                        ;     Child Loop BB168_7 Depth 2
                                        ;     Child Loop BB168_9 Depth 2
	;; [unrolled: 1-line block ×4, first 2 shown]
	buffer_load_dword v0, off, s[16:19], 0  ; 4-byte Folded Reload
	s_mul_i32 s0, s9, 0x54
	s_mul_hi_u32 s1, s9, 0x54
	s_add_u32 s0, s5, s0
	s_addc_u32 s1, s8, s1
	s_lshl_b32 s11, s9, 3
	v_mad_u64_u32 v[2:3], null, 0x54, v79, s[0:1]
	v_add_nc_u32_e32 v160, s11, v19
	v_add_nc_u32_e32 v159, s11, v34
	;; [unrolled: 1-line block ×3, first 2 shown]
	v_mad_i64_i32 v[10:11], null, 0x54, v81, v[2:3]
	v_mad_i64_i32 v[12:13], null, 0x54, v83, v[2:3]
	;; [unrolled: 1-line block ×4, first 2 shown]
	v_add_nc_u32_e32 v43, v160, v115
	v_mad_i64_i32 v[37:38], null, 0x54, v86, v[2:3]
	v_add_nc_u32_e32 v45, v160, v116
	v_add_nc_u32_e32 v47, v160, v117
	;; [unrolled: 1-line block ×3, first 2 shown]
	v_mad_u64_u32 v[51:52], null, v159, 36, s[2:3]
	v_mad_i64_i32 v[41:42], null, v41, 36, v[35:36]
	v_add_nc_u32_e32 v161, v160, v119
	v_mad_i64_i32 v[43:44], null, v43, 36, v[35:36]
	v_add_nc_u32_e32 v162, v160, v120
	;; [unrolled: 2-line block ×3, first 2 shown]
	v_mad_i64_i32 v[47:48], null, v47, 36, v[35:36]
	v_mad_i64_i32 v[49:50], null, v49, 36, v[35:36]
	v_mad_i64_i32 v[160:161], null, v161, 36, v[35:36]
	v_mad_i64_i32 v[162:163], null, v162, 36, v[35:36]
	v_mad_i64_i32 v[164:165], null, v164, 36, v[35:36]
	v_mad_i64_i32 v[39:40], null, 0x54, v88, v[2:3]
	s_waitcnt vmcnt(0)
	v_mad_i64_i32 v[4:5], null, 0x54, v0, v[2:3]
	buffer_load_dword v0, off, s[16:19], 0 offset:12 ; 4-byte Folded Reload
	v_add_co_u32 v4, vcc_lo, v4, v77
	v_add_co_ci_u32_e64 v5, null, 0, v5, vcc_lo
	s_waitcnt vmcnt(0)
	v_mad_i64_i32 v[6:7], null, 0x54, v0, v[2:3]
	buffer_load_dword v0, off, s[16:19], 0 offset:24 ; 4-byte Folded Reload
	v_add_co_u32 v6, vcc_lo, v6, v77
	v_add_co_ci_u32_e64 v7, null, 0, v7, vcc_lo
	s_waitcnt vmcnt(0)
	v_mad_i64_i32 v[8:9], null, 0x54, v0, v[2:3]
	v_add_co_u32 v8, vcc_lo, v8, v77
	v_add_co_ci_u32_e64 v9, null, 0, v9, vcc_lo
	v_add_co_u32 v10, vcc_lo, v10, v77
	v_add_co_ci_u32_e64 v11, null, 0, v11, vcc_lo
	;; [unrolled: 2-line block ×6, first 2 shown]
	s_clause 0x7
	global_load_dword v166, v[4:5], off offset:16
	global_load_dword v167, v[6:7], off offset:16
	;; [unrolled: 1-line block ×8, first 2 shown]
	s_clause 0x8
	global_load_dword v51, v[51:52], off
	global_load_dword v52, v[41:42], off offset:4
	global_load_dword v174, v[43:44], off offset:4
	;; [unrolled: 1-line block ×8, first 2 shown]
	v_mad_i64_i32 v[4:5], null, 0x54, v89, v[2:3]
	v_mad_i64_i32 v[8:9], null, 0x54, v91, v[2:3]
	;; [unrolled: 1-line block ×3, first 2 shown]
	v_add_co_u32 v6, vcc_lo, v39, v77
	v_mad_i64_i32 v[12:13], null, 0x54, v93, v[2:3]
	v_add_co_ci_u32_e64 v7, null, 0, v40, vcc_lo
	v_add_co_u32 v4, vcc_lo, v4, v77
	v_mad_i64_i32 v[14:15], null, 0x54, v96, v[2:3]
	v_add_co_ci_u32_e64 v5, null, 0, v5, vcc_lo
	;; [unrolled: 3-line block ×4, first 2 shown]
	v_add_co_u32 v12, vcc_lo, v12, v77
	v_mad_u64_u32 v[37:38], null, 0x54, v102, s[0:1]
	v_add_co_ci_u32_e64 v13, null, 0, v13, vcc_lo
	v_add_co_u32 v14, vcc_lo, v14, v77
	v_add_co_ci_u32_e64 v15, null, 0, v15, vcc_lo
	v_add_co_u32 v16, vcc_lo, v16, v77
	;; [unrolled: 2-line block ×3, first 2 shown]
	v_mad_i64_i32 v[39:40], null, 0x54, v100, s[0:1]
	v_add_co_ci_u32_e64 v3, null, 0, v3, vcc_lo
	v_add_co_u32 v37, vcc_lo, v37, v103
	v_add_co_ci_u32_e64 v38, null, 0, v38, vcc_lo
	v_mad_u64_u32 v[39:40], null, 0x54, v80, v[39:40]
	v_mov_b32_e32 v160, v131
	v_mad_i64_i32 v[41:42], null, 0x54, v104, v[37:38]
	v_mad_i64_i32 v[43:44], null, 0x54, v108, v[37:38]
	;; [unrolled: 1-line block ×4, first 2 shown]
	s_clause 0xc
	global_load_dword v6, v[6:7], off offset:16
	global_load_dword v4, v[4:5], off offset:16
	;; [unrolled: 1-line block ×9, first 2 shown]
	global_load_dword v11, v[41:42], off
	global_load_dword v12, v[43:44], off
	;; [unrolled: 1-line block ×4, first 2 shown]
	v_mov_b32_e32 v161, v126
	s_mov_b32 s0, 0
	s_waitcnt vmcnt(21)
	v_cvt_f32_f16_e32 v15, v51
	s_waitcnt vmcnt(20)
	ds_write_b32 v141, v52
	s_waitcnt vmcnt(19)
	ds_write_b32 v142, v174
	;; [unrolled: 2-line block ×8, first 2 shown]
	ds_write_b32 v113, v15
	s_clause 0x1
	buffer_load_dword v0, off, s[16:19], 0 offset:4
	buffer_load_dword v1, off, s[16:19], 0 offset:8
	s_waitcnt vmcnt(1)
	ds_write_b32 v0, v166
	s_clause 0x1
	buffer_load_dword v0, off, s[16:19], 0 offset:16
	buffer_load_dword v1, off, s[16:19], 0 offset:20
	s_waitcnt vmcnt(1)
	ds_write_b32 v0, v167
	ds_write_b32 v20, v168
	;; [unrolled: 1-line block ×20, first 2 shown]
	s_waitcnt vmcnt(0) lgkmcnt(0)
	s_waitcnt_vscnt null, 0x0
	s_barrier
	buffer_gl0_inv
.LBB168_7:                              ;   Parent Loop BB168_6 Depth=1
                                        ; =>  This Inner Loop Header: Depth=2
	s_and_b32 s15, s0, 0x3ffffff8
	s_and_b32 s1, s0, -16
	v_lshl_add_u32 v230, s15, 2, v125
	ds_read_b128 v[2:5], v160
	ds_read_b128 v[206:209], v160 offset:16
	ds_read_b128 v[177:180], v160 offset:1024
	;; [unrolled: 1-line block ×7, first 2 shown]
	v_add_nc_u32_e32 v191, 0x1080, v230
	v_add_nc_u32_e32 v193, 0x1088, v230
	s_add_i32 s1, s0, s1
	ds_read2_b32 v[175:176], v230 offset1:1
	ds_read2_b32 v[189:190], v230 offset0:2 offset1:3
	ds_read2_b32 v[222:223], v230 offset0:4 offset1:5
	;; [unrolled: 1-line block ×3, first 2 shown]
	v_add_nc_u32_e32 v195, 0x2100, v230
	v_add_nc_u32_e32 v198, 0x2108, v230
	;; [unrolled: 1-line block ×10, first 2 shown]
	ds_read2_b32 v[191:192], v191 offset1:1
	ds_read2_b32 v[193:194], v193 offset1:1
	;; [unrolled: 1-line block ×6, first 2 shown]
	ds_read_u16 v198, v47
	ds_read_u16 v49, v49
	ds_read2_b32 v[201:202], v203 offset1:1
	ds_read2_b32 v[203:204], v204 offset1:1
	ds_read_u16 v47, v52
	ds_read_u16 v52, v197
	v_mov_b32_e32 v44, 0
	v_mov_b32_e32 v37, 0
	;; [unrolled: 1-line block ×5, first 2 shown]
	s_waitcnt lgkmcnt(15)
	v_ashrrev_i32_e32 v175, s0, v175
	v_ashrrev_i32_e32 v176, s0, v176
	s_waitcnt lgkmcnt(14)
	v_ashrrev_i32_e32 v189, s0, v189
	v_mov_b32_e32 v164, 0
	v_mov_b32_e32 v166, 0
	v_and_b32_e32 v231, 0x3030303, v175
	v_and_b32_e32 v232, 0x3030303, v176
	;; [unrolled: 1-line block ×3, first 2 shown]
	s_waitcnt lgkmcnt(11)
	v_ashrrev_i32_e32 v175, s0, v191
	v_ashrrev_i32_e32 v176, s0, v192
	s_waitcnt lgkmcnt(10)
	v_ashrrev_i32_e32 v189, s0, v193
	v_ashrrev_i32_e32 v191, s0, v194
	;; [unrolled: 3-line block ×6, first 2 shown]
	v_bfe_u32 v201, v198, 4, 4
	v_bfe_u32 v202, v49, 4, 4
	s_waitcnt lgkmcnt(1)
	v_bfe_u32 v203, v47, 4, 4
	s_waitcnt lgkmcnt(0)
	v_bfe_u32 v204, v52, 4, 4
	v_mov_b32_e32 v168, 0
	v_mul_lo_u32 v243, 0x1010101, v201
	v_mul_lo_u32 v244, 0x1010101, v202
	;; [unrolled: 1-line block ×4, first 2 shown]
	v_and_b32_e32 v234, 0x3030303, v175
	v_and_b32_e32 v192, 0x3030303, v192
	;; [unrolled: 1-line block ×3, first 2 shown]
	v_dot4c_i32_i8 v44, v231, v2
	v_and_b32_e32 v235, 0x3030303, v176
	v_and_b32_e32 v193, 0x3030303, v193
	;; [unrolled: 1-line block ×3, first 2 shown]
	v_dot4c_i32_i8 v37, v234, v2
	v_dot4c_i32_i8 v39, v192, v2
	;; [unrolled: 1-line block ×7, first 2 shown]
	v_ashrrev_i32_e32 v190, s0, v190
	v_and_b32_e32 v236, 0x3030303, v189
	v_and_b32_e32 v237, 0x3030303, v194
	v_and_b32_e32 v241, 0x3030303, v199
	v_dot4c_i32_i8 v44, v232, v3
	v_dot4c_i32_i8 v37, v235, v3
	;; [unrolled: 1-line block ×8, first 2 shown]
	v_mov_b32_e32 v45, 0
	v_mov_b32_e32 v163, 0
	;; [unrolled: 1-line block ×8, first 2 shown]
	v_and_b32_e32 v190, 0x3030303, v190
	v_and_b32_e32 v191, 0x3030303, v191
	v_and_b32_e32 v238, 0x3030303, v195
	v_and_b32_e32 v242, 0x3030303, v200
	v_dot4c_i32_i8 v44, v233, v4
	v_dot4c_i32_i8 v37, v236, v4
	;; [unrolled: 1-line block ×24, first 2 shown]
	ds_read_b128 v[2:5], v160 offset:4096
	ds_read_b128 v[210:213], v160 offset:4112
	v_dot4c_i32_i8 v45, v232, v178
	v_dot4c_i32_i8 v38, v235, v178
	;; [unrolled: 1-line block ×8, first 2 shown]
	v_mov_b32_e32 v46, 0
	v_mov_b32_e32 v170, 0
	;; [unrolled: 1-line block ×8, first 2 shown]
	v_dot4c_i32_i8 v45, v233, v179
	v_dot4c_i32_i8 v38, v236, v179
	;; [unrolled: 1-line block ×24, first 2 shown]
	v_mov_b32_e32 v204, 0
	v_mov_b32_e32 v247, 0
	;; [unrolled: 1-line block ×8, first 2 shown]
	s_waitcnt lgkmcnt(1)
	v_dot4c_i32_i8 v204, v231, v2
	v_dot4c_i32_i8 v247, v234, v2
	;; [unrolled: 1-line block ×32, first 2 shown]
	ds_read_b128 v[2:5], v160 offset:5120
	ds_read_b128 v[214:217], v160 offset:5136
	v_dot4c_i32_i8 v46, v232, v182
	v_dot4c_i32_i8 v43, v235, v182
	v_dot4c_i32_i8 v41, v193, v182
	v_dot4c_i32_i8 v51, v240, v182
	v_dot4c_i32_i8 v170, v243, v182
	v_dot4c_i32_i8 v171, v244, v182
	v_dot4c_i32_i8 v172, v245, v182
	v_dot4c_i32_i8 v173, v246, v182
	v_mov_b32_e32 v48, 0
	v_mov_b32_e32 v174, 0
	;; [unrolled: 1-line block ×8, first 2 shown]
	v_dot4c_i32_i8 v46, v233, v183
	v_dot4c_i32_i8 v43, v236, v183
	;; [unrolled: 1-line block ×24, first 2 shown]
	v_mov_b32_e32 v248, 0
	v_mov_b32_e32 v249, 0
	;; [unrolled: 1-line block ×8, first 2 shown]
	s_waitcnt lgkmcnt(1)
	v_dot4c_i32_i8 v248, v231, v2
	v_dot4c_i32_i8 v249, v234, v2
	;; [unrolled: 1-line block ×32, first 2 shown]
	ds_read_b128 v[2:5], v160 offset:6144
	ds_read_b128 v[218:221], v160 offset:6160
	v_dot4c_i32_i8 v48, v232, v186
	v_dot4c_i32_i8 v201, v235, v186
	;; [unrolled: 1-line block ×24, first 2 shown]
	v_mov_b32_e32 v251, 0
	v_mov_b32_e32 v252, 0
	;; [unrolled: 1-line block ×8, first 2 shown]
	s_waitcnt lgkmcnt(1)
	v_dot4c_i32_i8 v251, v231, v2
	v_dot4c_i32_i8 v252, v234, v2
	;; [unrolled: 1-line block ×32, first 2 shown]
	ds_read_b128 v[194:197], v160 offset:7168
	ds_read_b128 v[2:5], v160 offset:7184
	v_mov_b32_e32 v255, 0
	v_mov_b32_e32 v69, 0
	v_ashrrev_i32_e32 v222, s0, v222
	v_ashrrev_i32_e32 v226, s0, v226
	;; [unrolled: 1-line block ×5, first 2 shown]
	v_and_b32_e32 v222, 0x3030303, v222
	v_and_b32_e32 v226, 0x3030303, v226
	v_ashrrev_i32_e32 v228, s0, v228
	v_and_b32_e32 v223, 0x3030303, v223
	v_and_b32_e32 v227, 0x3030303, v227
	v_ashrrev_i32_e32 v225, s0, v225
	v_ashrrev_i32_e32 v229, s0, v229
	v_and_b32_e32 v224, 0x3030303, v224
	v_and_b32_e32 v228, 0x3030303, v228
	v_mov_b32_e32 v74, 0
	v_and_b32_e32 v225, 0x3030303, v225
	s_waitcnt lgkmcnt(1)
	v_dot4c_i32_i8 v255, v231, v194
	v_mov_b32_e32 v231, 0
	v_dot4c_i32_i8 v69, v239, v194
	v_and_b32_e32 v229, 0x3030303, v229
	v_mov_b32_e32 v94, 0
	v_dot4c_i32_i8 v255, v232, v195
	v_dot4c_i32_i8 v231, v234, v194
	v_mov_b32_e32 v234, 0
	v_dot4c_i32_i8 v69, v240, v195
	v_dot4c_i32_i8 v74, v226, v6
	v_dot4c_i32_i8 v255, v233, v196
	v_dot4c_i32_i8 v231, v235, v195
	v_dot4c_i32_i8 v234, v192, v194
	v_mov_b32_e32 v192, 0
	v_dot4c_i32_i8 v69, v241, v196
	v_dot4c_i32_i8 v255, v190, v197
	;; [unrolled: 1-line block ×4, first 2 shown]
	v_mov_b32_e32 v190, 0
	v_mov_b32_e32 v193, 0
	v_dot4c_i32_i8 v192, v245, v194
	v_dot4c_i32_i8 v231, v191, v197
	v_mov_b32_e32 v191, 0
	v_dot4c_i32_i8 v190, v243, v194
	v_dot4c_i32_i8 v193, v246, v194
	;; [unrolled: 1-line block ×8, first 2 shown]
	v_add_nc_u32_e32 v194, 0x1090, v230
	v_dot4c_i32_i8 v191, v244, v195
	v_dot4c_i32_i8 v190, v243, v196
	;; [unrolled: 1-line block ×6, first 2 shown]
	v_add_nc_u32_e32 v196, 0x1098, v230
	v_dot4c_i32_i8 v190, v243, v197
	v_dot4c_i32_i8 v192, v245, v197
	;; [unrolled: 1-line block ×4, first 2 shown]
	ds_read2_b32 v[194:195], v194 offset1:1
	ds_read2_b32 v[196:197], v196 offset1:1
	v_mov_b32_e32 v243, 0
	v_mov_b32_e32 v244, 0
	;; [unrolled: 1-line block ×4, first 2 shown]
	v_dot4c_i32_i8 v74, v227, v7
	v_mov_b32_e32 v99, 0
	v_dot4c_i32_i8 v244, v226, v206
	v_mov_b32_e32 v123, 0
	v_mov_b32_e32 v124, 0
	v_dot4c_i32_i8 v74, v228, v8
	v_dot4c_i32_i8 v99, v226, v210
	;; [unrolled: 1-line block ×3, first 2 shown]
	v_mov_b32_e32 v78, 0
	v_mov_b32_e32 v0, 0
	v_dot4c_i32_i8 v74, v229, v9
	v_dot4c_i32_i8 v99, v227, v211
	;; [unrolled: 1-line block ×4, first 2 shown]
	s_waitcnt lgkmcnt(1)
	v_ashrrev_i32_e32 v232, s0, v194
	v_add_nc_u32_e32 v194, 0x3190, v230
	s_waitcnt lgkmcnt(0)
	v_ashrrev_i32_e32 v235, s0, v196
	v_add_nc_u32_e32 v196, 0x3198, v230
	v_ashrrev_i32_e32 v233, s0, v195
	v_ashrrev_i32_e32 v236, s0, v197
	ds_read2_b32 v[194:195], v194 offset1:1
	ds_read2_b32 v[196:197], v196 offset1:1
	v_mov_b32_e32 v230, 0
	v_and_b32_e32 v232, 0x3030303, v232
	v_and_b32_e32 v233, 0x3030303, v233
	;; [unrolled: 1-line block ×4, first 2 shown]
	v_dot4c_i32_i8 v230, v222, v206
	v_dot4c_i32_i8 v243, v232, v206
	;; [unrolled: 1-line block ×12, first 2 shown]
	v_mov_b32_e32 v1, 0
	s_waitcnt lgkmcnt(1)
	v_ashrrev_i32_e32 v194, s0, v194
	s_waitcnt lgkmcnt(0)
	v_ashrrev_i32_e32 v196, s0, v196
	v_ashrrev_i32_e32 v195, s0, v195
	v_ashrrev_i32_e32 v197, s0, v197
	v_dot4c_i32_i8 v230, v225, v209
	v_and_b32_e32 v237, 0x3030303, v194
	v_and_b32_e32 v239, 0x3030303, v196
	v_and_b32_sdwa v196, v157, v47 dst_sel:DWORD dst_unused:UNUSED_PAD src0_sel:DWORD src1_sel:BYTE_1
	v_and_b32_e32 v238, 0x3030303, v195
	v_and_b32_sdwa v194, v157, v198 dst_sel:DWORD dst_unused:UNUSED_PAD src0_sel:DWORD src1_sel:BYTE_1
	v_and_b32_sdwa v195, v157, v49 dst_sel:DWORD dst_unused:UNUSED_PAD src0_sel:DWORD src1_sel:BYTE_1
	v_and_b32_e32 v240, 0x3030303, v197
	v_lshrrev_b32_e32 v241, 4, v196
	v_and_b32_sdwa v196, v157, v52 dst_sel:DWORD dst_unused:UNUSED_PAD src0_sel:DWORD src1_sel:BYTE_1
	v_lshrrev_b32_e32 v194, 4, v194
	v_lshrrev_b32_e32 v195, 4, v195
	v_dot4c_i32_i8 v245, v237, v206
	v_dot4c_i32_i8 v246, v237, v14
	v_lshrrev_b32_e32 v242, 4, v196
	v_mul_lo_u32 v197, 0x1010101, v194
	v_mul_lo_u32 v196, 0x1010101, v195
	v_mul_lo_u32 v195, 0x1010101, v241
	v_mov_b32_e32 v241, 0
	v_mul_lo_u32 v194, 0x1010101, v242
	v_mov_b32_e32 v242, 0
	v_dot4c_i32_i8 v246, v238, v15
	v_dot4c_i32_i8 v94, v237, v6
	;; [unrolled: 1-line block ×7, first 2 shown]
	v_mov_b32_e32 v206, 0
	v_dot4c_i32_i8 v242, v226, v14
	v_dot4c_i32_i8 v163, v197, v14
	;; [unrolled: 1-line block ×29, first 2 shown]
	v_mov_b32_e32 v14, 0
	v_mov_b32_e32 v15, 0
	;; [unrolled: 1-line block ×4, first 2 shown]
	v_dot4c_i32_i8 v170, v197, v10
	v_dot4c_i32_i8 v14, v222, v10
	;; [unrolled: 1-line block ×16, first 2 shown]
	v_mov_b32_e32 v10, 0
	v_mov_b32_e32 v11, 0
	v_dot4c_i32_i8 v174, v197, v6
	v_dot4c_i32_i8 v175, v196, v6
	v_dot4c_i32_i8 v176, v195, v6
	v_dot4c_i32_i8 v10, v222, v6
	v_dot4c_i32_i8 v11, v232, v6
	v_dot4c_i32_i8 v177, v194, v6
	v_dot4c_i32_i8 v94, v238, v7
	v_dot4c_i32_i8 v174, v197, v7
	v_dot4c_i32_i8 v10, v223, v7
	v_dot4c_i32_i8 v11, v233, v7
	v_dot4c_i32_i8 v175, v196, v7
	v_dot4c_i32_i8 v176, v195, v7
	v_dot4c_i32_i8 v177, v194, v7
	v_dot4c_i32_i8 v10, v224, v8
	v_dot4c_i32_i8 v11, v235, v8
	v_dot4c_i32_i8 v94, v239, v8
	v_dot4c_i32_i8 v174, v197, v8
	v_dot4c_i32_i8 v175, v196, v8
	v_dot4c_i32_i8 v176, v195, v8
	v_dot4c_i32_i8 v177, v194, v8
	v_dot4c_i32_i8 v14, v224, v12
	v_dot4c_i32_i8 v15, v235, v12
	v_dot4c_i32_i8 v16, v228, v12
	v_dot4c_i32_i8 v17, v239, v12
	v_dot4c_i32_i8 v170, v197, v12
	v_dot4c_i32_i8 v171, v196, v12
	v_dot4c_i32_i8 v172, v195, v12
	v_dot4c_i32_i8 v173, v194, v12
	v_dot4c_i32_i8 v10, v225, v9
	v_dot4c_i32_i8 v11, v236, v9
	v_dot4c_i32_i8 v94, v240, v9
	v_dot4c_i32_i8 v174, v197, v9
	v_dot4c_i32_i8 v175, v196, v9
	v_dot4c_i32_i8 v176, v195, v9
	v_dot4c_i32_i8 v177, v194, v9
	v_mov_b32_e32 v9, 0
	v_mov_b32_e32 v12, 0
	v_dot4c_i32_i8 v123, v237, v210
	v_dot4c_i32_i8 v178, v197, v210
	;; [unrolled: 1-line block ×7, first 2 shown]
	v_and_b32_e32 v6, 15, v198
	v_dot4c_i32_i8 v9, v223, v211
	v_dot4c_i32_i8 v12, v233, v211
	;; [unrolled: 1-line block ×7, first 2 shown]
	v_and_b32_sdwa v7, v198, v158 dst_sel:DWORD dst_unused:UNUSED_PAD src0_sel:BYTE_1 src1_sel:DWORD
	v_and_b32_e32 v198, 0xffff, v6
	v_dot4c_i32_i8 v9, v224, v212
	v_dot4c_i32_i8 v12, v235, v212
	;; [unrolled: 1-line block ×7, first 2 shown]
	v_mul_lo_u32 v6, v198, v44
	v_dot4c_i32_i8 v9, v225, v213
	v_dot4c_i32_i8 v12, v236, v213
	;; [unrolled: 1-line block ×7, first 2 shown]
	v_and_b32_e32 v213, 0xffff, v7
	v_dot4c_i32_i8 v14, v225, v13
	v_dot4c_i32_i8 v15, v236, v13
	;; [unrolled: 1-line block ×4, first 2 shown]
	v_mad_u64_u32 v[6:7], null, v213, v230, v[6:7]
	v_mul_lo_u32 v7, v45, v198
	v_dot4c_i32_i8 v170, v197, v13
	v_dot4c_i32_i8 v171, v196, v13
	;; [unrolled: 1-line block ×4, first 2 shown]
	v_mov_b32_e32 v13, 0
	v_dot4c_i32_i8 v245, v238, v207
	v_dot4c_i32_i8 v162, v197, v207
	v_mad_u64_u32 v[7:8], null, v206, v213, v[7:8]
	v_mul_lo_u32 v8, v46, v198
	v_dot4c_i32_i8 v164, v196, v207
	v_dot4c_i32_i8 v166, v195, v207
	;; [unrolled: 1-line block ×4, first 2 shown]
	v_mov_b32_e32 v211, 0
	v_dot4c_i32_i8 v245, v239, v208
	v_dot4c_i32_i8 v162, v197, v208
	v_mad_u64_u32 v[206:207], null, v14, v213, v[8:9]
	v_mul_lo_u32 v8, v48, v198
	v_dot4c_i32_i8 v164, v196, v208
	v_dot4c_i32_i8 v166, v195, v208
	;; [unrolled: 1-line block ×5, first 2 shown]
	v_mov_b32_e32 v212, 0
	v_dot4c_i32_i8 v243, v236, v209
	v_mad_u64_u32 v[207:208], null, v10, v213, v[8:9]
	v_mul_lo_u32 v8, v204, v198
	v_dot4c_i32_i8 v13, v224, v216
	v_dot4c_i32_i8 v245, v240, v209
	;; [unrolled: 1-line block ×7, first 2 shown]
	v_mad_u64_u32 v[208:209], null, v9, v213, v[8:9]
	v_mul_lo_u32 v8, v248, v198
	v_dot4c_i32_i8 v13, v225, v217
	v_dot4c_i32_i8 v212, v222, v2
	;; [unrolled: 1-line block ×3, first 2 shown]
	v_and_b32_sdwa v10, v49, v158 dst_sel:DWORD dst_unused:UNUSED_PAD src0_sel:BYTE_1 src1_sel:DWORD
	v_dot4c_i32_i8 v0, v237, v214
	v_dot4c_i32_i8 v182, v197, v214
	;; [unrolled: 1-line block ×3, first 2 shown]
	v_mad_u64_u32 v[209:210], null, v13, v213, v[8:9]
	v_mul_lo_u32 v8, v251, v198
	v_dot4c_i32_i8 v211, v225, v221
	v_dot4c_i32_i8 v212, v224, v4
	v_and_b32_e32 v10, 0xffff, v10
	v_dot4c_i32_i8 v183, v196, v214
	v_dot4c_i32_i8 v184, v195, v214
	;; [unrolled: 1-line block ×4, first 2 shown]
	v_mad_u64_u32 v[210:211], null, v211, v213, v[8:9]
	v_mul_lo_u32 v8, v255, v198
	v_dot4c_i32_i8 v0, v238, v215
	v_dot4c_i32_i8 v182, v197, v215
	;; [unrolled: 1-line block ×7, first 2 shown]
	v_mad_u64_u32 v[211:212], null, v212, v213, v[8:9]
	v_mov_b32_e32 v9, 0
	v_and_b32_e32 v8, 15, v49
	v_dot4c_i32_i8 v0, v239, v216
	v_dot4c_i32_i8 v182, v197, v216
	;; [unrolled: 1-line block ×4, first 2 shown]
	v_and_b32_e32 v14, 0xffff, v8
	v_dot4c_i32_i8 v184, v195, v216
	v_dot4c_i32_i8 v185, v194, v216
	v_mov_b32_e32 v216, 0
	v_dot4c_i32_i8 v9, v233, v3
	v_mul_lo_u32 v8, v14, v37
	v_dot4c_i32_i8 v124, v236, v217
	v_dot4c_i32_i8 v78, v229, v217
	;; [unrolled: 1-line block ×13, first 2 shown]
	v_mad_u64_u32 v[212:213], null, v10, v243, v[8:9]
	v_mul_lo_u32 v8, v38, v14
	v_dot4c_i32_i8 v1, v227, v219
	v_dot4c_i32_i8 v216, v236, v221
	v_mov_b32_e32 v18, 0
	v_dot4c_i32_i8 v186, v197, v218
	v_dot4c_i32_i8 v187, v196, v218
	v_dot4c_i32_i8 v1, v228, v220
	v_dot4c_i32_i8 v188, v195, v218
	v_mad_u64_u32 v[213:214], null, v241, v10, v[8:9]
	v_mul_lo_u32 v8, v43, v14
	v_dot4c_i32_i8 v1, v229, v221
	v_dot4c_i32_i8 v18, v237, v218
	;; [unrolled: 1-line block ×3, first 2 shown]
	s_lshr_b32 s1, s0, 2
	v_dot4c_i32_i8 v190, v197, v2
	s_and_b32 s1, s1, 0x3ffffffc
	v_dot4c_i32_i8 v18, v238, v219
	v_mad_u64_u32 v[214:215], null, v15, v10, v[8:9]
	v_mul_lo_u32 v8, v201, v14
	s_addk_i32 s1, 0x7280
	v_dot4c_i32_i8 v18, v239, v220
	v_cvt_f32_i32_e32 v204, v213
	v_dot4c_i32_i8 v191, v196, v2
	v_dot4c_i32_i8 v192, v195, v2
	;; [unrolled: 1-line block ×4, first 2 shown]
	v_mad_u64_u32 v[45:46], null, v11, v10, v[8:9]
	v_mul_lo_u32 v8, v247, v14
	v_and_b32_sdwa v11, v47, v158 dst_sel:DWORD dst_unused:UNUSED_PAD src0_sel:BYTE_1 src1_sel:DWORD
	v_dot4c_i32_i8 v186, v197, v219
	v_dot4c_i32_i8 v187, v196, v219
	;; [unrolled: 1-line block ×4, first 2 shown]
	v_and_b32_e32 v11, 0xffff, v11
	v_dot4c_i32_i8 v190, v197, v3
	v_mad_u64_u32 v[43:44], null, v12, v10, v[8:9]
	v_mul_lo_u32 v8, v249, v14
	v_dot4c_i32_i8 v191, v196, v3
	v_dot4c_i32_i8 v192, v195, v3
	;; [unrolled: 1-line block ×7, first 2 shown]
	v_mad_u64_u32 v[37:38], null, v124, v10, v[8:9]
	v_mul_lo_u32 v8, v252, v14
	v_dot4c_i32_i8 v190, v197, v4
	v_dot4c_i32_i8 v191, v196, v4
	;; [unrolled: 1-line block ×7, first 2 shown]
	v_mad_u64_u32 v[12:13], null, v216, v10, v[8:9]
	v_mul_lo_u32 v8, v231, v14
	v_dot4c_i32_i8 v189, v194, v221
	v_dot4c_i32_i8 v190, v197, v5
	;; [unrolled: 1-line block ×5, first 2 shown]
	v_cvt_f32_i32_e32 v124, v175
	v_cvt_f32_i32_e32 v175, v189
	v_mad_u64_u32 v[8:9], null, v9, v10, v[8:9]
	v_mov_b32_e32 v10, 0
	v_and_b32_e32 v9, 15, v47
	v_cvt_f32_i32_e32 v37, v37
	v_cvt_f32_i32_e32 v12, v12
	v_add_nc_u32_e32 v160, 32, v160
	v_dot4c_i32_i8 v10, v226, v2
	v_and_b32_e32 v15, 0xffff, v9
	v_dot4c_i32_i8 v10, v227, v3
	v_mul_lo_u32 v9, v15, v39
	v_dot4c_i32_i8 v10, v228, v4
	v_dot4c_i32_i8 v10, v229, v5
	v_mad_u64_u32 v[215:216], null, v11, v244, v[9:10]
	v_mul_lo_u32 v9, v40, v15
	v_mad_u64_u32 v[216:217], null, v242, v11, v[9:10]
	v_mul_lo_u32 v9, v41, v15
	v_cvt_f32_i32_e32 v201, v216
	v_mad_u64_u32 v[48:49], null, v16, v11, v[9:10]
	v_mul_lo_u32 v9, v199, v15
	v_mad_u64_u32 v[46:47], null, v74, v11, v[9:10]
	v_mul_lo_u32 v9, v203, v15
	v_cvt_f32_i32_e32 v203, v7
	v_cvt_f32_i32_e32 v74, v170
	;; [unrolled: 1-line block ×4, first 2 shown]
	v_mad_u64_u32 v[40:41], null, v99, v11, v[9:10]
	v_mul_lo_u32 v9, v250, v15
	v_cvt_f32_i32_e32 v99, v173
	v_cvt_f32_i32_e32 v173, v187
	v_cvt_f32_i32_e32 v40, v40
	v_mad_u64_u32 v[38:39], null, v78, v11, v[9:10]
	v_mul_lo_u32 v9, v253, v15
	v_cvt_f32_i32_e32 v78, v171
	v_cvt_f32_i32_e32 v171, v185
	;; [unrolled: 1-line block ×3, first 2 shown]
	v_mad_u64_u32 v[13:14], null, v1, v11, v[9:10]
	v_mul_lo_u32 v9, v234, v15
	v_mov_b32_e32 v1, 0
	v_dot4c_i32_i8 v1, v237, v2
	v_cvt_f32_i32_e32 v13, v13
	v_mad_u64_u32 v[9:10], null, v10, v11, v[9:10]
	v_and_b32_e32 v10, 15, v52
	v_and_b32_sdwa v11, v52, v158 dst_sel:DWORD dst_unused:UNUSED_PAD src0_sel:BYTE_1 src1_sel:DWORD
	v_dot4c_i32_i8 v1, v238, v3
	v_cvt_f32_i32_e32 v3, v162
	v_cvt_f32_i32_e32 v162, v176
	v_and_b32_e32 v39, 0xffff, v10
	v_and_b32_e32 v11, 0xffff, v11
	v_dot4c_i32_i8 v1, v239, v4
	v_cvt_f32_i32_e32 v4, v163
	v_cvt_f32_i32_e32 v163, v177
	v_mul_lo_u32 v10, v39, v42
	v_cvt_f32_i32_e32 v176, v190
	v_dot4c_i32_i8 v1, v240, v5
	v_cvt_f32_i32_e32 v5, v164
	v_cvt_f32_i32_e32 v164, v178
	;; [unrolled: 1-line block ×4, first 2 shown]
	v_mad_u64_u32 v[198:199], null, v11, v245, v[10:11]
	v_mul_lo_u32 v10, v50, v39
	v_mad_u64_u32 v[217:218], null, v246, v11, v[10:11]
	v_mul_lo_u32 v10, v51, v39
	v_cvt_f32_i32_e32 v199, v217
	v_mad_u64_u32 v[51:52], null, v17, v11, v[10:11]
	v_mul_lo_u32 v10, v200, v39
	v_cvt_f32_i32_e32 v52, v206
	v_cvt_f32_i32_e32 v206, v212
	;; [unrolled: 1-line block ×5, first 2 shown]
	v_mad_u64_u32 v[49:50], null, v94, v11, v[10:11]
	v_mul_lo_u32 v10, v202, v39
	v_cvt_f32_i32_e32 v50, v207
	v_cvt_f32_i32_e32 v207, v48
	ds_read2_b32 v[47:48], v161 offset0:64 offset1:96
	v_cvt_f32_i32_e32 v202, v215
	v_cvt_f32_i32_e32 v94, v172
	;; [unrolled: 1-line block ×3, first 2 shown]
	v_mad_u64_u32 v[41:42], null, v123, v11, v[10:11]
	v_mul_lo_u32 v10, v205, v39
	v_cvt_f32_i32_e32 v205, v6
	ds_read2_b32 v[6:7], v161 offset1:32
	v_cvt_f32_i32_e32 v123, v174
	v_cvt_f32_i32_e32 v174, v188
	;; [unrolled: 1-line block ×3, first 2 shown]
	v_mad_u64_u32 v[16:17], null, v0, v11, v[10:11]
	v_mul_lo_u32 v10, v254, v39
	v_add3_u32 v0, s1, v149, v150
	v_cvt_f32_i32_e32 v17, v209
	v_cvt_f32_i32_e32 v209, v49
	;; [unrolled: 1-line block ×3, first 2 shown]
	ds_read2_b32 v[42:43], v161 offset0:192 offset1:224
	v_cvt_f32_i32_e32 v16, v16
	v_mad_u64_u32 v[14:15], null, v18, v11, v[10:11]
	v_mul_lo_u32 v10, v69, v39
	v_add3_u32 v18, s1, v153, v154
	v_add3_u32 v69, s1, v155, v156
	v_cvt_f32_i32_e32 v39, v208
	v_cvt_f32_i32_e32 v15, v210
	;; [unrolled: 1-line block ×3, first 2 shown]
	ds_read2_b32 v[44:45], v161 offset0:128 offset1:160
	v_cvt_f32_i32_e32 v14, v14
	v_mad_u64_u32 v[10:11], null, v1, v11, v[10:11]
	v_add3_u32 v1, s1, v151, v152
	v_cvt_f32_i32_e32 v11, v211
	ds_read_b32 v210, v0
	ds_read_b32 v211, v1
	;; [unrolled: 1-line block ×4, first 2 shown]
	v_cvt_f32_i32_e32 v0, v8
	v_cvt_f32_i32_e32 v1, v9
	;; [unrolled: 1-line block ×14, first 2 shown]
	v_add_nc_u32_e32 v161, 4, v161
	s_add_i32 s1, s0, 2
	s_waitcnt lgkmcnt(3)
	v_cvt_f32_f16_sdwa v214, v210 dst_sel:DWORD dst_unused:UNUSED_PAD src0_sel:WORD_1
	s_waitcnt lgkmcnt(2)
	v_cvt_f32_f16_sdwa v215, v211 dst_sel:DWORD dst_unused:UNUSED_PAD src0_sel:WORD_1
	;; [unrolled: 2-line block ×4, first 2 shown]
	s_cmp_lt_u32 s0, 6
	v_mul_f32_e32 v3, v214, v3
	v_mul_f32_e32 v4, v214, v4
	;; [unrolled: 1-line block ×32, first 2 shown]
	v_fma_mix_f32 v3, v210, v205, -v3 op_sel_hi:[1,0,0]
	v_fma_mix_f32 v4, v210, v203, -v4 op_sel_hi:[1,0,0]
	;; [unrolled: 1-line block ×32, first 2 shown]
	v_fmac_f32_e32 v112, v6, v3
	v_fmac_f32_e32 v105, v7, v4
	;; [unrolled: 1-line block ×32, first 2 shown]
	s_mov_b32 s0, s1
	s_cbranch_scc1 .LBB168_7
; %bb.8:                                ;   in Loop: Header=BB168_6 Depth=1
	v_add_nc_u32_e32 v0, s11, v122
	s_barrier
	buffer_gl0_inv
	s_mov_b32 s0, 8
	v_add_nc_u32_e32 v1, v0, v114
	v_add_nc_u32_e32 v4, v0, v115
	;; [unrolled: 1-line block ×5, first 2 shown]
	v_mad_i64_i32 v[2:3], null, v1, 36, v[35:36]
	v_add_nc_u32_e32 v1, v0, v117
	v_mad_i64_i32 v[4:5], null, v4, 36, v[35:36]
	v_add_nc_u32_e32 v16, v0, v120
	v_mad_i64_i32 v[6:7], null, v6, 36, v[35:36]
	v_mad_i64_i32 v[8:9], null, v1, 36, v[35:36]
	v_add_nc_u32_e32 v1, 4, v159
	v_add_nc_u32_e32 v0, v0, v121
	v_mad_i64_i32 v[10:11], null, v10, 36, v[35:36]
	v_mad_i64_i32 v[14:15], null, v14, 36, v[35:36]
	v_mad_u64_u32 v[12:13], null, v1, 36, s[2:3]
	v_mad_i64_i32 v[16:17], null, v16, 36, v[35:36]
	v_mad_i64_i32 v[37:38], null, v0, 36, v[35:36]
	s_clause 0x8
	global_load_dword v0, v[12:13], off
	global_load_dword v1, v[2:3], off offset:4
	global_load_dword v4, v[4:5], off offset:4
	;; [unrolled: 1-line block ×8, first 2 shown]
	v_mov_b32_e32 v2, v131
	v_mov_b32_e32 v3, v126
	s_waitcnt vmcnt(8)
	v_cvt_f32_f16_e32 v0, v0
	s_waitcnt vmcnt(7)
	ds_write_b32 v141, v1
	s_waitcnt vmcnt(6)
	ds_write_b32 v142, v4
	;; [unrolled: 2-line block ×8, first 2 shown]
	ds_write_b32 v113, v0
	s_waitcnt lgkmcnt(0)
	s_barrier
	buffer_gl0_inv
.LBB168_9:                              ;   Parent Loop BB168_6 Depth=1
                                        ; =>  This Inner Loop Header: Depth=2
	s_and_b32 s15, s0, 0x3ffffff8
	s_add_i32 s1, s0, -8
	v_lshl_add_u32 v0, s15, 2, v125
	s_and_b32 s15, s0, -16
	v_mov_b32_e32 v208, 0
	s_add_i32 s15, s0, s15
	v_mov_b32_e32 v210, 0
	ds_read2_b32 v[4:5], v0 offset1:1
	v_add_nc_u32_e32 v9, s15, v127
	v_mov_b32_e32 v211, 0
	v_mov_b32_e32 v212, 0
	;; [unrolled: 1-line block ×18, first 2 shown]
	s_waitcnt lgkmcnt(0)
	v_ashrrev_i32_e32 v1, s1, v4
	v_ashrrev_i32_e32 v6, s1, v5
	ds_read2_b32 v[4:5], v0 offset0:2 offset1:3
	v_mov_b32_e32 v50, 0
	v_mov_b32_e32 v174, 0
	v_and_b32_e32 v1, 0x3030303, v1
	v_and_b32_e32 v44, 0x3030303, v6
	v_mov_b32_e32 v51, 0
	v_mov_b32_e32 v175, 0
	;; [unrolled: 1-line block ×3, first 2 shown]
	ds_read_b128 v[166:169], v2 offset:4096
	ds_read_b128 v[180:183], v2 offset:5120
	v_mov_b32_e32 v43, 0
	v_mov_b32_e32 v164, 0
	;; [unrolled: 1-line block ×10, first 2 shown]
	s_waitcnt lgkmcnt(2)
	v_ashrrev_i32_e32 v7, s1, v4
	v_add_nc_u32_e32 v4, 0x1080, v0
	v_ashrrev_i32_e32 v8, s1, v5
	ds_read_u16 v205, v9 offset:25088
	v_add_nc_u32_e32 v9, s15, v128
	v_and_b32_e32 v69, 0x3030303, v7
	ds_read2_b32 v[4:5], v4 offset1:1
	v_and_b32_e32 v74, 0x3030303, v8
	v_mov_b32_e32 v7, 0
	s_waitcnt lgkmcnt(2)
	v_dot4c_i32_i8 v177, v1, v180
	v_mov_b32_e32 v237, 0
	v_mov_b32_e32 v238, 0
	;; [unrolled: 1-line block ×4, first 2 shown]
	v_dot4c_i32_i8 v177, v44, v181
	v_mov_b32_e32 v241, 0
	v_mov_b32_e32 v242, 0
	;; [unrolled: 1-line block ×4, first 2 shown]
	v_dot4c_i32_i8 v177, v69, v182
	v_mov_b32_e32 v196, 0
	v_mov_b32_e32 v197, 0
	;; [unrolled: 1-line block ×3, first 2 shown]
	s_waitcnt lgkmcnt(1)
	v_bfe_u32 v6, v205, 4, 4
	v_dot4c_i32_i8 v177, v74, v183
	v_mov_b32_e32 v195, 0
	s_waitcnt lgkmcnt(0)
	v_ashrrev_i32_e32 v12, s1, v4
	v_add_nc_u32_e32 v4, 0x1088, v0
	v_ashrrev_i32_e32 v13, s1, v5
	ds_read_u16 v207, v9 offset:26112
	v_add_nc_u32_e32 v9, s15, v129
	v_mul_lo_u32 v78, 0x1010101, v6
	ds_read2_b32 v[4:5], v4 offset1:1
	v_and_b32_e32 v124, 0x3030303, v12
	v_and_b32_e32 v184, 0x3030303, v13
	v_mov_b32_e32 v12, 0
	v_mov_b32_e32 v13, 0
	;; [unrolled: 1-line block ×3, first 2 shown]
	v_dot4c_i32_i8 v176, v124, v180
	v_dot4c_i32_i8 v43, v78, v166
	v_mov_b32_e32 v201, 0
	v_mov_b32_e32 v202, 0
	;; [unrolled: 1-line block ×3, first 2 shown]
	v_dot4c_i32_i8 v176, v184, v181
	v_dot4c_i32_i8 v43, v78, v167
	v_mov_b32_e32 v194, 0
	ds_read_u16 v209, v9 offset:27136
	v_add_nc_u32_e32 v9, s15, v130
	ds_read_b128 v[46:49], v2 offset:2048
	s_waitcnt lgkmcnt(3)
	v_bfe_u32 v6, v207, 4, 4
	v_dot4c_i32_i8 v43, v78, v168
	ds_read_b128 v[160:163], v2 offset:3072
	s_waitcnt lgkmcnt(3)
	v_ashrrev_i32_e32 v14, s1, v4
	v_add_nc_u32_e32 v4, 0x2100, v0
	v_ashrrev_i32_e32 v15, s1, v5
	ds_read_u16 v200, v9 offset:28160
	ds_read_b128 v[8:11], v2
	v_mul_lo_u32 v94, 0x1010101, v6
	ds_read2_b32 v[4:5], v4 offset1:1
	v_and_b32_e32 v14, 0x3030303, v14
	v_and_b32_e32 v185, 0x3030303, v15
	v_mov_b32_e32 v15, 0
	v_dot4c_i32_i8 v43, v78, v169
	ds_read_b128 v[223:226], v2 offset:6160
	v_dot4c_i32_i8 v176, v14, v182
	s_waitcnt lgkmcnt(6)
	v_bfe_u32 v6, v209, 4, 4
	s_waitcnt lgkmcnt(5)
	v_dot4c_i32_i8 v40, v1, v46
	v_dot4c_i32_i8 v41, v124, v46
	;; [unrolled: 1-line block ×3, first 2 shown]
	v_mul_lo_u32 v99, 0x1010101, v6
	s_waitcnt lgkmcnt(4)
	v_dot4c_i32_i8 v173, v1, v160
	v_dot4c_i32_i8 v40, v44, v47
	;; [unrolled: 1-line block ×3, first 2 shown]
	s_waitcnt lgkmcnt(3)
	v_bfe_u32 v6, v200, 4, 4
	s_waitcnt lgkmcnt(2)
	v_dot4c_i32_i8 v208, v1, v8
	v_dot4c_i32_i8 v210, v124, v8
	s_waitcnt lgkmcnt(1)
	v_ashrrev_i32_e32 v16, s1, v4
	v_add_nc_u32_e32 v4, 0x2108, v0
	v_ashrrev_i32_e32 v17, s1, v5
	v_mul_lo_u32 v123, 0x1010101, v6
	v_dot4c_i32_i8 v217, v78, v8
	v_and_b32_e32 v186, 0x3030303, v16
	ds_read2_b32 v[4:5], v4 offset1:1
	v_and_b32_e32 v187, 0x3030303, v17
	v_dot4c_i32_i8 v216, v94, v8
	v_dot4c_i32_i8 v214, v99, v8
	;; [unrolled: 1-line block ×18, first 2 shown]
	s_waitcnt lgkmcnt(0)
	v_ashrrev_i32_e32 v18, s1, v4
	v_add_nc_u32_e32 v4, 0x3180, v0
	v_ashrrev_i32_e32 v37, s1, v5
	v_dot4c_i32_i8 v210, v185, v11
	v_dot4c_i32_i8 v217, v78, v11
	v_and_b32_e32 v18, 0x3030303, v18
	ds_read2_b32 v[4:5], v4 offset1:1
	v_and_b32_e32 v188, 0x3030303, v37
	v_dot4c_i32_i8 v216, v94, v11
	v_dot4c_i32_i8 v214, v99, v11
	;; [unrolled: 1-line block ×18, first 2 shown]
	s_waitcnt lgkmcnt(0)
	v_ashrrev_i32_e32 v38, s1, v4
	v_add_nc_u32_e32 v4, 0x3188, v0
	v_ashrrev_i32_e32 v39, s1, v5
	v_dot4c_i32_i8 v174, v186, v160
	v_dot4c_i32_i8 v51, v99, v160
	v_and_b32_e32 v38, 0x3030303, v38
	ds_read2_b32 v[4:5], v4 offset1:1
	v_and_b32_e32 v189, 0x3030303, v39
	v_dot4c_i32_i8 v52, v123, v160
	v_dot4c_i32_i8 v173, v44, v161
	;; [unrolled: 1-line block ×18, first 2 shown]
	s_waitcnt lgkmcnt(0)
	v_ashrrev_i32_e32 v4, s1, v4
	v_ashrrev_i32_e32 v5, s1, v5
	v_dot4c_i32_i8 v52, v123, v162
	v_dot4c_i32_i8 v40, v74, v49
	;; [unrolled: 1-line block ×3, first 2 shown]
	v_and_b32_e32 v190, 0x3030303, v4
	v_and_b32_e32 v191, 0x3030303, v5
	v_dot4c_i32_i8 v42, v188, v49
	v_dot4c_i32_i8 v12, v99, v49
	;; [unrolled: 1-line block ×9, first 2 shown]
	ds_read_b128 v[8:11], v2 offset:1024
	v_dot4c_i32_i8 v45, v191, v49
	v_dot4c_i32_i8 v50, v94, v163
	;; [unrolled: 1-line block ×19, first 2 shown]
	s_waitcnt lgkmcnt(0)
	v_dot4c_i32_i8 v222, v1, v8
	v_dot4c_i32_i8 v219, v78, v8
	;; [unrolled: 1-line block ×32, first 2 shown]
	v_mov_b32_e32 v10, 0
	v_mov_b32_e32 v11, 0
	v_dot4c_i32_i8 v164, v188, v169
	v_dot4c_i32_i8 v165, v191, v169
	;; [unrolled: 1-line block ×5, first 2 shown]
	v_mov_b32_e32 v46, 0
	v_dot4c_i32_i8 v172, v123, v182
	v_dot4c_i32_i8 v178, v188, v183
	v_dot4c_i32_i8 v10, v78, v47
	v_dot4c_i32_i8 v11, v94, v47
	v_mov_b32_e32 v47, 0
	v_dot4c_i32_i8 v46, v94, v166
	v_dot4c_i32_i8 v179, v191, v183
	v_dot4c_i32_i8 v10, v78, v48
	v_dot4c_i32_i8 v11, v94, v48
	;; [unrolled: 5-line block ×3, first 2 shown]
	v_dot4c_i32_i8 v48, v78, v160
	v_mov_b32_e32 v49, 0
	v_dot4c_i32_i8 v47, v99, v167
	v_dot4c_i32_i8 v46, v94, v168
	;; [unrolled: 1-line block ×4, first 2 shown]
	v_mov_b32_e32 v161, 0
	v_dot4c_i32_i8 v49, v123, v166
	v_dot4c_i32_i8 v47, v99, v168
	;; [unrolled: 1-line block ×7, first 2 shown]
	v_mov_b32_e32 v39, 0
	v_dot4c_i32_i8 v48, v78, v163
	v_mov_b32_e32 v163, 0
	v_dot4c_i32_i8 v161, v44, v167
	v_dot4c_i32_i8 v49, v123, v168
	v_mov_b32_e32 v8, 0
	v_mov_b32_e32 v37, 0
	v_dot4c_i32_i8 v163, v124, v166
	v_dot4c_i32_i8 v161, v69, v168
	;; [unrolled: 1-line block ×3, first 2 shown]
	v_mov_b32_e32 v6, 0
	v_mov_b32_e32 v17, 0
	v_dot4c_i32_i8 v163, v184, v167
	v_dot4c_i32_i8 v161, v74, v169
	v_mov_b32_e32 v167, 0
	v_mov_b32_e32 v5, 0
	;; [unrolled: 1-line block ×3, first 2 shown]
	v_dot4c_i32_i8 v163, v14, v168
	v_mov_b32_e32 v168, 0
	v_dot4c_i32_i8 v167, v78, v180
	v_mov_b32_e32 v4, 0
	v_mov_b32_e32 v166, 0
	v_dot4c_i32_i8 v163, v185, v169
	v_mov_b32_e32 v169, 0
	v_dot4c_i32_i8 v168, v94, v180
	v_dot4c_i32_i8 v167, v78, v181
	v_mov_b32_e32 v160, 0
	v_mov_b32_e32 v162, 0
	v_dot4c_i32_i8 v169, v99, v180
	v_dot4c_i32_i8 v168, v94, v181
	v_dot4c_i32_i8 v167, v78, v182
	v_mov_b32_e32 v9, 0
	v_dot4c_i32_i8 v169, v99, v181
	v_dot4c_i32_i8 v168, v94, v182
	;; [unrolled: 1-line block ×6, first 2 shown]
	ds_read_b128 v[180:183], v2 offset:6144
	s_waitcnt lgkmcnt(0)
	v_dot4c_i32_i8 v39, v1, v180
	v_dot4c_i32_i8 v8, v78, v180
	;; [unrolled: 1-line block ×32, first 2 shown]
	ds_read_b128 v[180:183], v2 offset:7168
	s_waitcnt lgkmcnt(0)
	v_dot4c_i32_i8 v166, v124, v180
	v_dot4c_i32_i8 v170, v1, v180
	v_dot4c_i32_i8 v160, v38, v180
	v_mov_b32_e32 v38, 0
	v_dot4c_i32_i8 v162, v186, v180
	v_dot4c_i32_i8 v166, v184, v181
	v_dot4c_i32_i8 v170, v44, v181
	v_mov_b32_e32 v44, 0
	;; [unrolled: 4-line block ×3, first 2 shown]
	v_dot4c_i32_i8 v44, v78, v180
	v_dot4c_i32_i8 v162, v187, v181
	v_dot4c_i32_i8 v160, v189, v181
	v_dot4c_i32_i8 v38, v94, v181
	v_dot4c_i32_i8 v14, v99, v180
	v_dot4c_i32_i8 v44, v78, v181
	v_dot4c_i32_i8 v9, v123, v181
	v_dot4c_i32_i8 v162, v18, v182
	v_dot4c_i32_i8 v170, v69, v182
	v_dot4c_i32_i8 v14, v99, v181
	ds_read2_b32 v[180:181], v0 offset0:4 offset1:5
	v_dot4c_i32_i8 v44, v78, v182
	v_dot4c_i32_i8 v38, v94, v182
	;; [unrolled: 1-line block ×6, first 2 shown]
	v_add_nc_u32_e32 v78, 0x1090, v0
	v_dot4c_i32_i8 v38, v94, v183
	v_dot4c_i32_i8 v14, v99, v183
	v_add_nc_u32_e32 v99, 0x1098, v0
	v_add_nc_u32_e32 v124, 0x2110, v0
	v_dot4c_i32_i8 v9, v123, v183
	v_dot4c_i32_i8 v166, v185, v183
	;; [unrolled: 1-line block ×4, first 2 shown]
	s_waitcnt lgkmcnt(0)
	v_ashrrev_i32_e32 v1, s1, v180
	v_ashrrev_i32_e32 v18, s1, v181
	ds_read2_b32 v[180:181], v0 offset0:6 offset1:7
	v_dot4c_i32_i8 v160, v191, v183
	v_and_b32_e32 v1, 0x3030303, v1
	v_and_b32_e32 v18, 0x3030303, v18
	s_waitcnt lgkmcnt(0)
	v_ashrrev_i32_e32 v69, s1, v180
	v_ashrrev_i32_e32 v74, s1, v181
	ds_read2_b32 v[180:181], v78 offset1:1
	v_and_b32_e32 v69, 0x3030303, v69
	v_and_b32_e32 v74, 0x3030303, v74
	s_waitcnt lgkmcnt(0)
	v_ashrrev_i32_e32 v78, s1, v180
	v_ashrrev_i32_e32 v94, s1, v181
	ds_read2_b32 v[180:181], v99 offset1:1
	;; [unrolled: 6-line block ×3, first 2 shown]
	v_and_b32_e32 v99, 0x3030303, v99
	v_and_b32_e32 v123, 0x3030303, v123
	s_waitcnt lgkmcnt(0)
	v_ashrrev_i32_e32 v124, s1, v180
	v_add_nc_u32_e32 v180, 0x2118, v0
	v_ashrrev_i32_e32 v184, s1, v181
	v_and_b32_e32 v124, 0x3030303, v124
	ds_read2_b32 v[180:181], v180 offset1:1
	v_and_b32_e32 v206, 0x3030303, v184
	v_mov_b32_e32 v184, 0
	s_waitcnt lgkmcnt(0)
	v_ashrrev_i32_e32 v185, s1, v180
	v_add_nc_u32_e32 v180, 0x3190, v0
	v_ashrrev_i32_e32 v186, s1, v181
	v_add_nc_u32_e32 v0, 0x3198, v0
	v_and_b32_e32 v228, 0x3030303, v185
	ds_read2_b32 v[180:181], v180 offset1:1
	v_and_b32_e32 v229, 0x3030303, v186
	v_mov_b32_e32 v185, 0
	v_mov_b32_e32 v186, 0
	s_waitcnt lgkmcnt(0)
	v_ashrrev_i32_e32 v187, s1, v180
	v_ashrrev_i32_e32 v188, s1, v181
	ds_read2_b32 v[180:181], v0 offset1:1
	v_and_b32_e32 v230, 0x3030303, v187
	v_and_b32_e32 v231, 0x3030303, v188
	v_mov_b32_e32 v188, 0
	v_mov_b32_e32 v187, 0
	s_waitcnt lgkmcnt(0)
	v_ashrrev_i32_e32 v0, s1, v180
	v_and_b32_sdwa v180, v157, v205 dst_sel:DWORD dst_unused:UNUSED_PAD src0_sel:DWORD src1_sel:BYTE_1
	v_ashrrev_i32_e32 v189, s1, v181
	s_lshr_b32 s1, s0, 2
	v_and_b32_e32 v0, 0x3030303, v0
	v_lshrrev_b32_e32 v190, 4, v180
	v_and_b32_sdwa v180, v157, v207 dst_sel:DWORD dst_unused:UNUSED_PAD src0_sel:DWORD src1_sel:BYTE_1
	v_and_b32_e32 v232, 0x3030303, v189
	v_mov_b32_e32 v189, 0
	s_and_b32 s1, s1, 0x3ffffffc
	v_mul_lo_u32 v233, 0x1010101, v190
	v_lshrrev_b32_e32 v191, 4, v180
	v_and_b32_sdwa v180, v157, v209 dst_sel:DWORD dst_unused:UNUSED_PAD src0_sel:DWORD src1_sel:BYTE_1
	v_mov_b32_e32 v190, 0
	s_addk_i32 s1, 0x7280
	v_mul_lo_u32 v234, 0x1010101, v191
	v_lshrrev_b32_e32 v192, 4, v180
	v_and_b32_sdwa v180, v157, v200 dst_sel:DWORD dst_unused:UNUSED_PAD src0_sel:DWORD src1_sel:BYTE_1
	v_mov_b32_e32 v191, 0
	v_dot4c_i32_i8 v8, v233, v223
	v_mul_lo_u32 v235, 0x1010101, v192
	v_lshrrev_b32_e32 v193, 4, v180
	ds_read_b128 v[180:183], v2 offset:16
	v_mov_b32_e32 v192, 0
	v_dot4c_i32_i8 v6, v234, v223
	v_dot4c_i32_i8 v8, v233, v224
	v_mul_lo_u32 v236, 0x1010101, v193
	v_mov_b32_e32 v193, 0
	v_dot4c_i32_i8 v5, v235, v223
	v_dot4c_i32_i8 v6, v234, v224
	;; [unrolled: 1-line block ×10, first 2 shown]
	s_waitcnt lgkmcnt(0)
	v_dot4c_i32_i8 v227, v1, v180
	v_dot4c_i32_i8 v237, v78, v180
	;; [unrolled: 1-line block ×32, first 2 shown]
	ds_read_b128 v[180:183], v2 offset:1040
	v_dot4c_i32_i8 v4, v236, v225
	v_dot4c_i32_i8 v5, v235, v226
	v_cvt_f32_i32_e32 v6, v6
	v_dot4c_i32_i8 v4, v236, v226
	v_cvt_f32_i32_e32 v5, v5
	v_cvt_f32_i32_e32 v4, v4
	s_waitcnt lgkmcnt(0)
	v_dot4c_i32_i8 v240, v1, v180
	v_dot4c_i32_i8 v241, v78, v180
	;; [unrolled: 1-line block ×32, first 2 shown]
	ds_read_b128 v[180:183], v2 offset:2064
	s_waitcnt lgkmcnt(0)
	v_dot4c_i32_i8 v188, v1, v180
	v_dot4c_i32_i8 v185, v78, v180
	;; [unrolled: 1-line block ×32, first 2 shown]
	ds_read_b128 v[180:183], v2 offset:3088
	v_cvt_f32_i32_e32 v10, v10
	s_waitcnt lgkmcnt(0)
	v_dot4c_i32_i8 v199, v1, v180
	v_dot4c_i32_i8 v196, v78, v180
	;; [unrolled: 1-line block ×32, first 2 shown]
	ds_read_b128 v[180:183], v2 offset:4112
	s_waitcnt lgkmcnt(0)
	v_dot4c_i32_i8 v195, v1, v180
	v_dot4c_i32_i8 v191, v78, v180
	;; [unrolled: 1-line block ×32, first 2 shown]
	ds_read_b128 v[180:183], v2 offset:5136
	s_waitcnt lgkmcnt(0)
	v_dot4c_i32_i8 v204, v1, v180
	v_dot4c_i32_i8 v201, v78, v180
	;; [unrolled: 1-line block ×32, first 2 shown]
	v_mov_b32_e32 v183, 0
	v_mov_b32_e32 v182, 0
	;; [unrolled: 1-line block ×4, first 2 shown]
	v_dot4c_i32_i8 v183, v1, v223
	v_dot4c_i32_i8 v182, v78, v223
	;; [unrolled: 1-line block ×16, first 2 shown]
	ds_read_b128 v[223:226], v2 offset:7184
	v_add_nc_u32_e32 v2, 32, v2
	s_waitcnt lgkmcnt(0)
	v_dot4c_i32_i8 v184, v230, v223
	v_dot4c_i32_i8 v189, v124, v223
	;; [unrolled: 1-line block ×3, first 2 shown]
	v_and_b32_sdwa v1, v205, v158 dst_sel:DWORD dst_unused:UNUSED_PAD src0_sel:BYTE_1 src1_sel:DWORD
	v_dot4c_i32_i8 v190, v78, v223
	v_dot4c_i32_i8 v184, v231, v224
	;; [unrolled: 1-line block ×7, first 2 shown]
	v_and_b32_e32 v0, 15, v205
	v_dot4c_i32_i8 v9, v236, v223
	v_and_b32_e32 v205, 0xffff, v1
	v_dot4c_i32_i8 v194, v18, v224
	v_dot4c_i32_i8 v190, v94, v224
	v_and_b32_e32 v206, 0xffff, v0
	v_dot4c_i32_i8 v44, v233, v224
	v_dot4c_i32_i8 v38, v234, v224
	;; [unrolled: 1-line block ×4, first 2 shown]
	v_mul_lo_u32 v208, v206, v208
	v_and_b32_e32 v0, 15, v207
	v_dot4c_i32_i8 v194, v69, v225
	v_dot4c_i32_i8 v190, v99, v225
	;; [unrolled: 1-line block ×6, first 2 shown]
	v_mad_u64_u32 v[223:224], null, v205, v227, v[208:209]
	v_mul_lo_u32 v208, v222, v206
	v_dot4c_i32_i8 v9, v236, v225
	v_and_b32_sdwa v1, v207, v158 dst_sel:DWORD dst_unused:UNUSED_PAD src0_sel:BYTE_1 src1_sel:DWORD
	v_dot4c_i32_i8 v194, v74, v226
	v_dot4c_i32_i8 v190, v123, v226
	;; [unrolled: 1-line block ×4, first 2 shown]
	v_and_b32_e32 v207, 0xffff, v1
	v_mad_u64_u32 v[224:225], null, v240, v205, v[208:209]
	v_and_b32_e32 v208, 0xffff, v0
	v_dot4c_i32_i8 v44, v233, v226
	v_dot4c_i32_i8 v38, v234, v226
	;; [unrolled: 1-line block ×4, first 2 shown]
	v_mul_lo_u32 v210, v208, v210
	v_and_b32_e32 v0, 15, v209
	v_and_b32_sdwa v1, v209, v158 dst_sel:DWORD dst_unused:UNUSED_PAD src0_sel:BYTE_1 src1_sel:DWORD
	v_cvt_f32_i32_e32 v225, v223
	v_cvt_f32_i32_e32 v224, v224
	;; [unrolled: 1-line block ×3, first 2 shown]
	v_and_b32_e32 v209, 0xffff, v1
	v_mad_u64_u32 v[226:227], null, v207, v237, v[210:211]
	v_mul_lo_u32 v210, v221, v208
	v_and_b32_sdwa v1, v200, v158 dst_sel:DWORD dst_unused:UNUSED_PAD src0_sel:BYTE_1 src1_sel:DWORD
	v_cvt_f32_i32_e32 v223, v226
	v_mad_u64_u32 v[221:222], null, v241, v207, v[210:211]
	v_and_b32_e32 v210, 0xffff, v0
	v_and_b32_e32 v0, 15, v200
	;; [unrolled: 1-line block ×3, first 2 shown]
	v_mul_lo_u32 v211, v210, v211
	v_cvt_f32_i32_e32 v222, v221
	v_mad_u64_u32 v[227:228], null, v209, v238, v[211:212]
	v_mul_lo_u32 v211, v220, v210
	v_cvt_f32_i32_e32 v221, v227
	v_mad_u64_u32 v[228:229], null, v242, v209, v[211:212]
	v_and_b32_e32 v211, 0xffff, v0
	v_add3_u32 v0, s1, v149, v150
	v_mul_lo_u32 v212, v211, v212
	ds_read_b32 v226, v0
	v_cvt_f32_i32_e32 v0, v217
	v_cvt_f32_i32_e32 v220, v228
	v_mad_u64_u32 v[229:230], null, v200, v239, v[212:213]
	v_mul_lo_u32 v212, v213, v211
	v_mad_u64_u32 v[212:213], null, v243, v200, v[212:213]
	v_cvt_f32_i32_e32 v213, v229
	s_waitcnt lgkmcnt(0)
	v_cvt_f32_f16_sdwa v227, v226 dst_sel:DWORD dst_unused:UNUSED_PAD src0_sel:WORD_1
	v_mul_f32_e32 v0, v227, v0
	v_cvt_f32_i32_e32 v212, v212
	v_mul_f32_e32 v10, v227, v10
	v_fma_mix_f32 v225, v226, v225, -v0 op_sel_hi:[1,0,0]
	v_cvt_f32_i32_e32 v0, v219
	v_mul_f32_e32 v0, v227, v0
	v_fma_mix_f32 v219, v226, v224, -v0 op_sel_hi:[1,0,0]
	v_add3_u32 v0, s1, v151, v152
	ds_read_b32 v217, v0
	v_cvt_f32_i32_e32 v0, v216
	s_waitcnt lgkmcnt(0)
	v_cvt_f32_f16_sdwa v216, v217 dst_sel:DWORD dst_unused:UNUSED_PAD src0_sel:WORD_1
	v_mul_f32_e32 v0, v216, v0
	v_mul_f32_e32 v6, v216, v6
	v_fma_mix_f32 v223, v217, v223, -v0 op_sel_hi:[1,0,0]
	v_cvt_f32_i32_e32 v0, v218
	v_mul_f32_e32 v0, v216, v0
	v_fma_mix_f32 v222, v217, v222, -v0 op_sel_hi:[1,0,0]
	v_add3_u32 v0, s1, v153, v154
	ds_read_b32 v218, v0
	v_cvt_f32_i32_e32 v0, v214
	s_waitcnt lgkmcnt(0)
	v_cvt_f32_f16_sdwa v214, v218 dst_sel:DWORD dst_unused:UNUSED_PAD src0_sel:WORD_1
	v_mul_f32_e32 v0, v214, v0
	v_mul_f32_e32 v5, v214, v5
	v_fma_mix_f32 v221, v218, v221, -v0 op_sel_hi:[1,0,0]
	v_cvt_f32_i32_e32 v0, v215
	v_mul_f32_e32 v0, v214, v0
	v_fma_mix_f32 v220, v218, v220, -v0 op_sel_hi:[1,0,0]
	v_add3_u32 v0, s1, v155, v156
	s_add_i32 s1, s0, 2
	s_cmp_lt_u32 s0, 14
	s_mov_b32 s0, s1
	ds_read_b32 v215, v0
	v_cvt_f32_i32_e32 v0, v7
	v_cvt_f32_i32_e32 v7, v15
	s_waitcnt lgkmcnt(0)
	v_cvt_f32_f16_sdwa v1, v215 dst_sel:DWORD dst_unused:UNUSED_PAD src0_sel:WORD_1
	v_mul_f32_e32 v0, v1, v0
	v_mul_f32_e32 v7, v1, v7
	;; [unrolled: 1-line block ×3, first 2 shown]
	v_fma_mix_f32 v0, v215, v213, -v0 op_sel_hi:[1,0,0]
	v_fma_mix_f32 v7, v215, v212, -v7 op_sel_hi:[1,0,0]
	ds_read2_b32 v[212:213], v3 offset1:32
	s_waitcnt lgkmcnt(0)
	v_fmac_f32_e32 v90, v213, v7
	v_mul_lo_u32 v7, v40, v206
	v_fmac_f32_e32 v112, v212, v225
	v_fmac_f32_e32 v105, v213, v219
	;; [unrolled: 1-line block ×7, first 2 shown]
	v_mad_u64_u32 v[212:213], null, v188, v205, v[7:8]
	v_mul_lo_u32 v7, v173, v206
	v_cvt_f32_i32_e32 v0, v212
	v_mad_u64_u32 v[219:220], null, v199, v205, v[7:8]
	v_mul_lo_u32 v7, v41, v208
	v_fma_mix_f32 v0, v226, v0, -v10 op_sel_hi:[1,0,0]
	v_cvt_f32_i32_e32 v10, v11
	v_mul_f32_e32 v10, v216, v10
	v_mad_u64_u32 v[40:41], null, v185, v207, v[7:8]
	v_mul_lo_u32 v7, v42, v210
	v_cvt_f32_i32_e32 v15, v40
	v_mad_u64_u32 v[41:42], null, v186, v209, v[7:8]
	v_mul_lo_u32 v7, v45, v211
	v_fma_mix_f32 v15, v217, v15, -v10 op_sel_hi:[1,0,0]
	v_cvt_f32_i32_e32 v10, v12
	v_cvt_f32_i32_e32 v18, v41
	v_mul_f32_e32 v10, v214, v10
	v_mad_u64_u32 v[185:186], null, v187, v200, v[7:8]
	v_mul_lo_u32 v7, v171, v208
	v_fma_mix_f32 v12, v218, v18, -v10 op_sel_hi:[1,0,0]
	v_cvt_f32_i32_e32 v10, v13
	v_cvt_f32_i32_e32 v40, v185
	v_mad_u64_u32 v[186:187], null, v196, v207, v[7:8]
	v_mul_lo_u32 v7, v174, v210
	v_mul_f32_e32 v10, v1, v10
	v_fma_mix_f32 v13, v215, v40, -v10 op_sel_hi:[1,0,0]
	v_cvt_f32_i32_e32 v10, v48
	v_mad_u64_u32 v[173:174], null, v197, v209, v[7:8]
	v_mul_lo_u32 v7, v175, v211
	v_cvt_f32_i32_e32 v41, v186
	v_mul_f32_e32 v10, v227, v10
	v_cvt_f32_i32_e32 v42, v173
	v_mad_u64_u32 v[174:175], null, v198, v200, v[7:8]
	v_cvt_f32_i32_e32 v7, v219
	v_fma_mix_f32 v7, v226, v7, -v10 op_sel_hi:[1,0,0]
	v_cvt_f32_i32_e32 v10, v50
	v_cvt_f32_i32_e32 v45, v174
	v_mul_f32_e32 v10, v216, v10
	v_fma_mix_f32 v18, v217, v41, -v10 op_sel_hi:[1,0,0]
	v_cvt_f32_i32_e32 v10, v51
	v_mul_f32_e32 v10, v214, v10
	v_fma_mix_f32 v40, v218, v42, -v10 op_sel_hi:[1,0,0]
	;; [unrolled: 3-line block ×3, first 2 shown]
	ds_read2_b32 v[10:11], v3 offset0:64 offset1:96
	s_waitcnt lgkmcnt(0)
	v_fmac_f32_e32 v73, v11, v7
	v_mul_lo_u32 v7, v161, v206
	v_fmac_f32_e32 v87, v10, v0
	v_fmac_f32_e32 v82, v10, v15
	;; [unrolled: 1-line block ×7, first 2 shown]
	v_mad_u64_u32 v[10:11], null, v195, v205, v[7:8]
	v_mul_lo_u32 v7, v177, v206
	v_cvt_f32_i32_e32 v0, v10
	v_mad_u64_u32 v[11:12], null, v204, v205, v[7:8]
	v_mul_lo_u32 v7, v163, v208
	v_mad_u64_u32 v[12:13], null, v191, v207, v[7:8]
	v_mul_lo_u32 v7, v164, v210
	v_cvt_f32_i32_e32 v10, v12
	v_mad_u64_u32 v[40:41], null, v192, v209, v[7:8]
	v_mul_lo_u32 v7, v165, v211
	;; [unrolled: 5-line block ×3, first 2 shown]
	v_cvt_f32_i32_e32 v13, v50
	v_mad_u64_u32 v[51:52], null, v202, v209, v[7:8]
	v_mul_lo_u32 v7, v179, v211
	v_cvt_f32_i32_e32 v15, v51
	v_mad_u64_u32 v[163:164], null, v203, v200, v[7:8]
	v_cvt_f32_i32_e32 v7, v11
	v_cvt_f32_i32_e32 v11, v40
	;; [unrolled: 1-line block ×4, first 2 shown]
	v_mul_f32_e32 v40, v227, v40
	v_fma_mix_f32 v0, v226, v0, -v40 op_sel_hi:[1,0,0]
	v_cvt_f32_i32_e32 v40, v46
	v_mul_f32_e32 v40, v216, v40
	v_fma_mix_f32 v40, v217, v10, -v40 op_sel_hi:[1,0,0]
	v_cvt_f32_i32_e32 v10, v47
	;; [unrolled: 3-line block ×7, first 2 shown]
	v_mul_f32_e32 v10, v1, v10
	v_mul_f32_e32 v1, v1, v9
	v_fma_mix_f32 v18, v215, v18, -v10 op_sel_hi:[1,0,0]
	ds_read2_b32 v[10:11], v3 offset0:128 offset1:160
	s_waitcnt lgkmcnt(0)
	v_fmac_f32_e32 v64, v11, v7
	v_mul_lo_u32 v7, v39, v206
	v_fmac_f32_e32 v68, v10, v0
	v_fmac_f32_e32 v67, v10, v40
	;; [unrolled: 1-line block ×7, first 2 shown]
	v_mad_u64_u32 v[10:11], null, v183, v205, v[7:8]
	v_mul_lo_u32 v7, v170, v206
	v_cvt_f32_i32_e32 v0, v10
	v_cvt_f32_i32_e32 v10, v44
	v_mad_u64_u32 v[11:12], null, v194, v205, v[7:8]
	v_mul_lo_u32 v7, v37, v208
	v_mul_f32_e32 v10, v227, v10
	v_mad_u64_u32 v[12:13], null, v182, v207, v[7:8]
	v_mul_lo_u32 v7, v166, v208
	v_mad_u64_u32 v[39:40], null, v190, v207, v[7:8]
	v_mul_lo_u32 v7, v17, v210
	;; [unrolled: 2-line block ×5, first 2 shown]
	v_mad_u64_u32 v[16:17], null, v184, v200, v[7:8]
	v_cvt_f32_i32_e32 v8, v8
	v_cvt_f32_i32_e32 v7, v11
	;; [unrolled: 1-line block ×3, first 2 shown]
	v_mul_f32_e32 v8, v227, v8
	v_fma_mix_f32 v7, v226, v7, -v10 op_sel_hi:[1,0,0]
	v_cvt_f32_i32_e32 v10, v39
	v_mul_f32_e32 v11, v216, v11
	v_fma_mix_f32 v0, v226, v0, -v8 op_sel_hi:[1,0,0]
	v_cvt_f32_i32_e32 v8, v12
	v_cvt_f32_i32_e32 v12, v14
	v_fma_mix_f32 v6, v217, v8, -v6 op_sel_hi:[1,0,0]
	v_fma_mix_f32 v8, v217, v10, -v11 op_sel_hi:[1,0,0]
	v_cvt_f32_i32_e32 v10, v40
	v_cvt_f32_i32_e32 v11, v41
	v_mul_f32_e32 v12, v214, v12
	v_fma_mix_f32 v10, v218, v10, -v5 op_sel_hi:[1,0,0]
	v_cvt_f32_i32_e32 v5, v15
	v_fma_mix_f32 v11, v218, v11, -v12 op_sel_hi:[1,0,0]
	v_cvt_f32_i32_e32 v12, v16
	v_fma_mix_f32 v9, v215, v5, -v4 op_sel_hi:[1,0,0]
	ds_read2_b32 v[4:5], v3 offset0:192 offset1:224
	v_fma_mix_f32 v1, v215, v12, -v1 op_sel_hi:[1,0,0]
	v_add_nc_u32_e32 v3, 4, v3
	s_waitcnt lgkmcnt(0)
	v_fmac_f32_e32 v60, v4, v0
	v_fmac_f32_e32 v59, v4, v6
	;; [unrolled: 1-line block ×8, first 2 shown]
	s_cbranch_scc1 .LBB168_9
; %bb.10:                               ;   in Loop: Header=BB168_6 Depth=1
	s_or_b32 s0, s9, 1
	s_cmp_ge_i32 s0, s4
	s_barrier
	buffer_gl0_inv
	s_cbranch_scc1 .LBB168_5
; %bb.11:                               ;   in Loop: Header=BB168_6 Depth=1
	buffer_load_dword v0, off, s[16:19], 0 offset:28 ; 4-byte Folded Reload
	v_add_nc_u32_e32 v12, 8, v159
	s_mov_b32 s0, 16
	v_mad_u64_u32 v[12:13], null, v12, 36, s[2:3]
	s_waitcnt vmcnt(0)
	v_add_nc_u32_e32 v0, s11, v0
	v_add_nc_u32_e32 v1, v0, v114
	;; [unrolled: 1-line block ×6, first 2 shown]
	v_mad_i64_i32 v[2:3], null, v1, 36, v[35:36]
	v_add_nc_u32_e32 v1, v0, v118
	v_mad_i64_i32 v[4:5], null, v4, 36, v[35:36]
	v_mad_i64_i32 v[6:7], null, v6, 36, v[35:36]
	;; [unrolled: 1-line block ×3, first 2 shown]
	v_add_nc_u32_e32 v1, v0, v119
	v_add_nc_u32_e32 v0, v0, v121
	v_mad_i64_i32 v[8:9], null, v8, 36, v[35:36]
	v_mad_i64_i32 v[16:17], null, v16, 36, v[35:36]
	;; [unrolled: 1-line block ×4, first 2 shown]
	s_clause 0x8
	global_load_dword v0, v[12:13], off
	global_load_dword v1, v[2:3], off offset:4
	global_load_dword v4, v[4:5], off offset:4
	;; [unrolled: 1-line block ×8, first 2 shown]
	v_mov_b32_e32 v2, v131
	v_mov_b32_e32 v3, v126
	s_waitcnt vmcnt(8)
	v_cvt_f32_f16_e32 v0, v0
	s_waitcnt vmcnt(7)
	ds_write_b32 v141, v1
	s_waitcnt vmcnt(6)
	ds_write_b32 v142, v4
	;; [unrolled: 2-line block ×8, first 2 shown]
	ds_write_b32 v113, v0
	s_waitcnt lgkmcnt(0)
	s_barrier
	buffer_gl0_inv
.LBB168_12:                             ;   Parent Loop BB168_6 Depth=1
                                        ; =>  This Inner Loop Header: Depth=2
	s_and_b32 s15, s0, 0x3ffffff8
	s_add_i32 s1, s0, -16
	v_lshl_add_u32 v0, s15, 2, v125
	s_and_b32 s15, s0, -16
	v_mov_b32_e32 v208, 0
	s_add_i32 s15, s0, s15
	v_mov_b32_e32 v210, 0
	ds_read2_b32 v[4:5], v0 offset1:1
	v_add_nc_u32_e32 v9, s15, v127
	v_mov_b32_e32 v211, 0
	v_mov_b32_e32 v212, 0
	;; [unrolled: 1-line block ×18, first 2 shown]
	s_waitcnt lgkmcnt(0)
	v_ashrrev_i32_e32 v1, s1, v4
	v_ashrrev_i32_e32 v6, s1, v5
	ds_read2_b32 v[4:5], v0 offset0:2 offset1:3
	v_mov_b32_e32 v50, 0
	v_mov_b32_e32 v174, 0
	v_and_b32_e32 v1, 0x3030303, v1
	v_and_b32_e32 v44, 0x3030303, v6
	v_mov_b32_e32 v51, 0
	v_mov_b32_e32 v175, 0
	;; [unrolled: 1-line block ×3, first 2 shown]
	ds_read_b128 v[166:169], v2 offset:4096
	ds_read_b128 v[180:183], v2 offset:5120
	v_mov_b32_e32 v43, 0
	v_mov_b32_e32 v164, 0
	;; [unrolled: 1-line block ×10, first 2 shown]
	s_waitcnt lgkmcnt(2)
	v_ashrrev_i32_e32 v7, s1, v4
	v_add_nc_u32_e32 v4, 0x1080, v0
	v_ashrrev_i32_e32 v8, s1, v5
	ds_read_u16 v205, v9 offset:25072
	v_add_nc_u32_e32 v9, s15, v128
	v_and_b32_e32 v69, 0x3030303, v7
	ds_read2_b32 v[4:5], v4 offset1:1
	v_and_b32_e32 v74, 0x3030303, v8
	v_mov_b32_e32 v7, 0
	s_waitcnt lgkmcnt(2)
	v_dot4c_i32_i8 v177, v1, v180
	v_mov_b32_e32 v237, 0
	v_mov_b32_e32 v238, 0
	v_mov_b32_e32 v239, 0
	v_mov_b32_e32 v240, 0
	v_dot4c_i32_i8 v177, v44, v181
	v_mov_b32_e32 v241, 0
	v_mov_b32_e32 v242, 0
	;; [unrolled: 1-line block ×4, first 2 shown]
	v_dot4c_i32_i8 v177, v69, v182
	v_mov_b32_e32 v196, 0
	v_mov_b32_e32 v197, 0
	;; [unrolled: 1-line block ×3, first 2 shown]
	s_waitcnt lgkmcnt(1)
	v_bfe_u32 v6, v205, 4, 4
	v_dot4c_i32_i8 v177, v74, v183
	v_mov_b32_e32 v195, 0
	s_waitcnt lgkmcnt(0)
	v_ashrrev_i32_e32 v12, s1, v4
	v_add_nc_u32_e32 v4, 0x1088, v0
	v_ashrrev_i32_e32 v13, s1, v5
	ds_read_u16 v207, v9 offset:26096
	v_add_nc_u32_e32 v9, s15, v129
	v_mul_lo_u32 v78, 0x1010101, v6
	ds_read2_b32 v[4:5], v4 offset1:1
	v_and_b32_e32 v124, 0x3030303, v12
	v_and_b32_e32 v184, 0x3030303, v13
	v_mov_b32_e32 v12, 0
	v_mov_b32_e32 v13, 0
	;; [unrolled: 1-line block ×3, first 2 shown]
	v_dot4c_i32_i8 v176, v124, v180
	v_dot4c_i32_i8 v43, v78, v166
	v_mov_b32_e32 v201, 0
	v_mov_b32_e32 v202, 0
	;; [unrolled: 1-line block ×3, first 2 shown]
	v_dot4c_i32_i8 v176, v184, v181
	v_dot4c_i32_i8 v43, v78, v167
	v_mov_b32_e32 v194, 0
	ds_read_u16 v209, v9 offset:27120
	v_add_nc_u32_e32 v9, s15, v130
	ds_read_b128 v[46:49], v2 offset:2048
	s_waitcnt lgkmcnt(3)
	v_bfe_u32 v6, v207, 4, 4
	v_dot4c_i32_i8 v43, v78, v168
	ds_read_b128 v[160:163], v2 offset:3072
	s_waitcnt lgkmcnt(3)
	v_ashrrev_i32_e32 v14, s1, v4
	v_add_nc_u32_e32 v4, 0x2100, v0
	v_ashrrev_i32_e32 v15, s1, v5
	ds_read_u16 v200, v9 offset:28144
	ds_read_b128 v[8:11], v2
	v_mul_lo_u32 v94, 0x1010101, v6
	ds_read2_b32 v[4:5], v4 offset1:1
	v_and_b32_e32 v14, 0x3030303, v14
	v_and_b32_e32 v185, 0x3030303, v15
	v_mov_b32_e32 v15, 0
	v_dot4c_i32_i8 v43, v78, v169
	ds_read_b128 v[223:226], v2 offset:6160
	v_dot4c_i32_i8 v176, v14, v182
	s_waitcnt lgkmcnt(6)
	v_bfe_u32 v6, v209, 4, 4
	s_waitcnt lgkmcnt(5)
	v_dot4c_i32_i8 v40, v1, v46
	v_dot4c_i32_i8 v41, v124, v46
	;; [unrolled: 1-line block ×3, first 2 shown]
	v_mul_lo_u32 v99, 0x1010101, v6
	s_waitcnt lgkmcnt(4)
	v_dot4c_i32_i8 v173, v1, v160
	v_dot4c_i32_i8 v40, v44, v47
	;; [unrolled: 1-line block ×3, first 2 shown]
	s_waitcnt lgkmcnt(3)
	v_bfe_u32 v6, v200, 4, 4
	s_waitcnt lgkmcnt(2)
	v_dot4c_i32_i8 v208, v1, v8
	v_dot4c_i32_i8 v210, v124, v8
	s_waitcnt lgkmcnt(1)
	v_ashrrev_i32_e32 v16, s1, v4
	v_add_nc_u32_e32 v4, 0x2108, v0
	v_ashrrev_i32_e32 v17, s1, v5
	v_mul_lo_u32 v123, 0x1010101, v6
	v_dot4c_i32_i8 v217, v78, v8
	v_and_b32_e32 v186, 0x3030303, v16
	ds_read2_b32 v[4:5], v4 offset1:1
	v_and_b32_e32 v187, 0x3030303, v17
	v_dot4c_i32_i8 v216, v94, v8
	v_dot4c_i32_i8 v214, v99, v8
	;; [unrolled: 1-line block ×18, first 2 shown]
	s_waitcnt lgkmcnt(0)
	v_ashrrev_i32_e32 v18, s1, v4
	v_add_nc_u32_e32 v4, 0x3180, v0
	v_ashrrev_i32_e32 v37, s1, v5
	v_dot4c_i32_i8 v210, v185, v11
	v_dot4c_i32_i8 v217, v78, v11
	v_and_b32_e32 v18, 0x3030303, v18
	ds_read2_b32 v[4:5], v4 offset1:1
	v_and_b32_e32 v188, 0x3030303, v37
	v_dot4c_i32_i8 v216, v94, v11
	v_dot4c_i32_i8 v214, v99, v11
	;; [unrolled: 1-line block ×18, first 2 shown]
	s_waitcnt lgkmcnt(0)
	v_ashrrev_i32_e32 v38, s1, v4
	v_add_nc_u32_e32 v4, 0x3188, v0
	v_ashrrev_i32_e32 v39, s1, v5
	v_dot4c_i32_i8 v174, v186, v160
	v_dot4c_i32_i8 v51, v99, v160
	v_and_b32_e32 v38, 0x3030303, v38
	ds_read2_b32 v[4:5], v4 offset1:1
	v_and_b32_e32 v189, 0x3030303, v39
	v_dot4c_i32_i8 v52, v123, v160
	v_dot4c_i32_i8 v173, v44, v161
	;; [unrolled: 1-line block ×18, first 2 shown]
	s_waitcnt lgkmcnt(0)
	v_ashrrev_i32_e32 v4, s1, v4
	v_ashrrev_i32_e32 v5, s1, v5
	v_dot4c_i32_i8 v52, v123, v162
	v_dot4c_i32_i8 v40, v74, v49
	v_dot4c_i32_i8 v41, v185, v49
	v_and_b32_e32 v190, 0x3030303, v4
	v_and_b32_e32 v191, 0x3030303, v5
	v_dot4c_i32_i8 v42, v188, v49
	v_dot4c_i32_i8 v12, v99, v49
	;; [unrolled: 1-line block ×9, first 2 shown]
	ds_read_b128 v[8:11], v2 offset:1024
	v_dot4c_i32_i8 v45, v191, v49
	v_dot4c_i32_i8 v50, v94, v163
	;; [unrolled: 1-line block ×19, first 2 shown]
	s_waitcnt lgkmcnt(0)
	v_dot4c_i32_i8 v222, v1, v8
	v_dot4c_i32_i8 v219, v78, v8
	;; [unrolled: 1-line block ×32, first 2 shown]
	v_mov_b32_e32 v10, 0
	v_mov_b32_e32 v11, 0
	v_dot4c_i32_i8 v164, v188, v169
	v_dot4c_i32_i8 v165, v191, v169
	;; [unrolled: 1-line block ×5, first 2 shown]
	v_mov_b32_e32 v46, 0
	v_dot4c_i32_i8 v172, v123, v182
	v_dot4c_i32_i8 v178, v188, v183
	v_dot4c_i32_i8 v10, v78, v47
	v_dot4c_i32_i8 v11, v94, v47
	v_mov_b32_e32 v47, 0
	v_dot4c_i32_i8 v46, v94, v166
	v_dot4c_i32_i8 v179, v191, v183
	v_dot4c_i32_i8 v10, v78, v48
	v_dot4c_i32_i8 v11, v94, v48
	;; [unrolled: 5-line block ×3, first 2 shown]
	v_dot4c_i32_i8 v48, v78, v160
	v_mov_b32_e32 v49, 0
	v_dot4c_i32_i8 v47, v99, v167
	v_dot4c_i32_i8 v46, v94, v168
	;; [unrolled: 1-line block ×4, first 2 shown]
	v_mov_b32_e32 v161, 0
	v_dot4c_i32_i8 v49, v123, v166
	v_dot4c_i32_i8 v47, v99, v168
	;; [unrolled: 1-line block ×7, first 2 shown]
	v_mov_b32_e32 v39, 0
	v_dot4c_i32_i8 v48, v78, v163
	v_mov_b32_e32 v163, 0
	v_dot4c_i32_i8 v161, v44, v167
	v_dot4c_i32_i8 v49, v123, v168
	v_mov_b32_e32 v8, 0
	v_mov_b32_e32 v37, 0
	v_dot4c_i32_i8 v163, v124, v166
	v_dot4c_i32_i8 v161, v69, v168
	;; [unrolled: 1-line block ×3, first 2 shown]
	v_mov_b32_e32 v6, 0
	v_mov_b32_e32 v17, 0
	v_dot4c_i32_i8 v163, v184, v167
	v_dot4c_i32_i8 v161, v74, v169
	v_mov_b32_e32 v167, 0
	v_mov_b32_e32 v5, 0
	;; [unrolled: 1-line block ×3, first 2 shown]
	v_dot4c_i32_i8 v163, v14, v168
	v_mov_b32_e32 v168, 0
	v_dot4c_i32_i8 v167, v78, v180
	v_mov_b32_e32 v4, 0
	v_mov_b32_e32 v166, 0
	v_dot4c_i32_i8 v163, v185, v169
	v_mov_b32_e32 v169, 0
	v_dot4c_i32_i8 v168, v94, v180
	v_dot4c_i32_i8 v167, v78, v181
	v_mov_b32_e32 v160, 0
	v_mov_b32_e32 v162, 0
	v_dot4c_i32_i8 v169, v99, v180
	v_dot4c_i32_i8 v168, v94, v181
	;; [unrolled: 1-line block ×3, first 2 shown]
	v_mov_b32_e32 v9, 0
	v_dot4c_i32_i8 v169, v99, v181
	v_dot4c_i32_i8 v168, v94, v182
	;; [unrolled: 1-line block ×6, first 2 shown]
	ds_read_b128 v[180:183], v2 offset:6144
	s_waitcnt lgkmcnt(0)
	v_dot4c_i32_i8 v39, v1, v180
	v_dot4c_i32_i8 v8, v78, v180
	;; [unrolled: 1-line block ×32, first 2 shown]
	ds_read_b128 v[180:183], v2 offset:7168
	s_waitcnt lgkmcnt(0)
	v_dot4c_i32_i8 v166, v124, v180
	v_dot4c_i32_i8 v170, v1, v180
	v_dot4c_i32_i8 v160, v38, v180
	v_mov_b32_e32 v38, 0
	v_dot4c_i32_i8 v162, v186, v180
	v_dot4c_i32_i8 v166, v184, v181
	v_dot4c_i32_i8 v170, v44, v181
	v_mov_b32_e32 v44, 0
	;; [unrolled: 4-line block ×3, first 2 shown]
	v_dot4c_i32_i8 v44, v78, v180
	v_dot4c_i32_i8 v162, v187, v181
	v_dot4c_i32_i8 v160, v189, v181
	v_dot4c_i32_i8 v38, v94, v181
	v_dot4c_i32_i8 v14, v99, v180
	v_dot4c_i32_i8 v44, v78, v181
	v_dot4c_i32_i8 v9, v123, v181
	v_dot4c_i32_i8 v162, v18, v182
	v_dot4c_i32_i8 v170, v69, v182
	v_dot4c_i32_i8 v14, v99, v181
	ds_read2_b32 v[180:181], v0 offset0:4 offset1:5
	v_dot4c_i32_i8 v44, v78, v182
	v_dot4c_i32_i8 v38, v94, v182
	;; [unrolled: 1-line block ×6, first 2 shown]
	v_add_nc_u32_e32 v78, 0x1090, v0
	v_dot4c_i32_i8 v38, v94, v183
	v_dot4c_i32_i8 v14, v99, v183
	v_add_nc_u32_e32 v99, 0x1098, v0
	v_add_nc_u32_e32 v124, 0x2110, v0
	v_dot4c_i32_i8 v9, v123, v183
	v_dot4c_i32_i8 v166, v185, v183
	v_dot4c_i32_i8 v162, v188, v183
	v_dot4c_i32_i8 v160, v190, v182
	s_waitcnt lgkmcnt(0)
	v_ashrrev_i32_e32 v1, s1, v180
	v_ashrrev_i32_e32 v18, s1, v181
	ds_read2_b32 v[180:181], v0 offset0:6 offset1:7
	v_dot4c_i32_i8 v160, v191, v183
	v_and_b32_e32 v1, 0x3030303, v1
	v_and_b32_e32 v18, 0x3030303, v18
	s_waitcnt lgkmcnt(0)
	v_ashrrev_i32_e32 v69, s1, v180
	v_ashrrev_i32_e32 v74, s1, v181
	ds_read2_b32 v[180:181], v78 offset1:1
	v_and_b32_e32 v69, 0x3030303, v69
	v_and_b32_e32 v74, 0x3030303, v74
	s_waitcnt lgkmcnt(0)
	v_ashrrev_i32_e32 v78, s1, v180
	v_ashrrev_i32_e32 v94, s1, v181
	ds_read2_b32 v[180:181], v99 offset1:1
	;; [unrolled: 6-line block ×3, first 2 shown]
	v_and_b32_e32 v99, 0x3030303, v99
	v_and_b32_e32 v123, 0x3030303, v123
	s_waitcnt lgkmcnt(0)
	v_ashrrev_i32_e32 v124, s1, v180
	v_add_nc_u32_e32 v180, 0x2118, v0
	v_ashrrev_i32_e32 v184, s1, v181
	v_and_b32_e32 v124, 0x3030303, v124
	ds_read2_b32 v[180:181], v180 offset1:1
	v_and_b32_e32 v206, 0x3030303, v184
	v_mov_b32_e32 v184, 0
	s_waitcnt lgkmcnt(0)
	v_ashrrev_i32_e32 v185, s1, v180
	v_add_nc_u32_e32 v180, 0x3190, v0
	v_ashrrev_i32_e32 v186, s1, v181
	v_add_nc_u32_e32 v0, 0x3198, v0
	v_and_b32_e32 v228, 0x3030303, v185
	ds_read2_b32 v[180:181], v180 offset1:1
	v_and_b32_e32 v229, 0x3030303, v186
	v_mov_b32_e32 v185, 0
	v_mov_b32_e32 v186, 0
	s_waitcnt lgkmcnt(0)
	v_ashrrev_i32_e32 v187, s1, v180
	v_ashrrev_i32_e32 v188, s1, v181
	ds_read2_b32 v[180:181], v0 offset1:1
	v_and_b32_e32 v230, 0x3030303, v187
	v_and_b32_e32 v231, 0x3030303, v188
	v_mov_b32_e32 v188, 0
	v_mov_b32_e32 v187, 0
	s_waitcnt lgkmcnt(0)
	v_ashrrev_i32_e32 v0, s1, v180
	v_and_b32_sdwa v180, v157, v205 dst_sel:DWORD dst_unused:UNUSED_PAD src0_sel:DWORD src1_sel:BYTE_1
	v_ashrrev_i32_e32 v189, s1, v181
	s_lshr_b32 s1, s0, 2
	v_and_b32_e32 v0, 0x3030303, v0
	v_lshrrev_b32_e32 v190, 4, v180
	v_and_b32_sdwa v180, v157, v207 dst_sel:DWORD dst_unused:UNUSED_PAD src0_sel:DWORD src1_sel:BYTE_1
	v_and_b32_e32 v232, 0x3030303, v189
	v_mov_b32_e32 v189, 0
	s_and_b32 s1, s1, 0x3ffffffc
	v_mul_lo_u32 v233, 0x1010101, v190
	v_lshrrev_b32_e32 v191, 4, v180
	v_and_b32_sdwa v180, v157, v209 dst_sel:DWORD dst_unused:UNUSED_PAD src0_sel:DWORD src1_sel:BYTE_1
	v_mov_b32_e32 v190, 0
	s_addk_i32 s1, 0x7280
	v_mul_lo_u32 v234, 0x1010101, v191
	v_lshrrev_b32_e32 v192, 4, v180
	v_and_b32_sdwa v180, v157, v200 dst_sel:DWORD dst_unused:UNUSED_PAD src0_sel:DWORD src1_sel:BYTE_1
	v_mov_b32_e32 v191, 0
	v_dot4c_i32_i8 v8, v233, v223
	v_mul_lo_u32 v235, 0x1010101, v192
	v_lshrrev_b32_e32 v193, 4, v180
	ds_read_b128 v[180:183], v2 offset:16
	v_mov_b32_e32 v192, 0
	v_dot4c_i32_i8 v6, v234, v223
	v_dot4c_i32_i8 v8, v233, v224
	v_mul_lo_u32 v236, 0x1010101, v193
	v_mov_b32_e32 v193, 0
	v_dot4c_i32_i8 v5, v235, v223
	v_dot4c_i32_i8 v6, v234, v224
	;; [unrolled: 1-line block ×10, first 2 shown]
	s_waitcnt lgkmcnt(0)
	v_dot4c_i32_i8 v227, v1, v180
	v_dot4c_i32_i8 v237, v78, v180
	;; [unrolled: 1-line block ×32, first 2 shown]
	ds_read_b128 v[180:183], v2 offset:1040
	v_dot4c_i32_i8 v4, v236, v225
	v_dot4c_i32_i8 v5, v235, v226
	v_cvt_f32_i32_e32 v6, v6
	v_dot4c_i32_i8 v4, v236, v226
	v_cvt_f32_i32_e32 v5, v5
	v_cvt_f32_i32_e32 v4, v4
	s_waitcnt lgkmcnt(0)
	v_dot4c_i32_i8 v240, v1, v180
	v_dot4c_i32_i8 v241, v78, v180
	;; [unrolled: 1-line block ×32, first 2 shown]
	ds_read_b128 v[180:183], v2 offset:2064
	s_waitcnt lgkmcnt(0)
	v_dot4c_i32_i8 v188, v1, v180
	v_dot4c_i32_i8 v185, v78, v180
	;; [unrolled: 1-line block ×32, first 2 shown]
	ds_read_b128 v[180:183], v2 offset:3088
	v_cvt_f32_i32_e32 v10, v10
	s_waitcnt lgkmcnt(0)
	v_dot4c_i32_i8 v199, v1, v180
	v_dot4c_i32_i8 v196, v78, v180
	;; [unrolled: 1-line block ×32, first 2 shown]
	ds_read_b128 v[180:183], v2 offset:4112
	s_waitcnt lgkmcnt(0)
	v_dot4c_i32_i8 v195, v1, v180
	v_dot4c_i32_i8 v191, v78, v180
	;; [unrolled: 1-line block ×32, first 2 shown]
	ds_read_b128 v[180:183], v2 offset:5136
	s_waitcnt lgkmcnt(0)
	v_dot4c_i32_i8 v204, v1, v180
	v_dot4c_i32_i8 v201, v78, v180
	;; [unrolled: 1-line block ×32, first 2 shown]
	v_mov_b32_e32 v183, 0
	v_mov_b32_e32 v182, 0
	;; [unrolled: 1-line block ×4, first 2 shown]
	v_dot4c_i32_i8 v183, v1, v223
	v_dot4c_i32_i8 v182, v78, v223
	;; [unrolled: 1-line block ×16, first 2 shown]
	ds_read_b128 v[223:226], v2 offset:7184
	v_add_nc_u32_e32 v2, 32, v2
	s_waitcnt lgkmcnt(0)
	v_dot4c_i32_i8 v184, v230, v223
	v_dot4c_i32_i8 v189, v124, v223
	;; [unrolled: 1-line block ×3, first 2 shown]
	v_and_b32_sdwa v1, v205, v158 dst_sel:DWORD dst_unused:UNUSED_PAD src0_sel:BYTE_1 src1_sel:DWORD
	v_dot4c_i32_i8 v190, v78, v223
	v_dot4c_i32_i8 v184, v231, v224
	;; [unrolled: 1-line block ×7, first 2 shown]
	v_and_b32_e32 v0, 15, v205
	v_dot4c_i32_i8 v9, v236, v223
	v_and_b32_e32 v205, 0xffff, v1
	v_dot4c_i32_i8 v194, v18, v224
	v_dot4c_i32_i8 v190, v94, v224
	v_and_b32_e32 v206, 0xffff, v0
	v_dot4c_i32_i8 v44, v233, v224
	v_dot4c_i32_i8 v38, v234, v224
	;; [unrolled: 1-line block ×4, first 2 shown]
	v_mul_lo_u32 v208, v206, v208
	v_and_b32_e32 v0, 15, v207
	v_dot4c_i32_i8 v194, v69, v225
	v_dot4c_i32_i8 v190, v99, v225
	;; [unrolled: 1-line block ×6, first 2 shown]
	v_mad_u64_u32 v[223:224], null, v205, v227, v[208:209]
	v_mul_lo_u32 v208, v222, v206
	v_dot4c_i32_i8 v9, v236, v225
	v_and_b32_sdwa v1, v207, v158 dst_sel:DWORD dst_unused:UNUSED_PAD src0_sel:BYTE_1 src1_sel:DWORD
	v_dot4c_i32_i8 v194, v74, v226
	v_dot4c_i32_i8 v190, v123, v226
	;; [unrolled: 1-line block ×4, first 2 shown]
	v_and_b32_e32 v207, 0xffff, v1
	v_mad_u64_u32 v[224:225], null, v240, v205, v[208:209]
	v_and_b32_e32 v208, 0xffff, v0
	v_dot4c_i32_i8 v44, v233, v226
	v_dot4c_i32_i8 v38, v234, v226
	;; [unrolled: 1-line block ×4, first 2 shown]
	v_mul_lo_u32 v210, v208, v210
	v_and_b32_e32 v0, 15, v209
	v_and_b32_sdwa v1, v209, v158 dst_sel:DWORD dst_unused:UNUSED_PAD src0_sel:BYTE_1 src1_sel:DWORD
	v_cvt_f32_i32_e32 v225, v223
	v_cvt_f32_i32_e32 v224, v224
	;; [unrolled: 1-line block ×3, first 2 shown]
	v_and_b32_e32 v209, 0xffff, v1
	v_mad_u64_u32 v[226:227], null, v207, v237, v[210:211]
	v_mul_lo_u32 v210, v221, v208
	v_and_b32_sdwa v1, v200, v158 dst_sel:DWORD dst_unused:UNUSED_PAD src0_sel:BYTE_1 src1_sel:DWORD
	v_cvt_f32_i32_e32 v223, v226
	v_mad_u64_u32 v[221:222], null, v241, v207, v[210:211]
	v_and_b32_e32 v210, 0xffff, v0
	v_and_b32_e32 v0, 15, v200
	;; [unrolled: 1-line block ×3, first 2 shown]
	v_mul_lo_u32 v211, v210, v211
	v_cvt_f32_i32_e32 v222, v221
	v_mad_u64_u32 v[227:228], null, v209, v238, v[211:212]
	v_mul_lo_u32 v211, v220, v210
	v_cvt_f32_i32_e32 v221, v227
	v_mad_u64_u32 v[228:229], null, v242, v209, v[211:212]
	v_and_b32_e32 v211, 0xffff, v0
	v_add3_u32 v0, s1, v149, v150
	v_mul_lo_u32 v212, v211, v212
	ds_read_b32 v226, v0
	v_cvt_f32_i32_e32 v0, v217
	v_cvt_f32_i32_e32 v220, v228
	v_mad_u64_u32 v[229:230], null, v200, v239, v[212:213]
	v_mul_lo_u32 v212, v213, v211
	v_mad_u64_u32 v[212:213], null, v243, v200, v[212:213]
	v_cvt_f32_i32_e32 v213, v229
	s_waitcnt lgkmcnt(0)
	v_cvt_f32_f16_sdwa v227, v226 dst_sel:DWORD dst_unused:UNUSED_PAD src0_sel:WORD_1
	v_mul_f32_e32 v0, v227, v0
	v_cvt_f32_i32_e32 v212, v212
	v_mul_f32_e32 v10, v227, v10
	v_fma_mix_f32 v225, v226, v225, -v0 op_sel_hi:[1,0,0]
	v_cvt_f32_i32_e32 v0, v219
	v_mul_f32_e32 v0, v227, v0
	v_fma_mix_f32 v219, v226, v224, -v0 op_sel_hi:[1,0,0]
	v_add3_u32 v0, s1, v151, v152
	ds_read_b32 v217, v0
	v_cvt_f32_i32_e32 v0, v216
	s_waitcnt lgkmcnt(0)
	v_cvt_f32_f16_sdwa v216, v217 dst_sel:DWORD dst_unused:UNUSED_PAD src0_sel:WORD_1
	v_mul_f32_e32 v0, v216, v0
	v_mul_f32_e32 v6, v216, v6
	v_fma_mix_f32 v223, v217, v223, -v0 op_sel_hi:[1,0,0]
	v_cvt_f32_i32_e32 v0, v218
	v_mul_f32_e32 v0, v216, v0
	v_fma_mix_f32 v222, v217, v222, -v0 op_sel_hi:[1,0,0]
	v_add3_u32 v0, s1, v153, v154
	ds_read_b32 v218, v0
	v_cvt_f32_i32_e32 v0, v214
	s_waitcnt lgkmcnt(0)
	v_cvt_f32_f16_sdwa v214, v218 dst_sel:DWORD dst_unused:UNUSED_PAD src0_sel:WORD_1
	v_mul_f32_e32 v0, v214, v0
	v_mul_f32_e32 v5, v214, v5
	v_fma_mix_f32 v221, v218, v221, -v0 op_sel_hi:[1,0,0]
	v_cvt_f32_i32_e32 v0, v215
	v_mul_f32_e32 v0, v214, v0
	v_fma_mix_f32 v220, v218, v220, -v0 op_sel_hi:[1,0,0]
	v_add3_u32 v0, s1, v155, v156
	s_add_i32 s1, s0, 2
	s_cmp_lt_u32 s0, 22
	s_mov_b32 s0, s1
	ds_read_b32 v215, v0
	v_cvt_f32_i32_e32 v0, v7
	v_cvt_f32_i32_e32 v7, v15
	s_waitcnt lgkmcnt(0)
	v_cvt_f32_f16_sdwa v1, v215 dst_sel:DWORD dst_unused:UNUSED_PAD src0_sel:WORD_1
	v_mul_f32_e32 v0, v1, v0
	v_mul_f32_e32 v7, v1, v7
	;; [unrolled: 1-line block ×3, first 2 shown]
	v_fma_mix_f32 v0, v215, v213, -v0 op_sel_hi:[1,0,0]
	v_fma_mix_f32 v7, v215, v212, -v7 op_sel_hi:[1,0,0]
	ds_read2_b32 v[212:213], v3 offset1:32
	s_waitcnt lgkmcnt(0)
	v_fmac_f32_e32 v90, v213, v7
	v_mul_lo_u32 v7, v40, v206
	v_fmac_f32_e32 v112, v212, v225
	v_fmac_f32_e32 v105, v213, v219
	v_fmac_f32_e32 v109, v212, v223
	v_fmac_f32_e32 v101, v213, v222
	v_fmac_f32_e32 v107, v212, v221
	v_fmac_f32_e32 v95, v213, v220
	v_fmac_f32_e32 v106, v212, v0
	v_mad_u64_u32 v[212:213], null, v188, v205, v[7:8]
	v_mul_lo_u32 v7, v173, v206
	v_cvt_f32_i32_e32 v0, v212
	v_mad_u64_u32 v[219:220], null, v199, v205, v[7:8]
	v_mul_lo_u32 v7, v41, v208
	v_fma_mix_f32 v0, v226, v0, -v10 op_sel_hi:[1,0,0]
	v_cvt_f32_i32_e32 v10, v11
	v_mul_f32_e32 v10, v216, v10
	v_mad_u64_u32 v[40:41], null, v185, v207, v[7:8]
	v_mul_lo_u32 v7, v42, v210
	v_cvt_f32_i32_e32 v15, v40
	v_mad_u64_u32 v[41:42], null, v186, v209, v[7:8]
	v_mul_lo_u32 v7, v45, v211
	v_fma_mix_f32 v15, v217, v15, -v10 op_sel_hi:[1,0,0]
	v_cvt_f32_i32_e32 v10, v12
	v_cvt_f32_i32_e32 v18, v41
	v_mul_f32_e32 v10, v214, v10
	v_mad_u64_u32 v[185:186], null, v187, v200, v[7:8]
	v_mul_lo_u32 v7, v171, v208
	v_fma_mix_f32 v12, v218, v18, -v10 op_sel_hi:[1,0,0]
	v_cvt_f32_i32_e32 v10, v13
	v_cvt_f32_i32_e32 v40, v185
	v_mad_u64_u32 v[186:187], null, v196, v207, v[7:8]
	v_mul_lo_u32 v7, v174, v210
	v_mul_f32_e32 v10, v1, v10
	v_fma_mix_f32 v13, v215, v40, -v10 op_sel_hi:[1,0,0]
	v_cvt_f32_i32_e32 v10, v48
	v_mad_u64_u32 v[173:174], null, v197, v209, v[7:8]
	v_mul_lo_u32 v7, v175, v211
	v_cvt_f32_i32_e32 v41, v186
	v_mul_f32_e32 v10, v227, v10
	v_cvt_f32_i32_e32 v42, v173
	v_mad_u64_u32 v[174:175], null, v198, v200, v[7:8]
	v_cvt_f32_i32_e32 v7, v219
	v_fma_mix_f32 v7, v226, v7, -v10 op_sel_hi:[1,0,0]
	v_cvt_f32_i32_e32 v10, v50
	v_cvt_f32_i32_e32 v45, v174
	v_mul_f32_e32 v10, v216, v10
	v_fma_mix_f32 v18, v217, v41, -v10 op_sel_hi:[1,0,0]
	v_cvt_f32_i32_e32 v10, v51
	v_mul_f32_e32 v10, v214, v10
	v_fma_mix_f32 v40, v218, v42, -v10 op_sel_hi:[1,0,0]
	;; [unrolled: 3-line block ×3, first 2 shown]
	ds_read2_b32 v[10:11], v3 offset0:64 offset1:96
	s_waitcnt lgkmcnt(0)
	v_fmac_f32_e32 v73, v11, v7
	v_mul_lo_u32 v7, v161, v206
	v_fmac_f32_e32 v87, v10, v0
	v_fmac_f32_e32 v82, v10, v15
	;; [unrolled: 1-line block ×7, first 2 shown]
	v_mad_u64_u32 v[10:11], null, v195, v205, v[7:8]
	v_mul_lo_u32 v7, v177, v206
	v_cvt_f32_i32_e32 v0, v10
	v_mad_u64_u32 v[11:12], null, v204, v205, v[7:8]
	v_mul_lo_u32 v7, v163, v208
	v_mad_u64_u32 v[12:13], null, v191, v207, v[7:8]
	v_mul_lo_u32 v7, v164, v210
	v_cvt_f32_i32_e32 v10, v12
	v_mad_u64_u32 v[40:41], null, v192, v209, v[7:8]
	v_mul_lo_u32 v7, v165, v211
	v_mad_u64_u32 v[41:42], null, v193, v200, v[7:8]
	v_mul_lo_u32 v7, v176, v208
	v_cvt_f32_i32_e32 v12, v41
	v_mad_u64_u32 v[50:51], null, v201, v207, v[7:8]
	v_mul_lo_u32 v7, v178, v210
	v_cvt_f32_i32_e32 v13, v50
	v_mad_u64_u32 v[51:52], null, v202, v209, v[7:8]
	v_mul_lo_u32 v7, v179, v211
	v_cvt_f32_i32_e32 v15, v51
	v_mad_u64_u32 v[163:164], null, v203, v200, v[7:8]
	v_cvt_f32_i32_e32 v7, v11
	v_cvt_f32_i32_e32 v11, v40
	;; [unrolled: 1-line block ×4, first 2 shown]
	v_mul_f32_e32 v40, v227, v40
	v_fma_mix_f32 v0, v226, v0, -v40 op_sel_hi:[1,0,0]
	v_cvt_f32_i32_e32 v40, v46
	v_mul_f32_e32 v40, v216, v40
	v_fma_mix_f32 v40, v217, v10, -v40 op_sel_hi:[1,0,0]
	v_cvt_f32_i32_e32 v10, v47
	;; [unrolled: 3-line block ×7, first 2 shown]
	v_mul_f32_e32 v10, v1, v10
	v_mul_f32_e32 v1, v1, v9
	v_fma_mix_f32 v18, v215, v18, -v10 op_sel_hi:[1,0,0]
	ds_read2_b32 v[10:11], v3 offset0:128 offset1:160
	s_waitcnt lgkmcnt(0)
	v_fmac_f32_e32 v64, v11, v7
	v_mul_lo_u32 v7, v39, v206
	v_fmac_f32_e32 v68, v10, v0
	v_fmac_f32_e32 v67, v10, v40
	;; [unrolled: 1-line block ×7, first 2 shown]
	v_mad_u64_u32 v[10:11], null, v183, v205, v[7:8]
	v_mul_lo_u32 v7, v170, v206
	v_cvt_f32_i32_e32 v0, v10
	v_cvt_f32_i32_e32 v10, v44
	v_mad_u64_u32 v[11:12], null, v194, v205, v[7:8]
	v_mul_lo_u32 v7, v37, v208
	v_mul_f32_e32 v10, v227, v10
	v_mad_u64_u32 v[12:13], null, v182, v207, v[7:8]
	v_mul_lo_u32 v7, v166, v208
	v_mad_u64_u32 v[39:40], null, v190, v207, v[7:8]
	v_mul_lo_u32 v7, v17, v210
	;; [unrolled: 2-line block ×5, first 2 shown]
	v_mad_u64_u32 v[16:17], null, v184, v200, v[7:8]
	v_cvt_f32_i32_e32 v8, v8
	v_cvt_f32_i32_e32 v7, v11
	v_cvt_f32_i32_e32 v11, v38
	v_mul_f32_e32 v8, v227, v8
	v_fma_mix_f32 v7, v226, v7, -v10 op_sel_hi:[1,0,0]
	v_cvt_f32_i32_e32 v10, v39
	v_mul_f32_e32 v11, v216, v11
	v_fma_mix_f32 v0, v226, v0, -v8 op_sel_hi:[1,0,0]
	v_cvt_f32_i32_e32 v8, v12
	v_cvt_f32_i32_e32 v12, v14
	v_fma_mix_f32 v6, v217, v8, -v6 op_sel_hi:[1,0,0]
	v_fma_mix_f32 v8, v217, v10, -v11 op_sel_hi:[1,0,0]
	v_cvt_f32_i32_e32 v10, v40
	v_cvt_f32_i32_e32 v11, v41
	v_mul_f32_e32 v12, v214, v12
	v_fma_mix_f32 v10, v218, v10, -v5 op_sel_hi:[1,0,0]
	v_cvt_f32_i32_e32 v5, v15
	v_fma_mix_f32 v11, v218, v11, -v12 op_sel_hi:[1,0,0]
	v_cvt_f32_i32_e32 v12, v16
	v_fma_mix_f32 v9, v215, v5, -v4 op_sel_hi:[1,0,0]
	ds_read2_b32 v[4:5], v3 offset0:192 offset1:224
	v_fma_mix_f32 v1, v215, v12, -v1 op_sel_hi:[1,0,0]
	v_add_nc_u32_e32 v3, 4, v3
	s_waitcnt lgkmcnt(0)
	v_fmac_f32_e32 v60, v4, v0
	v_fmac_f32_e32 v59, v4, v6
	;; [unrolled: 1-line block ×8, first 2 shown]
	s_cbranch_scc1 .LBB168_12
; %bb.13:                               ;   in Loop: Header=BB168_6 Depth=1
	buffer_load_dword v0, off, s[16:19], 0 offset:32 ; 4-byte Folded Reload
	s_waitcnt vmcnt(0)
	s_barrier
	buffer_gl0_inv
	s_mov_b32 s0, 24
	v_add_nc_u32_e32 v0, s11, v0
	v_add_nc_u32_e32 v1, v0, v114
	;; [unrolled: 1-line block ×6, first 2 shown]
	v_mad_i64_i32 v[2:3], null, v1, 36, v[35:36]
	v_add_nc_u32_e32 v1, v0, v117
	v_mad_i64_i32 v[4:5], null, v4, 36, v[35:36]
	v_add_nc_u32_e32 v16, v0, v120
	v_mad_i64_i32 v[6:7], null, v6, 36, v[35:36]
	v_mad_i64_i32 v[8:9], null, v1, 36, v[35:36]
	v_add_nc_u32_e32 v1, 12, v159
	v_add_nc_u32_e32 v0, v0, v121
	v_mad_i64_i32 v[10:11], null, v10, 36, v[35:36]
	v_mad_i64_i32 v[14:15], null, v14, 36, v[35:36]
	v_mad_u64_u32 v[12:13], null, v1, 36, s[2:3]
	v_mad_i64_i32 v[16:17], null, v16, 36, v[35:36]
	v_mad_i64_i32 v[37:38], null, v0, 36, v[35:36]
	s_clause 0x8
	global_load_dword v0, v[12:13], off
	global_load_dword v1, v[2:3], off offset:4
	global_load_dword v4, v[4:5], off offset:4
	;; [unrolled: 1-line block ×8, first 2 shown]
	v_mov_b32_e32 v2, v131
	v_mov_b32_e32 v3, v126
	s_waitcnt vmcnt(8)
	v_cvt_f32_f16_e32 v0, v0
	s_waitcnt vmcnt(7)
	ds_write_b32 v141, v1
	s_waitcnt vmcnt(6)
	ds_write_b32 v142, v4
	;; [unrolled: 2-line block ×8, first 2 shown]
	ds_write_b32 v113, v0
	s_waitcnt lgkmcnt(0)
	s_barrier
	buffer_gl0_inv
.LBB168_14:                             ;   Parent Loop BB168_6 Depth=1
                                        ; =>  This Inner Loop Header: Depth=2
	s_and_b32 s11, s0, 0x3ffffff8
	s_sub_i32 s1, s0, 24
	v_lshl_add_u32 v0, s11, 2, v125
	s_and_b32 s11, s0, -16
	v_mov_b32_e32 v207, 0
	s_add_i32 s11, s0, s11
	v_mov_b32_e32 v209, 0
	ds_read2_b32 v[4:5], v0 offset1:1
	v_add_nc_u32_e32 v9, s11, v127
	v_mov_b32_e32 v210, 0
	v_mov_b32_e32 v211, 0
	;; [unrolled: 1-line block ×18, first 2 shown]
	s_waitcnt lgkmcnt(0)
	v_ashrrev_i32_e32 v1, s1, v4
	v_ashrrev_i32_e32 v6, s1, v5
	ds_read2_b32 v[4:5], v0 offset0:2 offset1:3
	v_mov_b32_e32 v50, 0
	v_mov_b32_e32 v173, 0
	v_and_b32_e32 v1, 0x3030303, v1
	v_and_b32_e32 v44, 0x3030303, v6
	v_mov_b32_e32 v51, 0
	v_mov_b32_e32 v174, 0
	;; [unrolled: 1-line block ×3, first 2 shown]
	ds_read_b128 v[165:168], v2 offset:4096
	ds_read_b128 v[179:182], v2 offset:5120
	v_mov_b32_e32 v43, 0
	v_mov_b32_e32 v163, 0
	;; [unrolled: 1-line block ×10, first 2 shown]
	s_waitcnt lgkmcnt(2)
	v_ashrrev_i32_e32 v7, s1, v4
	v_add_nc_u32_e32 v4, 0x1080, v0
	v_ashrrev_i32_e32 v8, s1, v5
	ds_read_u16 v204, v9 offset:25072
	v_add_nc_u32_e32 v9, s11, v128
	v_and_b32_e32 v69, 0x3030303, v7
	ds_read2_b32 v[4:5], v4 offset1:1
	v_and_b32_e32 v74, 0x3030303, v8
	v_mov_b32_e32 v7, 0
	s_waitcnt lgkmcnt(2)
	v_dot4c_i32_i8 v176, v1, v179
	v_mov_b32_e32 v236, 0
	v_mov_b32_e32 v237, 0
	;; [unrolled: 1-line block ×4, first 2 shown]
	v_dot4c_i32_i8 v176, v44, v180
	v_mov_b32_e32 v240, 0
	v_mov_b32_e32 v241, 0
	;; [unrolled: 1-line block ×4, first 2 shown]
	v_dot4c_i32_i8 v176, v69, v181
	v_mov_b32_e32 v195, 0
	v_mov_b32_e32 v196, 0
	;; [unrolled: 1-line block ×3, first 2 shown]
	s_waitcnt lgkmcnt(1)
	v_bfe_u32 v6, v204, 4, 4
	v_dot4c_i32_i8 v176, v74, v182
	v_mov_b32_e32 v194, 0
	s_waitcnt lgkmcnt(0)
	v_ashrrev_i32_e32 v12, s1, v4
	v_add_nc_u32_e32 v4, 0x1088, v0
	v_ashrrev_i32_e32 v13, s1, v5
	ds_read_u16 v206, v9 offset:26096
	v_add_nc_u32_e32 v9, s11, v129
	v_mul_lo_u32 v78, 0x1010101, v6
	ds_read2_b32 v[4:5], v4 offset1:1
	v_and_b32_e32 v124, 0x3030303, v12
	v_and_b32_e32 v183, 0x3030303, v13
	v_mov_b32_e32 v12, 0
	v_mov_b32_e32 v13, 0
	;; [unrolled: 1-line block ×3, first 2 shown]
	v_dot4c_i32_i8 v175, v124, v179
	v_dot4c_i32_i8 v43, v78, v165
	v_mov_b32_e32 v200, 0
	v_mov_b32_e32 v201, 0
	;; [unrolled: 1-line block ×3, first 2 shown]
	v_dot4c_i32_i8 v175, v183, v180
	v_dot4c_i32_i8 v43, v78, v166
	v_mov_b32_e32 v193, 0
	ds_read_u16 v208, v9 offset:27120
	v_add_nc_u32_e32 v9, s11, v130
	ds_read_b128 v[46:49], v2 offset:2048
	s_waitcnt lgkmcnt(3)
	v_bfe_u32 v6, v206, 4, 4
	v_dot4c_i32_i8 v43, v78, v167
	ds_read_b128 v[159:162], v2 offset:3072
	s_waitcnt lgkmcnt(3)
	v_ashrrev_i32_e32 v14, s1, v4
	v_add_nc_u32_e32 v4, 0x2100, v0
	v_ashrrev_i32_e32 v15, s1, v5
	ds_read_u16 v199, v9 offset:28144
	ds_read_b128 v[8:11], v2
	v_mul_lo_u32 v94, 0x1010101, v6
	ds_read2_b32 v[4:5], v4 offset1:1
	v_and_b32_e32 v14, 0x3030303, v14
	v_and_b32_e32 v184, 0x3030303, v15
	v_mov_b32_e32 v15, 0
	v_dot4c_i32_i8 v43, v78, v168
	ds_read_b128 v[222:225], v2 offset:6160
	v_dot4c_i32_i8 v175, v14, v181
	s_waitcnt lgkmcnt(6)
	v_bfe_u32 v6, v208, 4, 4
	s_waitcnt lgkmcnt(5)
	v_dot4c_i32_i8 v40, v1, v46
	v_dot4c_i32_i8 v41, v124, v46
	;; [unrolled: 1-line block ×3, first 2 shown]
	v_mul_lo_u32 v99, 0x1010101, v6
	s_waitcnt lgkmcnt(4)
	v_dot4c_i32_i8 v172, v1, v159
	v_dot4c_i32_i8 v40, v44, v47
	v_dot4c_i32_i8 v41, v183, v47
	s_waitcnt lgkmcnt(3)
	v_bfe_u32 v6, v199, 4, 4
	s_waitcnt lgkmcnt(2)
	v_dot4c_i32_i8 v207, v1, v8
	v_dot4c_i32_i8 v209, v124, v8
	s_waitcnt lgkmcnt(1)
	v_ashrrev_i32_e32 v16, s1, v4
	v_add_nc_u32_e32 v4, 0x2108, v0
	v_ashrrev_i32_e32 v17, s1, v5
	v_mul_lo_u32 v123, 0x1010101, v6
	v_dot4c_i32_i8 v216, v78, v8
	v_and_b32_e32 v185, 0x3030303, v16
	ds_read2_b32 v[4:5], v4 offset1:1
	v_and_b32_e32 v186, 0x3030303, v17
	v_dot4c_i32_i8 v215, v94, v8
	v_dot4c_i32_i8 v213, v99, v8
	;; [unrolled: 1-line block ×18, first 2 shown]
	s_waitcnt lgkmcnt(0)
	v_ashrrev_i32_e32 v18, s1, v4
	v_add_nc_u32_e32 v4, 0x3180, v0
	v_ashrrev_i32_e32 v37, s1, v5
	v_dot4c_i32_i8 v209, v184, v11
	v_dot4c_i32_i8 v216, v78, v11
	v_and_b32_e32 v18, 0x3030303, v18
	ds_read2_b32 v[4:5], v4 offset1:1
	v_and_b32_e32 v187, 0x3030303, v37
	v_dot4c_i32_i8 v215, v94, v11
	v_dot4c_i32_i8 v213, v99, v11
	;; [unrolled: 1-line block ×18, first 2 shown]
	s_waitcnt lgkmcnt(0)
	v_ashrrev_i32_e32 v38, s1, v4
	v_add_nc_u32_e32 v4, 0x3188, v0
	v_ashrrev_i32_e32 v39, s1, v5
	v_dot4c_i32_i8 v173, v185, v159
	v_dot4c_i32_i8 v51, v99, v159
	v_and_b32_e32 v38, 0x3030303, v38
	ds_read2_b32 v[4:5], v4 offset1:1
	v_and_b32_e32 v188, 0x3030303, v39
	v_dot4c_i32_i8 v52, v123, v159
	v_dot4c_i32_i8 v172, v44, v160
	;; [unrolled: 1-line block ×18, first 2 shown]
	s_waitcnt lgkmcnt(0)
	v_ashrrev_i32_e32 v4, s1, v4
	v_ashrrev_i32_e32 v5, s1, v5
	v_dot4c_i32_i8 v52, v123, v161
	v_dot4c_i32_i8 v40, v74, v49
	v_dot4c_i32_i8 v41, v184, v49
	v_and_b32_e32 v189, 0x3030303, v4
	v_and_b32_e32 v190, 0x3030303, v5
	v_dot4c_i32_i8 v42, v187, v49
	v_dot4c_i32_i8 v12, v99, v49
	;; [unrolled: 1-line block ×9, first 2 shown]
	ds_read_b128 v[8:11], v2 offset:1024
	v_dot4c_i32_i8 v45, v190, v49
	v_dot4c_i32_i8 v50, v94, v162
	;; [unrolled: 1-line block ×19, first 2 shown]
	s_waitcnt lgkmcnt(0)
	v_dot4c_i32_i8 v221, v1, v8
	v_dot4c_i32_i8 v218, v78, v8
	;; [unrolled: 1-line block ×32, first 2 shown]
	v_mov_b32_e32 v10, 0
	v_mov_b32_e32 v11, 0
	v_dot4c_i32_i8 v163, v187, v168
	v_dot4c_i32_i8 v164, v190, v168
	;; [unrolled: 1-line block ×5, first 2 shown]
	v_mov_b32_e32 v46, 0
	v_dot4c_i32_i8 v171, v123, v181
	v_dot4c_i32_i8 v177, v187, v182
	v_dot4c_i32_i8 v10, v78, v47
	v_dot4c_i32_i8 v11, v94, v47
	v_mov_b32_e32 v47, 0
	v_dot4c_i32_i8 v46, v94, v165
	v_dot4c_i32_i8 v178, v190, v182
	v_dot4c_i32_i8 v10, v78, v48
	v_dot4c_i32_i8 v11, v94, v48
	;; [unrolled: 5-line block ×3, first 2 shown]
	v_dot4c_i32_i8 v48, v78, v159
	v_mov_b32_e32 v49, 0
	v_dot4c_i32_i8 v47, v99, v166
	v_dot4c_i32_i8 v46, v94, v167
	;; [unrolled: 1-line block ×4, first 2 shown]
	v_mov_b32_e32 v160, 0
	v_dot4c_i32_i8 v49, v123, v165
	v_dot4c_i32_i8 v47, v99, v167
	;; [unrolled: 1-line block ×7, first 2 shown]
	v_mov_b32_e32 v39, 0
	v_dot4c_i32_i8 v48, v78, v162
	v_mov_b32_e32 v162, 0
	v_dot4c_i32_i8 v160, v44, v166
	v_dot4c_i32_i8 v49, v123, v167
	v_mov_b32_e32 v8, 0
	v_mov_b32_e32 v37, 0
	v_dot4c_i32_i8 v162, v124, v165
	v_dot4c_i32_i8 v160, v69, v167
	;; [unrolled: 1-line block ×3, first 2 shown]
	v_mov_b32_e32 v6, 0
	v_mov_b32_e32 v17, 0
	v_dot4c_i32_i8 v162, v183, v166
	v_dot4c_i32_i8 v160, v74, v168
	v_mov_b32_e32 v166, 0
	v_mov_b32_e32 v5, 0
	;; [unrolled: 1-line block ×3, first 2 shown]
	v_dot4c_i32_i8 v162, v14, v167
	v_mov_b32_e32 v167, 0
	v_dot4c_i32_i8 v166, v78, v179
	v_mov_b32_e32 v4, 0
	v_mov_b32_e32 v165, 0
	v_dot4c_i32_i8 v162, v184, v168
	v_mov_b32_e32 v168, 0
	v_dot4c_i32_i8 v167, v94, v179
	v_dot4c_i32_i8 v166, v78, v180
	v_mov_b32_e32 v159, 0
	v_mov_b32_e32 v161, 0
	v_dot4c_i32_i8 v168, v99, v179
	v_dot4c_i32_i8 v167, v94, v180
	;; [unrolled: 1-line block ×3, first 2 shown]
	v_mov_b32_e32 v9, 0
	v_dot4c_i32_i8 v168, v99, v180
	v_dot4c_i32_i8 v167, v94, v181
	;; [unrolled: 1-line block ×6, first 2 shown]
	ds_read_b128 v[179:182], v2 offset:6144
	s_waitcnt lgkmcnt(0)
	v_dot4c_i32_i8 v39, v1, v179
	v_dot4c_i32_i8 v8, v78, v179
	;; [unrolled: 1-line block ×32, first 2 shown]
	ds_read_b128 v[179:182], v2 offset:7168
	s_waitcnt lgkmcnt(0)
	v_dot4c_i32_i8 v165, v124, v179
	v_dot4c_i32_i8 v169, v1, v179
	v_dot4c_i32_i8 v159, v38, v179
	v_mov_b32_e32 v38, 0
	v_dot4c_i32_i8 v161, v185, v179
	v_dot4c_i32_i8 v165, v183, v180
	v_dot4c_i32_i8 v169, v44, v180
	v_mov_b32_e32 v44, 0
	;; [unrolled: 4-line block ×3, first 2 shown]
	v_dot4c_i32_i8 v44, v78, v179
	v_dot4c_i32_i8 v161, v186, v180
	;; [unrolled: 1-line block ×10, first 2 shown]
	ds_read2_b32 v[179:180], v0 offset0:4 offset1:5
	v_dot4c_i32_i8 v44, v78, v181
	v_dot4c_i32_i8 v38, v94, v181
	v_dot4c_i32_i8 v169, v74, v182
	v_dot4c_i32_i8 v14, v99, v181
	v_dot4c_i32_i8 v9, v123, v181
	v_dot4c_i32_i8 v44, v78, v182
	v_add_nc_u32_e32 v78, 0x1090, v0
	v_dot4c_i32_i8 v38, v94, v182
	v_dot4c_i32_i8 v14, v99, v182
	v_add_nc_u32_e32 v99, 0x1098, v0
	v_add_nc_u32_e32 v124, 0x2110, v0
	v_dot4c_i32_i8 v9, v123, v182
	v_dot4c_i32_i8 v165, v184, v182
	v_dot4c_i32_i8 v161, v187, v182
	v_dot4c_i32_i8 v159, v189, v181
	s_waitcnt lgkmcnt(0)
	v_ashrrev_i32_e32 v1, s1, v179
	v_ashrrev_i32_e32 v18, s1, v180
	ds_read2_b32 v[179:180], v0 offset0:6 offset1:7
	v_dot4c_i32_i8 v159, v190, v182
	v_and_b32_e32 v1, 0x3030303, v1
	v_and_b32_e32 v18, 0x3030303, v18
	s_waitcnt lgkmcnt(0)
	v_ashrrev_i32_e32 v69, s1, v179
	v_ashrrev_i32_e32 v74, s1, v180
	ds_read2_b32 v[179:180], v78 offset1:1
	v_and_b32_e32 v69, 0x3030303, v69
	v_and_b32_e32 v74, 0x3030303, v74
	s_waitcnt lgkmcnt(0)
	v_ashrrev_i32_e32 v78, s1, v179
	v_ashrrev_i32_e32 v94, s1, v180
	ds_read2_b32 v[179:180], v99 offset1:1
	;; [unrolled: 6-line block ×3, first 2 shown]
	v_and_b32_e32 v99, 0x3030303, v99
	v_and_b32_e32 v123, 0x3030303, v123
	s_waitcnt lgkmcnt(0)
	v_ashrrev_i32_e32 v124, s1, v179
	v_add_nc_u32_e32 v179, 0x2118, v0
	v_ashrrev_i32_e32 v183, s1, v180
	v_and_b32_e32 v124, 0x3030303, v124
	ds_read2_b32 v[179:180], v179 offset1:1
	v_and_b32_e32 v205, 0x3030303, v183
	v_mov_b32_e32 v183, 0
	s_waitcnt lgkmcnt(0)
	v_ashrrev_i32_e32 v184, s1, v179
	v_add_nc_u32_e32 v179, 0x3190, v0
	v_ashrrev_i32_e32 v185, s1, v180
	v_add_nc_u32_e32 v0, 0x3198, v0
	v_and_b32_e32 v227, 0x3030303, v184
	ds_read2_b32 v[179:180], v179 offset1:1
	v_and_b32_e32 v228, 0x3030303, v185
	v_mov_b32_e32 v184, 0
	v_mov_b32_e32 v185, 0
	s_waitcnt lgkmcnt(0)
	v_ashrrev_i32_e32 v186, s1, v179
	v_ashrrev_i32_e32 v187, s1, v180
	ds_read2_b32 v[179:180], v0 offset1:1
	v_and_b32_e32 v229, 0x3030303, v186
	v_and_b32_e32 v230, 0x3030303, v187
	v_mov_b32_e32 v187, 0
	v_mov_b32_e32 v186, 0
	s_waitcnt lgkmcnt(0)
	v_ashrrev_i32_e32 v0, s1, v179
	v_and_b32_sdwa v179, v157, v204 dst_sel:DWORD dst_unused:UNUSED_PAD src0_sel:DWORD src1_sel:BYTE_1
	v_ashrrev_i32_e32 v188, s1, v180
	s_lshr_b32 s1, s0, 2
	v_and_b32_e32 v0, 0x3030303, v0
	v_lshrrev_b32_e32 v189, 4, v179
	v_and_b32_sdwa v179, v157, v206 dst_sel:DWORD dst_unused:UNUSED_PAD src0_sel:DWORD src1_sel:BYTE_1
	v_and_b32_e32 v231, 0x3030303, v188
	v_mov_b32_e32 v188, 0
	s_and_b32 s1, s1, 0x3ffffffc
	v_mul_lo_u32 v232, 0x1010101, v189
	v_lshrrev_b32_e32 v190, 4, v179
	v_and_b32_sdwa v179, v157, v208 dst_sel:DWORD dst_unused:UNUSED_PAD src0_sel:DWORD src1_sel:BYTE_1
	v_mov_b32_e32 v189, 0
	s_addk_i32 s1, 0x7280
	v_mul_lo_u32 v233, 0x1010101, v190
	v_lshrrev_b32_e32 v191, 4, v179
	v_and_b32_sdwa v179, v157, v199 dst_sel:DWORD dst_unused:UNUSED_PAD src0_sel:DWORD src1_sel:BYTE_1
	v_mov_b32_e32 v190, 0
	v_dot4c_i32_i8 v8, v232, v222
	v_mul_lo_u32 v234, 0x1010101, v191
	v_lshrrev_b32_e32 v192, 4, v179
	ds_read_b128 v[179:182], v2 offset:16
	v_mov_b32_e32 v191, 0
	v_dot4c_i32_i8 v6, v233, v222
	v_dot4c_i32_i8 v8, v232, v223
	v_mul_lo_u32 v235, 0x1010101, v192
	v_mov_b32_e32 v192, 0
	v_dot4c_i32_i8 v5, v234, v222
	v_dot4c_i32_i8 v6, v233, v223
	v_dot4c_i32_i8 v8, v232, v224
	v_dot4c_i32_i8 v5, v234, v223
	v_dot4c_i32_i8 v4, v235, v222
	v_dot4c_i32_i8 v6, v233, v224
	v_dot4c_i32_i8 v8, v232, v225
	v_dot4c_i32_i8 v5, v234, v224
	v_dot4c_i32_i8 v4, v235, v223
	v_dot4c_i32_i8 v6, v233, v225
	s_waitcnt lgkmcnt(0)
	v_dot4c_i32_i8 v226, v1, v179
	v_dot4c_i32_i8 v236, v78, v179
	v_dot4c_i32_i8 v237, v124, v179
	v_dot4c_i32_i8 v238, v229, v179
	v_dot4c_i32_i8 v216, v232, v179
	v_dot4c_i32_i8 v215, v233, v179
	v_dot4c_i32_i8 v213, v234, v179
	v_dot4c_i32_i8 v7, v235, v179
	v_dot4c_i32_i8 v226, v18, v180
	v_dot4c_i32_i8 v236, v94, v180
	v_dot4c_i32_i8 v237, v205, v180
	v_dot4c_i32_i8 v238, v230, v180
	v_dot4c_i32_i8 v216, v232, v180
	v_dot4c_i32_i8 v215, v233, v180
	v_dot4c_i32_i8 v213, v234, v180
	v_dot4c_i32_i8 v7, v235, v180
	v_dot4c_i32_i8 v226, v69, v181
	v_dot4c_i32_i8 v236, v99, v181
	v_dot4c_i32_i8 v237, v227, v181
	v_dot4c_i32_i8 v238, v0, v181
	v_dot4c_i32_i8 v216, v232, v181
	v_dot4c_i32_i8 v215, v233, v181
	v_dot4c_i32_i8 v213, v234, v181
	v_dot4c_i32_i8 v7, v235, v181
	v_dot4c_i32_i8 v226, v74, v182
	v_dot4c_i32_i8 v236, v123, v182
	v_dot4c_i32_i8 v237, v228, v182
	v_dot4c_i32_i8 v238, v231, v182
	v_dot4c_i32_i8 v216, v232, v182
	v_dot4c_i32_i8 v215, v233, v182
	v_dot4c_i32_i8 v213, v234, v182
	v_dot4c_i32_i8 v7, v235, v182
	ds_read_b128 v[179:182], v2 offset:1040
	v_dot4c_i32_i8 v4, v235, v224
	v_dot4c_i32_i8 v5, v234, v225
	v_cvt_f32_i32_e32 v6, v6
	v_dot4c_i32_i8 v4, v235, v225
	v_cvt_f32_i32_e32 v5, v5
	v_cvt_f32_i32_e32 v4, v4
	s_waitcnt lgkmcnt(0)
	v_dot4c_i32_i8 v239, v1, v179
	v_dot4c_i32_i8 v240, v78, v179
	;; [unrolled: 1-line block ×32, first 2 shown]
	ds_read_b128 v[179:182], v2 offset:2064
	s_waitcnt lgkmcnt(0)
	v_dot4c_i32_i8 v187, v1, v179
	v_dot4c_i32_i8 v184, v78, v179
	;; [unrolled: 1-line block ×32, first 2 shown]
	ds_read_b128 v[179:182], v2 offset:3088
	v_cvt_f32_i32_e32 v10, v10
	s_waitcnt lgkmcnt(0)
	v_dot4c_i32_i8 v198, v1, v179
	v_dot4c_i32_i8 v195, v78, v179
	;; [unrolled: 1-line block ×32, first 2 shown]
	ds_read_b128 v[179:182], v2 offset:4112
	s_waitcnt lgkmcnt(0)
	v_dot4c_i32_i8 v194, v1, v179
	v_dot4c_i32_i8 v190, v78, v179
	;; [unrolled: 1-line block ×32, first 2 shown]
	ds_read_b128 v[179:182], v2 offset:5136
	s_waitcnt lgkmcnt(0)
	v_dot4c_i32_i8 v203, v1, v179
	v_dot4c_i32_i8 v200, v78, v179
	;; [unrolled: 1-line block ×32, first 2 shown]
	v_mov_b32_e32 v182, 0
	v_mov_b32_e32 v181, 0
	;; [unrolled: 1-line block ×4, first 2 shown]
	v_dot4c_i32_i8 v182, v1, v222
	v_dot4c_i32_i8 v181, v78, v222
	;; [unrolled: 1-line block ×16, first 2 shown]
	ds_read_b128 v[222:225], v2 offset:7184
	v_add_nc_u32_e32 v2, 32, v2
	s_waitcnt lgkmcnt(0)
	v_dot4c_i32_i8 v183, v229, v222
	v_dot4c_i32_i8 v188, v124, v222
	;; [unrolled: 1-line block ×3, first 2 shown]
	v_and_b32_sdwa v1, v204, v158 dst_sel:DWORD dst_unused:UNUSED_PAD src0_sel:BYTE_1 src1_sel:DWORD
	v_dot4c_i32_i8 v189, v78, v222
	v_dot4c_i32_i8 v183, v230, v223
	;; [unrolled: 1-line block ×7, first 2 shown]
	v_and_b32_e32 v0, 15, v204
	v_dot4c_i32_i8 v9, v235, v222
	v_and_b32_e32 v204, 0xffff, v1
	v_dot4c_i32_i8 v193, v18, v223
	v_dot4c_i32_i8 v189, v94, v223
	v_and_b32_e32 v205, 0xffff, v0
	v_dot4c_i32_i8 v44, v232, v223
	v_dot4c_i32_i8 v38, v233, v223
	;; [unrolled: 1-line block ×4, first 2 shown]
	v_mul_lo_u32 v207, v205, v207
	v_and_b32_e32 v0, 15, v206
	v_dot4c_i32_i8 v193, v69, v224
	v_dot4c_i32_i8 v189, v99, v224
	;; [unrolled: 1-line block ×6, first 2 shown]
	v_mad_u64_u32 v[222:223], null, v204, v226, v[207:208]
	v_mul_lo_u32 v207, v221, v205
	v_dot4c_i32_i8 v9, v235, v224
	v_and_b32_sdwa v1, v206, v158 dst_sel:DWORD dst_unused:UNUSED_PAD src0_sel:BYTE_1 src1_sel:DWORD
	v_dot4c_i32_i8 v193, v74, v225
	v_dot4c_i32_i8 v189, v123, v225
	;; [unrolled: 1-line block ×4, first 2 shown]
	v_and_b32_e32 v206, 0xffff, v1
	v_mad_u64_u32 v[223:224], null, v239, v204, v[207:208]
	v_and_b32_e32 v207, 0xffff, v0
	v_dot4c_i32_i8 v44, v232, v225
	v_dot4c_i32_i8 v38, v233, v225
	;; [unrolled: 1-line block ×4, first 2 shown]
	v_mul_lo_u32 v209, v207, v209
	v_and_b32_e32 v0, 15, v208
	v_and_b32_sdwa v1, v208, v158 dst_sel:DWORD dst_unused:UNUSED_PAD src0_sel:BYTE_1 src1_sel:DWORD
	v_cvt_f32_i32_e32 v224, v222
	v_cvt_f32_i32_e32 v223, v223
	;; [unrolled: 1-line block ×3, first 2 shown]
	v_and_b32_e32 v208, 0xffff, v1
	v_mad_u64_u32 v[225:226], null, v206, v236, v[209:210]
	v_mul_lo_u32 v209, v220, v207
	v_and_b32_sdwa v1, v199, v158 dst_sel:DWORD dst_unused:UNUSED_PAD src0_sel:BYTE_1 src1_sel:DWORD
	v_cvt_f32_i32_e32 v222, v225
	v_mad_u64_u32 v[220:221], null, v240, v206, v[209:210]
	v_and_b32_e32 v209, 0xffff, v0
	v_and_b32_e32 v0, 15, v199
	;; [unrolled: 1-line block ×3, first 2 shown]
	v_mul_lo_u32 v210, v209, v210
	v_cvt_f32_i32_e32 v221, v220
	v_mad_u64_u32 v[226:227], null, v208, v237, v[210:211]
	v_mul_lo_u32 v210, v219, v209
	v_cvt_f32_i32_e32 v220, v226
	v_mad_u64_u32 v[227:228], null, v241, v208, v[210:211]
	v_and_b32_e32 v210, 0xffff, v0
	v_add3_u32 v0, s1, v149, v150
	v_mul_lo_u32 v211, v210, v211
	ds_read_b32 v225, v0
	v_cvt_f32_i32_e32 v0, v216
	v_cvt_f32_i32_e32 v219, v227
	v_mad_u64_u32 v[228:229], null, v199, v238, v[211:212]
	v_mul_lo_u32 v211, v212, v210
	v_mad_u64_u32 v[211:212], null, v242, v199, v[211:212]
	v_cvt_f32_i32_e32 v212, v228
	s_waitcnt lgkmcnt(0)
	v_cvt_f32_f16_sdwa v226, v225 dst_sel:DWORD dst_unused:UNUSED_PAD src0_sel:WORD_1
	v_mul_f32_e32 v0, v226, v0
	v_cvt_f32_i32_e32 v211, v211
	v_mul_f32_e32 v10, v226, v10
	v_fma_mix_f32 v224, v225, v224, -v0 op_sel_hi:[1,0,0]
	v_cvt_f32_i32_e32 v0, v218
	v_mul_f32_e32 v0, v226, v0
	v_fma_mix_f32 v218, v225, v223, -v0 op_sel_hi:[1,0,0]
	v_add3_u32 v0, s1, v151, v152
	ds_read_b32 v216, v0
	v_cvt_f32_i32_e32 v0, v215
	s_waitcnt lgkmcnt(0)
	v_cvt_f32_f16_sdwa v215, v216 dst_sel:DWORD dst_unused:UNUSED_PAD src0_sel:WORD_1
	v_mul_f32_e32 v0, v215, v0
	v_mul_f32_e32 v6, v215, v6
	v_fma_mix_f32 v222, v216, v222, -v0 op_sel_hi:[1,0,0]
	v_cvt_f32_i32_e32 v0, v217
	v_mul_f32_e32 v0, v215, v0
	v_fma_mix_f32 v221, v216, v221, -v0 op_sel_hi:[1,0,0]
	v_add3_u32 v0, s1, v153, v154
	ds_read_b32 v217, v0
	v_cvt_f32_i32_e32 v0, v213
	s_waitcnt lgkmcnt(0)
	v_cvt_f32_f16_sdwa v213, v217 dst_sel:DWORD dst_unused:UNUSED_PAD src0_sel:WORD_1
	v_mul_f32_e32 v0, v213, v0
	v_mul_f32_e32 v5, v213, v5
	v_fma_mix_f32 v220, v217, v220, -v0 op_sel_hi:[1,0,0]
	v_cvt_f32_i32_e32 v0, v214
	v_mul_f32_e32 v0, v213, v0
	v_fma_mix_f32 v219, v217, v219, -v0 op_sel_hi:[1,0,0]
	v_add3_u32 v0, s1, v155, v156
	s_add_i32 s1, s0, 2
	s_cmp_lt_u32 s0, 30
	s_mov_b32 s0, s1
	ds_read_b32 v214, v0
	v_cvt_f32_i32_e32 v0, v7
	v_cvt_f32_i32_e32 v7, v15
	s_waitcnt lgkmcnt(0)
	v_cvt_f32_f16_sdwa v1, v214 dst_sel:DWORD dst_unused:UNUSED_PAD src0_sel:WORD_1
	v_mul_f32_e32 v0, v1, v0
	v_mul_f32_e32 v7, v1, v7
	;; [unrolled: 1-line block ×3, first 2 shown]
	v_fma_mix_f32 v0, v214, v212, -v0 op_sel_hi:[1,0,0]
	v_fma_mix_f32 v7, v214, v211, -v7 op_sel_hi:[1,0,0]
	ds_read2_b32 v[211:212], v3 offset1:32
	s_waitcnt lgkmcnt(0)
	v_fmac_f32_e32 v90, v212, v7
	v_mul_lo_u32 v7, v40, v205
	v_fmac_f32_e32 v112, v211, v224
	v_fmac_f32_e32 v105, v212, v218
	;; [unrolled: 1-line block ×7, first 2 shown]
	v_mad_u64_u32 v[211:212], null, v187, v204, v[7:8]
	v_mul_lo_u32 v7, v172, v205
	v_cvt_f32_i32_e32 v0, v211
	v_mad_u64_u32 v[218:219], null, v198, v204, v[7:8]
	v_mul_lo_u32 v7, v41, v207
	v_fma_mix_f32 v0, v225, v0, -v10 op_sel_hi:[1,0,0]
	v_cvt_f32_i32_e32 v10, v11
	v_mul_f32_e32 v10, v215, v10
	v_mad_u64_u32 v[40:41], null, v184, v206, v[7:8]
	v_mul_lo_u32 v7, v42, v209
	v_cvt_f32_i32_e32 v15, v40
	v_mad_u64_u32 v[41:42], null, v185, v208, v[7:8]
	v_mul_lo_u32 v7, v45, v210
	v_fma_mix_f32 v15, v216, v15, -v10 op_sel_hi:[1,0,0]
	v_cvt_f32_i32_e32 v10, v12
	v_cvt_f32_i32_e32 v18, v41
	v_mul_f32_e32 v10, v213, v10
	v_mad_u64_u32 v[184:185], null, v186, v199, v[7:8]
	v_mul_lo_u32 v7, v170, v207
	v_fma_mix_f32 v12, v217, v18, -v10 op_sel_hi:[1,0,0]
	v_cvt_f32_i32_e32 v10, v13
	v_cvt_f32_i32_e32 v40, v184
	v_mad_u64_u32 v[185:186], null, v195, v206, v[7:8]
	v_mul_lo_u32 v7, v173, v209
	v_mul_f32_e32 v10, v1, v10
	v_fma_mix_f32 v13, v214, v40, -v10 op_sel_hi:[1,0,0]
	v_cvt_f32_i32_e32 v10, v48
	v_mad_u64_u32 v[172:173], null, v196, v208, v[7:8]
	v_mul_lo_u32 v7, v174, v210
	v_cvt_f32_i32_e32 v41, v185
	v_mul_f32_e32 v10, v226, v10
	v_cvt_f32_i32_e32 v42, v172
	v_mad_u64_u32 v[173:174], null, v197, v199, v[7:8]
	v_cvt_f32_i32_e32 v7, v218
	v_fma_mix_f32 v7, v225, v7, -v10 op_sel_hi:[1,0,0]
	v_cvt_f32_i32_e32 v10, v50
	v_cvt_f32_i32_e32 v45, v173
	v_mul_f32_e32 v10, v215, v10
	v_fma_mix_f32 v18, v216, v41, -v10 op_sel_hi:[1,0,0]
	v_cvt_f32_i32_e32 v10, v51
	v_mul_f32_e32 v10, v213, v10
	v_fma_mix_f32 v40, v217, v42, -v10 op_sel_hi:[1,0,0]
	;; [unrolled: 3-line block ×3, first 2 shown]
	ds_read2_b32 v[10:11], v3 offset0:64 offset1:96
	s_waitcnt lgkmcnt(0)
	v_fmac_f32_e32 v73, v11, v7
	v_mul_lo_u32 v7, v160, v205
	v_fmac_f32_e32 v87, v10, v0
	v_fmac_f32_e32 v82, v10, v15
	;; [unrolled: 1-line block ×7, first 2 shown]
	v_mad_u64_u32 v[10:11], null, v194, v204, v[7:8]
	v_mul_lo_u32 v7, v176, v205
	v_cvt_f32_i32_e32 v0, v10
	v_mad_u64_u32 v[11:12], null, v203, v204, v[7:8]
	v_mul_lo_u32 v7, v162, v207
	v_mad_u64_u32 v[12:13], null, v190, v206, v[7:8]
	v_mul_lo_u32 v7, v163, v209
	v_cvt_f32_i32_e32 v10, v12
	v_mad_u64_u32 v[40:41], null, v191, v208, v[7:8]
	v_mul_lo_u32 v7, v164, v210
	;; [unrolled: 5-line block ×3, first 2 shown]
	v_cvt_f32_i32_e32 v13, v50
	v_mad_u64_u32 v[51:52], null, v201, v208, v[7:8]
	v_mul_lo_u32 v7, v178, v210
	v_cvt_f32_i32_e32 v15, v51
	v_mad_u64_u32 v[162:163], null, v202, v199, v[7:8]
	v_cvt_f32_i32_e32 v7, v11
	v_cvt_f32_i32_e32 v11, v40
	;; [unrolled: 1-line block ×4, first 2 shown]
	v_mul_f32_e32 v40, v226, v40
	v_fma_mix_f32 v0, v225, v0, -v40 op_sel_hi:[1,0,0]
	v_cvt_f32_i32_e32 v40, v46
	v_mul_f32_e32 v40, v215, v40
	v_fma_mix_f32 v40, v216, v10, -v40 op_sel_hi:[1,0,0]
	v_cvt_f32_i32_e32 v10, v47
	;; [unrolled: 3-line block ×7, first 2 shown]
	v_mul_f32_e32 v10, v1, v10
	v_mul_f32_e32 v1, v1, v9
	v_fma_mix_f32 v18, v214, v18, -v10 op_sel_hi:[1,0,0]
	ds_read2_b32 v[10:11], v3 offset0:128 offset1:160
	s_waitcnt lgkmcnt(0)
	v_fmac_f32_e32 v64, v11, v7
	v_mul_lo_u32 v7, v39, v205
	v_fmac_f32_e32 v68, v10, v0
	v_fmac_f32_e32 v67, v10, v40
	;; [unrolled: 1-line block ×7, first 2 shown]
	v_mad_u64_u32 v[10:11], null, v182, v204, v[7:8]
	v_mul_lo_u32 v7, v169, v205
	v_cvt_f32_i32_e32 v0, v10
	v_cvt_f32_i32_e32 v10, v44
	v_mad_u64_u32 v[11:12], null, v193, v204, v[7:8]
	v_mul_lo_u32 v7, v37, v207
	v_mul_f32_e32 v10, v226, v10
	v_mad_u64_u32 v[12:13], null, v181, v206, v[7:8]
	v_mul_lo_u32 v7, v165, v207
	v_mad_u64_u32 v[39:40], null, v189, v206, v[7:8]
	v_mul_lo_u32 v7, v17, v209
	;; [unrolled: 2-line block ×5, first 2 shown]
	v_mad_u64_u32 v[16:17], null, v183, v199, v[7:8]
	v_cvt_f32_i32_e32 v8, v8
	v_cvt_f32_i32_e32 v7, v11
	;; [unrolled: 1-line block ×3, first 2 shown]
	v_mul_f32_e32 v8, v226, v8
	v_fma_mix_f32 v7, v225, v7, -v10 op_sel_hi:[1,0,0]
	v_cvt_f32_i32_e32 v10, v39
	v_mul_f32_e32 v11, v215, v11
	v_fma_mix_f32 v0, v225, v0, -v8 op_sel_hi:[1,0,0]
	v_cvt_f32_i32_e32 v8, v12
	v_cvt_f32_i32_e32 v12, v14
	v_fma_mix_f32 v6, v216, v8, -v6 op_sel_hi:[1,0,0]
	v_fma_mix_f32 v8, v216, v10, -v11 op_sel_hi:[1,0,0]
	v_cvt_f32_i32_e32 v10, v40
	v_cvt_f32_i32_e32 v11, v41
	v_mul_f32_e32 v12, v213, v12
	v_fma_mix_f32 v10, v217, v10, -v5 op_sel_hi:[1,0,0]
	v_cvt_f32_i32_e32 v5, v15
	v_fma_mix_f32 v11, v217, v11, -v12 op_sel_hi:[1,0,0]
	v_cvt_f32_i32_e32 v12, v16
	v_fma_mix_f32 v9, v214, v5, -v4 op_sel_hi:[1,0,0]
	ds_read2_b32 v[4:5], v3 offset0:192 offset1:224
	v_fma_mix_f32 v1, v214, v12, -v1 op_sel_hi:[1,0,0]
	v_add_nc_u32_e32 v3, 4, v3
	s_waitcnt lgkmcnt(0)
	v_fmac_f32_e32 v60, v4, v0
	v_fmac_f32_e32 v59, v4, v6
	;; [unrolled: 1-line block ×8, first 2 shown]
	s_cbranch_scc1 .LBB168_14
; %bb.15:                               ;   in Loop: Header=BB168_6 Depth=1
	s_barrier
	buffer_gl0_inv
	s_branch .LBB168_5
.LBB168_16:
	s_clause 0x2
	buffer_load_dword v2, off, s[16:19], 0 offset:44
	buffer_load_dword v18, off, s[16:19], 0 offset:36
	;; [unrolled: 1-line block ×3, first 2 shown]
.LBB168_17:
	s_mov_b32 s0, exec_lo
	s_waitcnt vmcnt(2)
	v_cmpx_gt_u32_e64 s10, v2
	s_cbranch_execz .LBB168_68
; %bb.18:
	s_waitcnt vmcnt(0)
	v_add_nc_u32_e32 v0, s6, v0
	v_mul_lo_u32 v5, v2, s14
	v_cmp_gt_u32_e64 s0, s14, v0
	s_and_saveexec_b32 s1, s0
	s_cbranch_execz .LBB168_20
; %bb.19:
	v_add_nc_u32_e32 v2, v0, v5
	v_mov_b32_e32 v3, 0
	v_bfe_u32 v1, v112, 16, 1
	v_cmp_o_f32_e32 vcc_lo, v112, v112
	v_mov_b32_e32 v4, 0x7fc0
	v_lshlrev_b64 v[2:3], 1, v[2:3]
	v_add3_u32 v1, v112, v1, 0x7fff
	v_cndmask_b32_sdwa v1, v4, v1, vcc_lo dst_sel:DWORD dst_unused:UNUSED_PAD src0_sel:DWORD src1_sel:WORD_1
	s_waitcnt lgkmcnt(0)
	v_add_co_u32 v2, vcc_lo, s12, v2
	v_add_co_ci_u32_e64 v3, null, s13, v3, vcc_lo
	global_store_short v[2:3], v1, off
.LBB168_20:
	s_or_b32 exec_lo, exec_lo, s1
	v_add_nc_u32_e32 v2, 32, v0
	v_cmp_gt_u32_e64 s1, s14, v2
	s_and_saveexec_b32 s2, s1
	s_cbranch_execz .LBB168_22
; %bb.21:
	v_add_nc_u32_e32 v3, v2, v5
	v_mov_b32_e32 v4, 0
	v_bfe_u32 v1, v109, 16, 1
	v_cmp_o_f32_e32 vcc_lo, v109, v109
	v_mov_b32_e32 v6, 0x7fc0
	v_lshlrev_b64 v[3:4], 1, v[3:4]
	v_add3_u32 v1, v109, v1, 0x7fff
	v_cndmask_b32_sdwa v1, v6, v1, vcc_lo dst_sel:DWORD dst_unused:UNUSED_PAD src0_sel:DWORD src1_sel:WORD_1
	s_waitcnt lgkmcnt(0)
	v_add_co_u32 v3, vcc_lo, s12, v3
	v_add_co_ci_u32_e64 v4, null, s13, v4, vcc_lo
	global_store_short v[3:4], v1, off
.LBB168_22:
	s_or_b32 exec_lo, exec_lo, s2
	v_add_nc_u32_e32 v3, 64, v0
	;; [unrolled: 19-line block ×3, first 2 shown]
	v_cmp_gt_u32_e64 s3, s14, v4
	s_and_saveexec_b32 s4, s3
	s_cbranch_execz .LBB168_26
; %bb.25:
	v_add_nc_u32_e32 v5, v4, v5
	v_mov_b32_e32 v6, 0
	v_bfe_u32 v1, v106, 16, 1
	v_cmp_o_f32_e32 vcc_lo, v106, v106
	v_mov_b32_e32 v7, 0x7fc0
	v_lshlrev_b64 v[5:6], 1, v[5:6]
	v_add3_u32 v1, v106, v1, 0x7fff
	v_cndmask_b32_sdwa v1, v7, v1, vcc_lo dst_sel:DWORD dst_unused:UNUSED_PAD src0_sel:DWORD src1_sel:WORD_1
	s_waitcnt lgkmcnt(0)
	v_add_co_u32 v5, vcc_lo, s12, v5
	v_add_co_ci_u32_e64 v6, null, s13, v6, vcc_lo
	global_store_short v[5:6], v1, off
.LBB168_26:
	s_or_b32 exec_lo, exec_lo, s4
	v_add3_u32 v5, v18, s7, 8
	v_cmp_gt_u32_e32 vcc_lo, s10, v5
	s_and_b32 exec_lo, exec_lo, vcc_lo
	s_cbranch_execz .LBB168_68
; %bb.27:
	v_mul_lo_u32 v5, v5, s14
	s_and_saveexec_b32 s4, s0
	s_cbranch_execnz .LBB168_69
; %bb.28:
	s_or_b32 exec_lo, exec_lo, s4
	s_and_saveexec_b32 s4, s1
	s_cbranch_execnz .LBB168_70
.LBB168_29:
	s_or_b32 exec_lo, exec_lo, s4
	s_and_saveexec_b32 s4, s2
	s_cbranch_execnz .LBB168_71
.LBB168_30:
	s_or_b32 exec_lo, exec_lo, s4
	s_and_saveexec_b32 s4, s3
	s_cbranch_execz .LBB168_32
.LBB168_31:
	v_add_nc_u32_e32 v5, v5, v4
	v_mov_b32_e32 v6, 0
	v_bfe_u32 v1, v90, 16, 1
	v_cmp_o_f32_e32 vcc_lo, v90, v90
	v_mov_b32_e32 v7, 0x7fc0
	v_lshlrev_b64 v[5:6], 1, v[5:6]
	v_add3_u32 v1, v90, v1, 0x7fff
	v_cndmask_b32_sdwa v1, v7, v1, vcc_lo dst_sel:DWORD dst_unused:UNUSED_PAD src0_sel:DWORD src1_sel:WORD_1
	s_waitcnt lgkmcnt(0)
	v_add_co_u32 v5, vcc_lo, s12, v5
	v_add_co_ci_u32_e64 v6, null, s13, v6, vcc_lo
	global_store_short v[5:6], v1, off
.LBB168_32:
	s_or_b32 exec_lo, exec_lo, s4
	v_add3_u32 v5, v18, s7, 16
	v_cmp_gt_u32_e32 vcc_lo, s10, v5
	s_and_b32 exec_lo, exec_lo, vcc_lo
	s_cbranch_execz .LBB168_68
; %bb.33:
	v_mul_lo_u32 v5, v5, s14
	s_and_saveexec_b32 s4, s0
	s_cbranch_execnz .LBB168_72
; %bb.34:
	s_or_b32 exec_lo, exec_lo, s4
	s_and_saveexec_b32 s4, s1
	s_cbranch_execnz .LBB168_73
.LBB168_35:
	s_or_b32 exec_lo, exec_lo, s4
	s_and_saveexec_b32 s4, s2
	s_cbranch_execnz .LBB168_74
.LBB168_36:
	s_or_b32 exec_lo, exec_lo, s4
	s_and_saveexec_b32 s4, s3
	s_cbranch_execz .LBB168_38
.LBB168_37:
	v_add_nc_u32_e32 v5, v5, v4
	v_mov_b32_e32 v6, 0
	v_bfe_u32 v1, v75, 16, 1
	v_cmp_o_f32_e32 vcc_lo, v75, v75
	v_mov_b32_e32 v7, 0x7fc0
	v_lshlrev_b64 v[5:6], 1, v[5:6]
	v_add3_u32 v1, v75, v1, 0x7fff
	v_cndmask_b32_sdwa v1, v7, v1, vcc_lo dst_sel:DWORD dst_unused:UNUSED_PAD src0_sel:DWORD src1_sel:WORD_1
	s_waitcnt lgkmcnt(0)
	v_add_co_u32 v5, vcc_lo, s12, v5
	v_add_co_ci_u32_e64 v6, null, s13, v6, vcc_lo
	global_store_short v[5:6], v1, off
.LBB168_38:
	s_or_b32 exec_lo, exec_lo, s4
	v_add3_u32 v5, v18, s7, 24
	v_cmp_gt_u32_e32 vcc_lo, s10, v5
	s_and_b32 exec_lo, exec_lo, vcc_lo
	s_cbranch_execz .LBB168_68
; %bb.39:
	v_mul_lo_u32 v5, v5, s14
	s_and_saveexec_b32 s4, s0
	s_cbranch_execnz .LBB168_75
; %bb.40:
	s_or_b32 exec_lo, exec_lo, s4
	s_and_saveexec_b32 s4, s1
	s_cbranch_execnz .LBB168_76
.LBB168_41:
	s_or_b32 exec_lo, exec_lo, s4
	s_and_saveexec_b32 s4, s2
	s_cbranch_execnz .LBB168_77
.LBB168_42:
	s_or_b32 exec_lo, exec_lo, s4
	s_and_saveexec_b32 s4, s3
	s_cbranch_execz .LBB168_44
.LBB168_43:
	v_add_nc_u32_e32 v5, v5, v4
	v_mov_b32_e32 v6, 0
	v_bfe_u32 v1, v70, 16, 1
	v_cmp_o_f32_e32 vcc_lo, v70, v70
	v_mov_b32_e32 v7, 0x7fc0
	v_lshlrev_b64 v[5:6], 1, v[5:6]
	v_add3_u32 v1, v70, v1, 0x7fff
	v_cndmask_b32_sdwa v1, v7, v1, vcc_lo dst_sel:DWORD dst_unused:UNUSED_PAD src0_sel:DWORD src1_sel:WORD_1
	s_waitcnt lgkmcnt(0)
	v_add_co_u32 v5, vcc_lo, s12, v5
	v_add_co_ci_u32_e64 v6, null, s13, v6, vcc_lo
	global_store_short v[5:6], v1, off
.LBB168_44:
	s_or_b32 exec_lo, exec_lo, s4
	v_add3_u32 v5, v18, s7, 32
	v_cmp_gt_u32_e32 vcc_lo, s10, v5
	s_and_b32 exec_lo, exec_lo, vcc_lo
	s_cbranch_execz .LBB168_68
; %bb.45:
	v_mul_lo_u32 v5, v5, s14
	s_and_saveexec_b32 s4, s0
	s_cbranch_execnz .LBB168_78
; %bb.46:
	s_or_b32 exec_lo, exec_lo, s4
	s_and_saveexec_b32 s4, s1
	s_cbranch_execnz .LBB168_79
.LBB168_47:
	s_or_b32 exec_lo, exec_lo, s4
	s_and_saveexec_b32 s4, s2
	s_cbranch_execnz .LBB168_80
.LBB168_48:
	s_or_b32 exec_lo, exec_lo, s4
	s_and_saveexec_b32 s4, s3
	s_cbranch_execz .LBB168_50
.LBB168_49:
	v_add_nc_u32_e32 v5, v5, v4
	v_mov_b32_e32 v6, 0
	v_bfe_u32 v1, v65, 16, 1
	v_cmp_o_f32_e32 vcc_lo, v65, v65
	v_mov_b32_e32 v7, 0x7fc0
	v_lshlrev_b64 v[5:6], 1, v[5:6]
	v_add3_u32 v1, v65, v1, 0x7fff
	v_cndmask_b32_sdwa v1, v7, v1, vcc_lo dst_sel:DWORD dst_unused:UNUSED_PAD src0_sel:DWORD src1_sel:WORD_1
	s_waitcnt lgkmcnt(0)
	v_add_co_u32 v5, vcc_lo, s12, v5
	v_add_co_ci_u32_e64 v6, null, s13, v6, vcc_lo
	global_store_short v[5:6], v1, off
.LBB168_50:
	s_or_b32 exec_lo, exec_lo, s4
	v_add3_u32 v5, v18, s7, 40
	v_cmp_gt_u32_e32 vcc_lo, s10, v5
	s_and_b32 exec_lo, exec_lo, vcc_lo
	s_cbranch_execz .LBB168_68
; %bb.51:
	v_mul_lo_u32 v5, v5, s14
	s_and_saveexec_b32 s4, s0
	s_cbranch_execnz .LBB168_81
; %bb.52:
	s_or_b32 exec_lo, exec_lo, s4
	s_and_saveexec_b32 s4, s1
	s_cbranch_execnz .LBB168_82
.LBB168_53:
	s_or_b32 exec_lo, exec_lo, s4
	s_and_saveexec_b32 s4, s2
	s_cbranch_execnz .LBB168_83
.LBB168_54:
	s_or_b32 exec_lo, exec_lo, s4
	s_and_saveexec_b32 s4, s3
	s_cbranch_execz .LBB168_56
.LBB168_55:
	v_add_nc_u32_e32 v5, v5, v4
	v_mov_b32_e32 v6, 0
	v_bfe_u32 v1, v61, 16, 1
	v_cmp_o_f32_e32 vcc_lo, v61, v61
	v_mov_b32_e32 v7, 0x7fc0
	v_lshlrev_b64 v[5:6], 1, v[5:6]
	v_add3_u32 v1, v61, v1, 0x7fff
	v_cndmask_b32_sdwa v1, v7, v1, vcc_lo dst_sel:DWORD dst_unused:UNUSED_PAD src0_sel:DWORD src1_sel:WORD_1
	s_waitcnt lgkmcnt(0)
	v_add_co_u32 v5, vcc_lo, s12, v5
	v_add_co_ci_u32_e64 v6, null, s13, v6, vcc_lo
	global_store_short v[5:6], v1, off
.LBB168_56:
	s_or_b32 exec_lo, exec_lo, s4
	v_add3_u32 v5, v18, s7, 48
	v_cmp_gt_u32_e32 vcc_lo, s10, v5
	s_and_b32 exec_lo, exec_lo, vcc_lo
	s_cbranch_execz .LBB168_68
; %bb.57:
	v_mul_lo_u32 v5, v5, s14
	s_and_saveexec_b32 s4, s0
	s_cbranch_execnz .LBB168_84
; %bb.58:
	s_or_b32 exec_lo, exec_lo, s4
	s_and_saveexec_b32 s4, s1
	s_cbranch_execnz .LBB168_85
.LBB168_59:
	s_or_b32 exec_lo, exec_lo, s4
	s_and_saveexec_b32 s4, s2
	s_cbranch_execnz .LBB168_86
.LBB168_60:
	s_or_b32 exec_lo, exec_lo, s4
	s_and_saveexec_b32 s4, s3
	s_cbranch_execz .LBB168_62
.LBB168_61:
	v_add_nc_u32_e32 v5, v5, v4
	v_mov_b32_e32 v6, 0
	v_bfe_u32 v1, v57, 16, 1
	v_cmp_o_f32_e32 vcc_lo, v57, v57
	v_mov_b32_e32 v7, 0x7fc0
	v_lshlrev_b64 v[5:6], 1, v[5:6]
	v_add3_u32 v1, v57, v1, 0x7fff
	v_cndmask_b32_sdwa v1, v7, v1, vcc_lo dst_sel:DWORD dst_unused:UNUSED_PAD src0_sel:DWORD src1_sel:WORD_1
	s_waitcnt lgkmcnt(0)
	v_add_co_u32 v5, vcc_lo, s12, v5
	v_add_co_ci_u32_e64 v6, null, s13, v6, vcc_lo
	global_store_short v[5:6], v1, off
.LBB168_62:
	s_or_b32 exec_lo, exec_lo, s4
	v_add3_u32 v1, v18, s7, 56
	v_cmp_gt_u32_e32 vcc_lo, s10, v1
	s_and_b32 exec_lo, exec_lo, vcc_lo
	s_cbranch_execz .LBB168_68
; %bb.63:
	v_mul_lo_u32 v1, v1, s14
	s_and_saveexec_b32 s4, s0
	s_cbranch_execnz .LBB168_87
; %bb.64:
	s_or_b32 exec_lo, exec_lo, s4
	s_and_saveexec_b32 s0, s1
	s_cbranch_execnz .LBB168_88
.LBB168_65:
	s_or_b32 exec_lo, exec_lo, s0
	s_and_saveexec_b32 s0, s2
	s_cbranch_execnz .LBB168_89
.LBB168_66:
	s_or_b32 exec_lo, exec_lo, s0
	s_and_b32 exec_lo, exec_lo, s3
	s_cbranch_execz .LBB168_68
.LBB168_67:
	v_add_nc_u32_e32 v0, v1, v4
	v_mov_b32_e32 v1, 0
	v_bfe_u32 v2, v53, 16, 1
	v_cmp_o_f32_e32 vcc_lo, v53, v53
	v_mov_b32_e32 v3, 0x7fc0
	v_lshlrev_b64 v[0:1], 1, v[0:1]
	v_add3_u32 v2, v53, v2, 0x7fff
	v_cndmask_b32_sdwa v2, v3, v2, vcc_lo dst_sel:DWORD dst_unused:UNUSED_PAD src0_sel:DWORD src1_sel:WORD_1
	s_waitcnt lgkmcnt(0)
	v_add_co_u32 v0, vcc_lo, s12, v0
	v_add_co_ci_u32_e64 v1, null, s13, v1, vcc_lo
	global_store_short v[0:1], v2, off
.LBB168_68:
	s_endpgm
.LBB168_69:
	v_add_nc_u32_e32 v6, v5, v0
	v_mov_b32_e32 v7, 0
	v_bfe_u32 v1, v105, 16, 1
	v_cmp_o_f32_e32 vcc_lo, v105, v105
	v_mov_b32_e32 v8, 0x7fc0
	v_lshlrev_b64 v[6:7], 1, v[6:7]
	v_add3_u32 v1, v105, v1, 0x7fff
	v_cndmask_b32_sdwa v1, v8, v1, vcc_lo dst_sel:DWORD dst_unused:UNUSED_PAD src0_sel:DWORD src1_sel:WORD_1
	s_waitcnt lgkmcnt(0)
	v_add_co_u32 v6, vcc_lo, s12, v6
	v_add_co_ci_u32_e64 v7, null, s13, v7, vcc_lo
	global_store_short v[6:7], v1, off
	s_or_b32 exec_lo, exec_lo, s4
	s_and_saveexec_b32 s4, s1
	s_cbranch_execz .LBB168_29
.LBB168_70:
	v_add_nc_u32_e32 v6, v5, v2
	v_mov_b32_e32 v7, 0
	v_bfe_u32 v1, v101, 16, 1
	v_cmp_o_f32_e32 vcc_lo, v101, v101
	v_mov_b32_e32 v8, 0x7fc0
	v_lshlrev_b64 v[6:7], 1, v[6:7]
	v_add3_u32 v1, v101, v1, 0x7fff
	v_cndmask_b32_sdwa v1, v8, v1, vcc_lo dst_sel:DWORD dst_unused:UNUSED_PAD src0_sel:DWORD src1_sel:WORD_1
	s_waitcnt lgkmcnt(0)
	v_add_co_u32 v6, vcc_lo, s12, v6
	v_add_co_ci_u32_e64 v7, null, s13, v7, vcc_lo
	global_store_short v[6:7], v1, off
	s_or_b32 exec_lo, exec_lo, s4
	s_and_saveexec_b32 s4, s2
	s_cbranch_execz .LBB168_30
.LBB168_71:
	v_add_nc_u32_e32 v6, v5, v3
	v_mov_b32_e32 v7, 0
	v_bfe_u32 v1, v95, 16, 1
	v_cmp_o_f32_e32 vcc_lo, v95, v95
	v_mov_b32_e32 v8, 0x7fc0
	v_lshlrev_b64 v[6:7], 1, v[6:7]
	v_add3_u32 v1, v95, v1, 0x7fff
	v_cndmask_b32_sdwa v1, v8, v1, vcc_lo dst_sel:DWORD dst_unused:UNUSED_PAD src0_sel:DWORD src1_sel:WORD_1
	s_waitcnt lgkmcnt(0)
	v_add_co_u32 v6, vcc_lo, s12, v6
	v_add_co_ci_u32_e64 v7, null, s13, v7, vcc_lo
	global_store_short v[6:7], v1, off
	s_or_b32 exec_lo, exec_lo, s4
	s_and_saveexec_b32 s4, s3
	s_cbranch_execnz .LBB168_31
	s_branch .LBB168_32
.LBB168_72:
	v_add_nc_u32_e32 v6, v5, v0
	v_mov_b32_e32 v7, 0
	v_bfe_u32 v1, v87, 16, 1
	v_cmp_o_f32_e32 vcc_lo, v87, v87
	v_mov_b32_e32 v8, 0x7fc0
	v_lshlrev_b64 v[6:7], 1, v[6:7]
	v_add3_u32 v1, v87, v1, 0x7fff
	v_cndmask_b32_sdwa v1, v8, v1, vcc_lo dst_sel:DWORD dst_unused:UNUSED_PAD src0_sel:DWORD src1_sel:WORD_1
	s_waitcnt lgkmcnt(0)
	v_add_co_u32 v6, vcc_lo, s12, v6
	v_add_co_ci_u32_e64 v7, null, s13, v7, vcc_lo
	global_store_short v[6:7], v1, off
	s_or_b32 exec_lo, exec_lo, s4
	s_and_saveexec_b32 s4, s1
	s_cbranch_execz .LBB168_35
.LBB168_73:
	v_add_nc_u32_e32 v6, v5, v2
	v_mov_b32_e32 v7, 0
	v_bfe_u32 v1, v82, 16, 1
	v_cmp_o_f32_e32 vcc_lo, v82, v82
	v_mov_b32_e32 v8, 0x7fc0
	v_lshlrev_b64 v[6:7], 1, v[6:7]
	v_add3_u32 v1, v82, v1, 0x7fff
	v_cndmask_b32_sdwa v1, v8, v1, vcc_lo dst_sel:DWORD dst_unused:UNUSED_PAD src0_sel:DWORD src1_sel:WORD_1
	s_waitcnt lgkmcnt(0)
	v_add_co_u32 v6, vcc_lo, s12, v6
	v_add_co_ci_u32_e64 v7, null, s13, v7, vcc_lo
	global_store_short v[6:7], v1, off
	s_or_b32 exec_lo, exec_lo, s4
	s_and_saveexec_b32 s4, s2
	s_cbranch_execz .LBB168_36
.LBB168_74:
	v_add_nc_u32_e32 v6, v5, v3
	v_mov_b32_e32 v7, 0
	v_bfe_u32 v1, v76, 16, 1
	v_cmp_o_f32_e32 vcc_lo, v76, v76
	v_mov_b32_e32 v8, 0x7fc0
	v_lshlrev_b64 v[6:7], 1, v[6:7]
	v_add3_u32 v1, v76, v1, 0x7fff
	v_cndmask_b32_sdwa v1, v8, v1, vcc_lo dst_sel:DWORD dst_unused:UNUSED_PAD src0_sel:DWORD src1_sel:WORD_1
	s_waitcnt lgkmcnt(0)
	v_add_co_u32 v6, vcc_lo, s12, v6
	v_add_co_ci_u32_e64 v7, null, s13, v7, vcc_lo
	global_store_short v[6:7], v1, off
	s_or_b32 exec_lo, exec_lo, s4
	s_and_saveexec_b32 s4, s3
	s_cbranch_execnz .LBB168_37
	s_branch .LBB168_38
.LBB168_75:
	v_add_nc_u32_e32 v6, v5, v0
	v_mov_b32_e32 v7, 0
	v_bfe_u32 v1, v73, 16, 1
	v_cmp_o_f32_e32 vcc_lo, v73, v73
	v_mov_b32_e32 v8, 0x7fc0
	v_lshlrev_b64 v[6:7], 1, v[6:7]
	v_add3_u32 v1, v73, v1, 0x7fff
	v_cndmask_b32_sdwa v1, v8, v1, vcc_lo dst_sel:DWORD dst_unused:UNUSED_PAD src0_sel:DWORD src1_sel:WORD_1
	s_waitcnt lgkmcnt(0)
	v_add_co_u32 v6, vcc_lo, s12, v6
	v_add_co_ci_u32_e64 v7, null, s13, v7, vcc_lo
	global_store_short v[6:7], v1, off
	s_or_b32 exec_lo, exec_lo, s4
	s_and_saveexec_b32 s4, s1
	s_cbranch_execz .LBB168_41
.LBB168_76:
	v_add_nc_u32_e32 v6, v5, v2
	v_mov_b32_e32 v7, 0
	v_bfe_u32 v1, v72, 16, 1
	v_cmp_o_f32_e32 vcc_lo, v72, v72
	v_mov_b32_e32 v8, 0x7fc0
	v_lshlrev_b64 v[6:7], 1, v[6:7]
	v_add3_u32 v1, v72, v1, 0x7fff
	v_cndmask_b32_sdwa v1, v8, v1, vcc_lo dst_sel:DWORD dst_unused:UNUSED_PAD src0_sel:DWORD src1_sel:WORD_1
	s_waitcnt lgkmcnt(0)
	v_add_co_u32 v6, vcc_lo, s12, v6
	v_add_co_ci_u32_e64 v7, null, s13, v7, vcc_lo
	global_store_short v[6:7], v1, off
	s_or_b32 exec_lo, exec_lo, s4
	s_and_saveexec_b32 s4, s2
	s_cbranch_execz .LBB168_42
.LBB168_77:
	v_add_nc_u32_e32 v6, v5, v3
	v_mov_b32_e32 v7, 0
	v_bfe_u32 v1, v71, 16, 1
	v_cmp_o_f32_e32 vcc_lo, v71, v71
	v_mov_b32_e32 v8, 0x7fc0
	v_lshlrev_b64 v[6:7], 1, v[6:7]
	v_add3_u32 v1, v71, v1, 0x7fff
	v_cndmask_b32_sdwa v1, v8, v1, vcc_lo dst_sel:DWORD dst_unused:UNUSED_PAD src0_sel:DWORD src1_sel:WORD_1
	s_waitcnt lgkmcnt(0)
	v_add_co_u32 v6, vcc_lo, s12, v6
	v_add_co_ci_u32_e64 v7, null, s13, v7, vcc_lo
	global_store_short v[6:7], v1, off
	s_or_b32 exec_lo, exec_lo, s4
	s_and_saveexec_b32 s4, s3
	s_cbranch_execnz .LBB168_43
	s_branch .LBB168_44
.LBB168_78:
	v_add_nc_u32_e32 v6, v5, v0
	v_mov_b32_e32 v7, 0
	v_bfe_u32 v1, v68, 16, 1
	v_cmp_o_f32_e32 vcc_lo, v68, v68
	v_mov_b32_e32 v8, 0x7fc0
	v_lshlrev_b64 v[6:7], 1, v[6:7]
	v_add3_u32 v1, v68, v1, 0x7fff
	v_cndmask_b32_sdwa v1, v8, v1, vcc_lo dst_sel:DWORD dst_unused:UNUSED_PAD src0_sel:DWORD src1_sel:WORD_1
	s_waitcnt lgkmcnt(0)
	v_add_co_u32 v6, vcc_lo, s12, v6
	v_add_co_ci_u32_e64 v7, null, s13, v7, vcc_lo
	global_store_short v[6:7], v1, off
	s_or_b32 exec_lo, exec_lo, s4
	s_and_saveexec_b32 s4, s1
	s_cbranch_execz .LBB168_47
.LBB168_79:
	v_add_nc_u32_e32 v6, v5, v2
	v_mov_b32_e32 v7, 0
	v_bfe_u32 v1, v67, 16, 1
	v_cmp_o_f32_e32 vcc_lo, v67, v67
	v_mov_b32_e32 v8, 0x7fc0
	v_lshlrev_b64 v[6:7], 1, v[6:7]
	v_add3_u32 v1, v67, v1, 0x7fff
	v_cndmask_b32_sdwa v1, v8, v1, vcc_lo dst_sel:DWORD dst_unused:UNUSED_PAD src0_sel:DWORD src1_sel:WORD_1
	s_waitcnt lgkmcnt(0)
	v_add_co_u32 v6, vcc_lo, s12, v6
	v_add_co_ci_u32_e64 v7, null, s13, v7, vcc_lo
	global_store_short v[6:7], v1, off
	s_or_b32 exec_lo, exec_lo, s4
	s_and_saveexec_b32 s4, s2
	s_cbranch_execz .LBB168_48
.LBB168_80:
	v_add_nc_u32_e32 v6, v5, v3
	v_mov_b32_e32 v7, 0
	v_bfe_u32 v1, v66, 16, 1
	v_cmp_o_f32_e32 vcc_lo, v66, v66
	v_mov_b32_e32 v8, 0x7fc0
	v_lshlrev_b64 v[6:7], 1, v[6:7]
	v_add3_u32 v1, v66, v1, 0x7fff
	v_cndmask_b32_sdwa v1, v8, v1, vcc_lo dst_sel:DWORD dst_unused:UNUSED_PAD src0_sel:DWORD src1_sel:WORD_1
	s_waitcnt lgkmcnt(0)
	v_add_co_u32 v6, vcc_lo, s12, v6
	v_add_co_ci_u32_e64 v7, null, s13, v7, vcc_lo
	global_store_short v[6:7], v1, off
	s_or_b32 exec_lo, exec_lo, s4
	s_and_saveexec_b32 s4, s3
	s_cbranch_execnz .LBB168_49
	s_branch .LBB168_50
.LBB168_81:
	v_add_nc_u32_e32 v6, v5, v0
	v_mov_b32_e32 v7, 0
	v_bfe_u32 v1, v64, 16, 1
	v_cmp_o_f32_e32 vcc_lo, v64, v64
	v_mov_b32_e32 v8, 0x7fc0
	v_lshlrev_b64 v[6:7], 1, v[6:7]
	v_add3_u32 v1, v64, v1, 0x7fff
	v_cndmask_b32_sdwa v1, v8, v1, vcc_lo dst_sel:DWORD dst_unused:UNUSED_PAD src0_sel:DWORD src1_sel:WORD_1
	s_waitcnt lgkmcnt(0)
	v_add_co_u32 v6, vcc_lo, s12, v6
	v_add_co_ci_u32_e64 v7, null, s13, v7, vcc_lo
	global_store_short v[6:7], v1, off
	s_or_b32 exec_lo, exec_lo, s4
	s_and_saveexec_b32 s4, s1
	s_cbranch_execz .LBB168_53
.LBB168_82:
	v_add_nc_u32_e32 v6, v5, v2
	v_mov_b32_e32 v7, 0
	v_bfe_u32 v1, v63, 16, 1
	v_cmp_o_f32_e32 vcc_lo, v63, v63
	v_mov_b32_e32 v8, 0x7fc0
	v_lshlrev_b64 v[6:7], 1, v[6:7]
	v_add3_u32 v1, v63, v1, 0x7fff
	v_cndmask_b32_sdwa v1, v8, v1, vcc_lo dst_sel:DWORD dst_unused:UNUSED_PAD src0_sel:DWORD src1_sel:WORD_1
	s_waitcnt lgkmcnt(0)
	v_add_co_u32 v6, vcc_lo, s12, v6
	v_add_co_ci_u32_e64 v7, null, s13, v7, vcc_lo
	global_store_short v[6:7], v1, off
	s_or_b32 exec_lo, exec_lo, s4
	s_and_saveexec_b32 s4, s2
	s_cbranch_execz .LBB168_54
.LBB168_83:
	v_add_nc_u32_e32 v6, v5, v3
	v_mov_b32_e32 v7, 0
	v_bfe_u32 v1, v62, 16, 1
	v_cmp_o_f32_e32 vcc_lo, v62, v62
	v_mov_b32_e32 v8, 0x7fc0
	v_lshlrev_b64 v[6:7], 1, v[6:7]
	v_add3_u32 v1, v62, v1, 0x7fff
	v_cndmask_b32_sdwa v1, v8, v1, vcc_lo dst_sel:DWORD dst_unused:UNUSED_PAD src0_sel:DWORD src1_sel:WORD_1
	s_waitcnt lgkmcnt(0)
	v_add_co_u32 v6, vcc_lo, s12, v6
	v_add_co_ci_u32_e64 v7, null, s13, v7, vcc_lo
	global_store_short v[6:7], v1, off
	s_or_b32 exec_lo, exec_lo, s4
	s_and_saveexec_b32 s4, s3
	s_cbranch_execnz .LBB168_55
	s_branch .LBB168_56
.LBB168_84:
	v_add_nc_u32_e32 v6, v5, v0
	v_mov_b32_e32 v7, 0
	v_bfe_u32 v1, v60, 16, 1
	v_cmp_o_f32_e32 vcc_lo, v60, v60
	v_mov_b32_e32 v8, 0x7fc0
	v_lshlrev_b64 v[6:7], 1, v[6:7]
	v_add3_u32 v1, v60, v1, 0x7fff
	v_cndmask_b32_sdwa v1, v8, v1, vcc_lo dst_sel:DWORD dst_unused:UNUSED_PAD src0_sel:DWORD src1_sel:WORD_1
	s_waitcnt lgkmcnt(0)
	v_add_co_u32 v6, vcc_lo, s12, v6
	v_add_co_ci_u32_e64 v7, null, s13, v7, vcc_lo
	global_store_short v[6:7], v1, off
	s_or_b32 exec_lo, exec_lo, s4
	s_and_saveexec_b32 s4, s1
	s_cbranch_execz .LBB168_59
.LBB168_85:
	v_add_nc_u32_e32 v6, v5, v2
	v_mov_b32_e32 v7, 0
	v_bfe_u32 v1, v59, 16, 1
	v_cmp_o_f32_e32 vcc_lo, v59, v59
	v_mov_b32_e32 v8, 0x7fc0
	v_lshlrev_b64 v[6:7], 1, v[6:7]
	v_add3_u32 v1, v59, v1, 0x7fff
	v_cndmask_b32_sdwa v1, v8, v1, vcc_lo dst_sel:DWORD dst_unused:UNUSED_PAD src0_sel:DWORD src1_sel:WORD_1
	s_waitcnt lgkmcnt(0)
	v_add_co_u32 v6, vcc_lo, s12, v6
	v_add_co_ci_u32_e64 v7, null, s13, v7, vcc_lo
	global_store_short v[6:7], v1, off
	s_or_b32 exec_lo, exec_lo, s4
	s_and_saveexec_b32 s4, s2
	s_cbranch_execz .LBB168_60
.LBB168_86:
	v_add_nc_u32_e32 v6, v5, v3
	v_mov_b32_e32 v7, 0
	v_bfe_u32 v1, v58, 16, 1
	v_cmp_o_f32_e32 vcc_lo, v58, v58
	v_mov_b32_e32 v8, 0x7fc0
	v_lshlrev_b64 v[6:7], 1, v[6:7]
	v_add3_u32 v1, v58, v1, 0x7fff
	v_cndmask_b32_sdwa v1, v8, v1, vcc_lo dst_sel:DWORD dst_unused:UNUSED_PAD src0_sel:DWORD src1_sel:WORD_1
	s_waitcnt lgkmcnt(0)
	v_add_co_u32 v6, vcc_lo, s12, v6
	v_add_co_ci_u32_e64 v7, null, s13, v7, vcc_lo
	global_store_short v[6:7], v1, off
	s_or_b32 exec_lo, exec_lo, s4
	s_and_saveexec_b32 s4, s3
	s_cbranch_execnz .LBB168_61
	s_branch .LBB168_62
.LBB168_87:
	v_add_nc_u32_e32 v5, v1, v0
	v_mov_b32_e32 v6, 0
	v_bfe_u32 v7, v56, 16, 1
	v_cmp_o_f32_e32 vcc_lo, v56, v56
	v_mov_b32_e32 v0, 0x7fc0
	v_lshlrev_b64 v[5:6], 1, v[5:6]
	v_add3_u32 v7, v56, v7, 0x7fff
	v_cndmask_b32_sdwa v0, v0, v7, vcc_lo dst_sel:DWORD dst_unused:UNUSED_PAD src0_sel:DWORD src1_sel:WORD_1
	s_waitcnt lgkmcnt(0)
	v_add_co_u32 v5, vcc_lo, s12, v5
	v_add_co_ci_u32_e64 v6, null, s13, v6, vcc_lo
	global_store_short v[5:6], v0, off
	s_or_b32 exec_lo, exec_lo, s4
	s_and_saveexec_b32 s0, s1
	s_cbranch_execz .LBB168_65
.LBB168_88:
	v_add_nc_u32_e32 v5, v1, v2
	v_mov_b32_e32 v6, 0
	v_bfe_u32 v0, v55, 16, 1
	v_cmp_o_f32_e32 vcc_lo, v55, v55
	v_mov_b32_e32 v2, 0x7fc0
	v_lshlrev_b64 v[5:6], 1, v[5:6]
	v_add3_u32 v0, v55, v0, 0x7fff
	v_cndmask_b32_sdwa v0, v2, v0, vcc_lo dst_sel:DWORD dst_unused:UNUSED_PAD src0_sel:DWORD src1_sel:WORD_1
	s_waitcnt lgkmcnt(0)
	v_add_co_u32 v5, vcc_lo, s12, v5
	v_add_co_ci_u32_e64 v6, null, s13, v6, vcc_lo
	global_store_short v[5:6], v0, off
	s_or_b32 exec_lo, exec_lo, s0
	s_and_saveexec_b32 s0, s2
	s_cbranch_execz .LBB168_66
.LBB168_89:
	v_add_nc_u32_e32 v2, v1, v3
	v_mov_b32_e32 v3, 0
	v_bfe_u32 v0, v54, 16, 1
	v_cmp_o_f32_e32 vcc_lo, v54, v54
	v_mov_b32_e32 v5, 0x7fc0
	v_lshlrev_b64 v[2:3], 1, v[2:3]
	v_add3_u32 v0, v54, v0, 0x7fff
	v_cndmask_b32_sdwa v0, v5, v0, vcc_lo dst_sel:DWORD dst_unused:UNUSED_PAD src0_sel:DWORD src1_sel:WORD_1
	s_waitcnt lgkmcnt(0)
	v_add_co_u32 v2, vcc_lo, s12, v2
	v_add_co_ci_u32_e64 v3, null, s13, v3, vcc_lo
	global_store_short v[2:3], v0, off
	s_or_b32 exec_lo, exec_lo, s0
	s_and_b32 exec_lo, exec_lo, s3
	s_cbranch_execnz .LBB168_67
	s_branch .LBB168_68
	.section	.rodata,"a",@progbits
	.p2align	6, 0x0
	.amdhsa_kernel _ZL12mul_mat_q2_KIN3c108BFloat16ELb1EEvPKvS3_PT_iiiii
		.amdhsa_group_segment_fixed_size 31392
		.amdhsa_private_segment_fixed_size 52
		.amdhsa_kernarg_size 44
		.amdhsa_user_sgpr_count 6
		.amdhsa_user_sgpr_private_segment_buffer 1
		.amdhsa_user_sgpr_dispatch_ptr 0
		.amdhsa_user_sgpr_queue_ptr 0
		.amdhsa_user_sgpr_kernarg_segment_ptr 1
		.amdhsa_user_sgpr_dispatch_id 0
		.amdhsa_user_sgpr_flat_scratch_init 0
		.amdhsa_user_sgpr_private_segment_size 0
		.amdhsa_wavefront_size32 1
		.amdhsa_uses_dynamic_stack 0
		.amdhsa_system_sgpr_private_segment_wavefront_offset 1
		.amdhsa_system_sgpr_workgroup_id_x 1
		.amdhsa_system_sgpr_workgroup_id_y 1
		.amdhsa_system_sgpr_workgroup_id_z 0
		.amdhsa_system_sgpr_workgroup_info 0
		.amdhsa_system_vgpr_workitem_id 1
		.amdhsa_next_free_vgpr 256
		.amdhsa_next_free_sgpr 20
		.amdhsa_reserve_vcc 1
		.amdhsa_reserve_flat_scratch 0
		.amdhsa_float_round_mode_32 0
		.amdhsa_float_round_mode_16_64 0
		.amdhsa_float_denorm_mode_32 3
		.amdhsa_float_denorm_mode_16_64 3
		.amdhsa_dx10_clamp 1
		.amdhsa_ieee_mode 1
		.amdhsa_fp16_overflow 0
		.amdhsa_workgroup_processor_mode 1
		.amdhsa_memory_ordered 1
		.amdhsa_forward_progress 1
		.amdhsa_shared_vgpr_count 0
		.amdhsa_exception_fp_ieee_invalid_op 0
		.amdhsa_exception_fp_denorm_src 0
		.amdhsa_exception_fp_ieee_div_zero 0
		.amdhsa_exception_fp_ieee_overflow 0
		.amdhsa_exception_fp_ieee_underflow 0
		.amdhsa_exception_fp_ieee_inexact 0
		.amdhsa_exception_int_div_zero 0
	.end_amdhsa_kernel
	.section	.text._ZL12mul_mat_q2_KIN3c108BFloat16ELb1EEvPKvS3_PT_iiiii,"axG",@progbits,_ZL12mul_mat_q2_KIN3c108BFloat16ELb1EEvPKvS3_PT_iiiii,comdat
.Lfunc_end168:
	.size	_ZL12mul_mat_q2_KIN3c108BFloat16ELb1EEvPKvS3_PT_iiiii, .Lfunc_end168-_ZL12mul_mat_q2_KIN3c108BFloat16ELb1EEvPKvS3_PT_iiiii
                                        ; -- End function
	.set _ZL12mul_mat_q2_KIN3c108BFloat16ELb1EEvPKvS3_PT_iiiii.num_vgpr, 256
	.set _ZL12mul_mat_q2_KIN3c108BFloat16ELb1EEvPKvS3_PT_iiiii.num_agpr, 0
	.set _ZL12mul_mat_q2_KIN3c108BFloat16ELb1EEvPKvS3_PT_iiiii.numbered_sgpr, 20
	.set _ZL12mul_mat_q2_KIN3c108BFloat16ELb1EEvPKvS3_PT_iiiii.num_named_barrier, 0
	.set _ZL12mul_mat_q2_KIN3c108BFloat16ELb1EEvPKvS3_PT_iiiii.private_seg_size, 52
	.set _ZL12mul_mat_q2_KIN3c108BFloat16ELb1EEvPKvS3_PT_iiiii.uses_vcc, 1
	.set _ZL12mul_mat_q2_KIN3c108BFloat16ELb1EEvPKvS3_PT_iiiii.uses_flat_scratch, 0
	.set _ZL12mul_mat_q2_KIN3c108BFloat16ELb1EEvPKvS3_PT_iiiii.has_dyn_sized_stack, 0
	.set _ZL12mul_mat_q2_KIN3c108BFloat16ELb1EEvPKvS3_PT_iiiii.has_recursion, 0
	.set _ZL12mul_mat_q2_KIN3c108BFloat16ELb1EEvPKvS3_PT_iiiii.has_indirect_call, 0
	.section	.AMDGPU.csdata,"",@progbits
; Kernel info:
; codeLenInByte = 28548
; TotalNumSgprs: 22
; NumVgprs: 256
; ScratchSize: 52
; MemoryBound: 0
; FloatMode: 240
; IeeeMode: 1
; LDSByteSize: 31392 bytes/workgroup (compile time only)
; SGPRBlocks: 0
; VGPRBlocks: 31
; NumSGPRsForWavesPerEU: 22
; NumVGPRsForWavesPerEU: 256
; Occupancy: 4
; WaveLimiterHint : 0
; COMPUTE_PGM_RSRC2:SCRATCH_EN: 1
; COMPUTE_PGM_RSRC2:USER_SGPR: 6
; COMPUTE_PGM_RSRC2:TRAP_HANDLER: 0
; COMPUTE_PGM_RSRC2:TGID_X_EN: 1
; COMPUTE_PGM_RSRC2:TGID_Y_EN: 1
; COMPUTE_PGM_RSRC2:TGID_Z_EN: 0
; COMPUTE_PGM_RSRC2:TIDIG_COMP_CNT: 1
	.section	.text._ZL12mul_mat_q3_KIN3c108BFloat16ELb0EEvPKvS3_PT_iiiii,"axG",@progbits,_ZL12mul_mat_q3_KIN3c108BFloat16ELb0EEvPKvS3_PT_iiiii,comdat
	.globl	_ZL12mul_mat_q3_KIN3c108BFloat16ELb0EEvPKvS3_PT_iiiii ; -- Begin function _ZL12mul_mat_q3_KIN3c108BFloat16ELb0EEvPKvS3_PT_iiiii
	.p2align	8
	.type	_ZL12mul_mat_q3_KIN3c108BFloat16ELb0EEvPKvS3_PT_iiiii,@function
_ZL12mul_mat_q3_KIN3c108BFloat16ELb0EEvPKvS3_PT_iiiii: ; @_ZL12mul_mat_q3_KIN3c108BFloat16ELb0EEvPKvS3_PT_iiiii
; %bb.0:
	s_clause 0x1
	s_load_dword s14, s[4:5], 0x18
	s_load_dwordx4 s[8:11], s[4:5], 0x20
	s_lshl_b32 s7, s7, 6
	v_add_nc_u32_e32 v49, s7, v1
	s_waitcnt lgkmcnt(0)
	s_cmpk_gt_i32 s14, 0xff
	s_cbranch_scc1 .LBB169_2
; %bb.1:
	v_add_nc_u32_e32 v34, s7, v1
	s_mov_b32 s0, 0
	s_branch .LBB169_3
.LBB169_2:
	s_mov_b32 s0, -1
                                        ; implicit-def: $vgpr34
.LBB169_3:
	s_load_dwordx2 s[12:13], s[4:5], 0x10
	v_mov_b32_e32 v4, 0
	v_mov_b32_e32 v5, 0
	;; [unrolled: 1-line block ×32, first 2 shown]
	s_andn2_b32 vcc_lo, exec_lo, s0
	s_lshl_b32 s6, s6, 7
	s_cbranch_vccnz .LBB169_17
; %bb.4:
	s_load_dwordx4 s[0:3], s[4:5], 0x0
	s_ashr_i32 s4, s14, 31
	s_ashr_i32 s5, s9, 31
	s_lshr_b32 s4, s4, 24
	s_lshr_b32 s5, s5, 27
	s_add_i32 s14, s14, s4
	s_add_i32 s5, s9, s5
	s_ashr_i32 s4, s14, 8
	s_ashr_i32 s11, s5, 5
	s_mul_i32 s9, s4, s6
	v_lshrrev_b32_e32 v50, 4, v0
	s_mul_i32 s5, s9, 0x6e
	s_mul_hi_i32 s9, s9, 0x6e
	v_lshlrev_b32_e32 v23, 4, v1
	v_lshrrev_b32_e32 v52, 1, v0
	v_lshlrev_b32_e32 v3, 1, v1
	v_and_b32_e32 v2, 15, v0
	v_and_b32_e32 v51, 1, v0
	v_mov_b32_e32 v24, 2
	v_add_nc_u32_e32 v5, v52, v23
	s_waitcnt lgkmcnt(0)
	s_add_u32 s5, s0, s5
	s_addc_u32 s9, s1, s9
	s_lshl_b32 s0, s4, 3
	v_add_nc_u32_e32 v7, v50, v3
	v_mad_i32_i24 v53, s4, v1, s0
	v_lshlrev_b32_e32 v54, 2, v2
	v_lshlrev_b32_e32 v6, 2, v51
	v_cmp_lt_u32_e32 vcc_lo, 7, v2
	v_add_nc_u16 v2, v50, v3
	v_add_nc_u32_e32 v55, s0, v53
	v_and_b32_e32 v3, 0x7f, v5
	v_lshrrev_b32_e32 v5, 2, v5
	v_add_nc_u32_e32 v8, 16, v7
	v_add_nc_u32_e32 v9, 32, v7
	;; [unrolled: 1-line block ×4, first 2 shown]
	v_lshrrev_b16 v2, 1, v2
	v_add_nc_u32_e32 v11, 64, v7
	v_mul_i32_i24_e32 v84, s4, v3
	v_add_nc_u32_e32 v61, s0, v57
	v_lshl_or_b32 v3, v3, 3, v6
	v_and_b32_e32 v5, 28, v5
	v_lshlrev_b32_e32 v6, 1, v8
	v_lshlrev_b32_e32 v26, 6, v8
	v_add_nc_u32_e32 v66, s0, v61
	v_lshlrev_b32_e32 v8, 1, v9
	v_lshlrev_b32_e32 v27, 6, v9
	;; [unrolled: 1-line block ×3, first 2 shown]
	v_lshlrev_b32_sdwa v2, v24, v2 dst_sel:DWORD dst_unused:UNUSED_PAD src0_sel:DWORD src1_sel:WORD_0
	v_add_nc_u32_e32 v71, s0, v66
	v_lshlrev_b32_e32 v12, 1, v11
	v_add3_u32 v87, v3, v5, 0x9380
	v_and_b32_e32 v3, 0xffc, v8
	v_and_b32_e32 v5, 0xffc, v9
	v_add_nc_u32_e32 v76, s0, v71
	v_add3_u32 v28, v2, v54, 0x4200
	v_and_b32_e32 v2, 0xffc, v6
	v_add3_u32 v30, v3, v54, 0x4200
	v_add3_u32 v31, v5, v54, 0x4200
	v_add_nc_u32_e32 v80, s0, v76
	v_and_b32_e32 v3, 0xffc, v12
	v_add_nc_u32_e32 v5, 0x60, v7
	s_lshl_b32 s1, s4, 4
	v_mul_i32_i24_e32 v81, s4, v7
	v_add_nc_u32_e32 v82, s0, v80
	v_lshlrev_b32_e32 v25, 6, v7
	v_mad_i32_i24 v89, s4, v7, s1
	v_add3_u32 v29, v2, v54, 0x4200
	v_add_nc_u32_e32 v2, 0x50, v7
	v_add_nc_u32_e32 v83, s0, v82
	v_add3_u32 v33, v3, v54, 0x4200
	v_lshlrev_b32_e32 v3, 1, v5
	v_add_nc_u32_e32 v7, 0x70, v7
	v_and_b32_e32 v4, 7, v0
	v_add_nc_u32_e32 v85, s0, v83
	v_cndmask_b32_e64 v58, 0, 1, vcc_lo
	v_and_b32_e32 v3, 0xffc, v3
	v_lshlrev_b32_e32 v8, 1, v7
	v_lshlrev_b32_e32 v6, 1, v2
	v_add_nc_u32_e32 v86, s0, v85
	v_lshlrev_b32_e32 v36, 6, v2
	v_add3_u32 v37, v3, v54, 0x4200
	v_and_b32_e32 v3, 0xffc, v8
	v_and_b32_e32 v2, 3, v0
	v_add_nc_u32_e32 v88, s0, v86
	v_cmp_lt_u32_e32 vcc_lo, 3, v4
	v_and_b32_e32 v6, 0xffc, v6
	v_lshlrev_b32_e32 v34, 6, v11
	v_add3_u32 v39, v3, v54, 0x4200
	v_add_nc_u32_e32 v90, s0, v88
	v_lshlrev_b32_e32 v40, 6, v7
	v_add_nc_u16 v3, v2, -2
	v_cndmask_b32_e64 v99, 0, 1, vcc_lo
	v_cmp_gt_u32_e32 vcc_lo, 2, v2
	v_add_nc_u32_e32 v7, 8, v49
	v_add_nc_u32_e32 v9, 16, v49
	;; [unrolled: 1-line block ×8, first 2 shown]
	s_add_i32 s0, s8, -1
	v_lshlrev_b32_e32 v59, 2, v4
	v_lshlrev_b32_e32 v32, 6, v10
	v_add3_u32 v35, v6, v54, 0x4200
	v_lshlrev_b32_e32 v38, 6, v5
	v_cndmask_b32_e32 v42, v3, v2, vcc_lo
	v_cvt_f64_i32_e32 v[3:4], s0
	v_cvt_f64_u32_e32 v[5:6], v49
	v_cvt_f64_u32_e32 v[7:8], v7
	v_cvt_f64_u32_e32 v[9:10], v9
	v_cvt_f64_u32_e32 v[11:12], v11
	v_cvt_f64_u32_e32 v[13:14], v13
	v_cvt_f64_u32_e32 v[15:16], v15
	v_cvt_f64_u32_e32 v[19:20], v19
	v_cvt_f64_u32_e32 v[21:22], v21
	v_lshrrev_b32_e32 v97, 3, v0
	v_add_nc_u32_e32 v91, s1, v89
	v_lshlrev_b32_sdwa v102, v24, v42 dst_sel:DWORD dst_unused:UNUSED_PAD src0_sel:DWORD src1_sel:BYTE_0
	v_lshlrev_b32_e32 v17, 2, v0
	v_mov_b32_e32 v18, 0
	v_lshl_add_u32 v41, v1, 2, v97
	v_add_nc_u32_e32 v93, s1, v91
	v_lshlrev_b32_e32 v103, 1, v2
	v_mad_u32_u24 v56, 0x84, v1, v17
	v_and_b32_e32 v17, 28, v17
	v_add_nc_u32_e32 v24, 32, v41
	v_add_nc_u32_e32 v94, s1, v93
	v_and_b32_e32 v43, 0x7fc, v41
	v_mul_i32_i24_e32 v104, s4, v41
	v_min_f64 v[5:6], v[5:6], v[3:4]
	v_min_f64 v[7:8], v[7:8], v[3:4]
	;; [unrolled: 1-line block ×8, first 2 shown]
	v_lshrrev_b32_e32 v21, 2, v0
	v_and_b32_e32 v42, 0xffc, v24
	v_add_nc_u32_e32 v95, s1, v94
	v_add3_u32 v45, v43, v59, 0x8300
	v_lshlrev_b32_e32 v46, 5, v41
	v_lshl_add_u32 v21, v1, 3, v21
	v_add3_u32 v47, v42, v59, 0x8300
	v_add_nc_u32_e32 v42, 64, v41
	v_add_nc_u32_e32 v96, s1, v95
	v_lshlrev_b32_e32 v24, 5, v24
	v_lshlrev_b32_e32 v100, 1, v0
	v_add_nc_u32_e32 v136, 0x97a0, v23
	v_and_b32_e32 v43, 0xffc, v42
	v_add_nc_u32_e32 v98, s1, v96
	v_cvt_i32_f64_e32 v5, v[5:6]
	v_cvt_i32_f64_e32 v6, v[7:8]
	;; [unrolled: 1-line block ×8, first 2 shown]
	v_and_b32_e32 v7, 63, v21
	v_and_b32_e32 v11, 31, v0
	v_lshlrev_b32_e32 v15, 2, v2
	s_lshl_b32 s1, s4, 5
	v_add3_u32 v48, v43, v59, 0x8300
	v_or_b32_e32 v13, s7, v7
	v_lshl_or_b32 v4, v11, 2, 0x6300
	v_mad_i32_i24 v105, s4, v41, s1
	v_add_nc_u32_e32 v41, 0x60, v41
	v_lshlrev_b32_e32 v148, 5, v42
	v_min_i32_e32 v11, s0, v13
	v_lshl_or_b32 v7, v7, 4, v15
	v_add_nc_u32_e32 v15, 0x60, v0
	v_and_b32_e32 v22, 0xffc, v41
	v_lshlrev_b32_e32 v13, 7, v1
	v_lshlrev_b32_e32 v9, 5, v41
	v_and_b32_e32 v19, 0xfc, v0
	v_and_b32_e32 v20, 0x1fc, v15
	v_mul_lo_u32 v113, s11, v12
	v_add_nc_u32_e32 v12, 64, v0
	v_mul_lo_u32 v114, s11, v14
	v_mad_u64_u32 v[42:43], null, v11, s11, v[2:3]
	v_mul_lo_u32 v116, s11, v3
	v_add_nc_u32_e32 v3, 32, v0
	v_mul_lo_u32 v115, s11, v16
	v_lshlrev_b32_e32 v14, 5, v0
	v_lshrrev_b32_e32 v160, 1, v12
	v_lshrrev_b32_e32 v161, 4, v12
	;; [unrolled: 1-line block ×4, first 2 shown]
	v_lshlrev_b32_e32 v119, 6, v3
	v_lshlrev_b32_e32 v120, 3, v3
	v_lshlrev_b32_e32 v121, 6, v12
	v_lshlrev_b32_e32 v122, 3, v12
	v_lshrrev_b32_e32 v125, 3, v3
	v_lshrrev_b32_e32 v126, 3, v12
	v_and_b32_e32 v3, 0x1fc, v3
	v_and_b32_e32 v12, 0x1fc, v12
	v_add3_u32 v22, v22, v59, 0x8300
	v_add_nc_u32_e32 v108, 0x97a0, v7
	v_mul_lo_u32 v109, s11, v5
	v_mul_lo_u32 v110, s11, v6
	v_add_nc_u32_e32 v2, 0x400, v13
	v_mul_lo_u32 v111, s11, v8
	v_add_nc_u32_e32 v5, 0x800, v13
	;; [unrolled: 2-line block ×3, first 2 shown]
	v_add_nc_u32_e32 v7, 0x1000, v13
	v_add_nc_u32_e32 v8, 0x1400, v13
	;; [unrolled: 1-line block ×4, first 2 shown]
	v_mov_b32_e32 v21, v18
	v_add_nc_u32_e32 v106, s1, v105
	v_lshrrev_b32_e32 v162, 1, v15
	v_lshrrev_b32_e32 v163, 4, v15
	v_add_nc_u32_e32 v128, v14, v19
	v_add_nc_u32_e32 v129, v14, v3
	;; [unrolled: 1-line block ×4, first 2 shown]
	v_mov_b32_e32 v19, v18
	v_mov_b32_e32 v20, v18
	v_add_co_u32 v43, s0, s2, v17
	v_lshlrev_b32_e32 v123, 6, v15
	v_lshlrev_b32_e32 v124, 3, v15
	v_lshrrev_b32_e32 v127, 3, v15
	v_add_nc_u32_e32 v137, 0x6300, v13
	v_add_nc_u32_e32 v138, v28, v25
	;; [unrolled: 1-line block ×16, first 2 shown]
	v_lshlrev_b32_e32 v158, 2, v16
	v_mov_b32_e32 v14, v18
	v_mov_b32_e32 v33, v21
	;; [unrolled: 1-line block ×7, first 2 shown]
	v_mul_i32_i24_e32 v60, s4, v1
	v_add_nc_u32_e32 v62, 0x420, v56
	v_add_nc_u32_e32 v63, 0x840, v56
	;; [unrolled: 1-line block ×15, first 2 shown]
	v_and_b32_e32 v101, 4, v100
	v_add_nc_u32_e32 v107, s1, v106
	v_mul_u32_u24_e32 v117, 0x84, v0
	v_lshlrev_b32_e32 v118, 6, v0
	v_add_co_ci_u32_e64 v44, null, s3, 0, s0
	v_add_nc_u32_e32 v132, 0x8300, v128
	v_add_nc_u32_e32 v133, 0x8700, v129
	;; [unrolled: 1-line block ×9, first 2 shown]
	v_lshlrev_b32_e32 v159, 2, v41
	v_lshlrev_b32_e32 v160, 2, v160
	;; [unrolled: 1-line block ×5, first 2 shown]
	v_mov_b32_e32 v15, v19
	v_mov_b32_e32 v16, v20
	;; [unrolled: 1-line block ×21, first 2 shown]
	s_mov_b32 s11, 0
	s_branch .LBB169_6
.LBB169_5:                              ;   in Loop: Header=BB169_6 Depth=1
	s_add_i32 s11, s11, 2
	s_cmp_ge_i32 s11, s4
	s_cbranch_scc1 .LBB169_16
.LBB169_6:                              ; =>This Loop Header: Depth=1
                                        ;     Child Loop BB169_7 Depth 2
                                        ;     Child Loop BB169_9 Depth 2
	;; [unrolled: 1-line block ×4, first 2 shown]
	s_mul_i32 s0, s11, 0x6e
	s_mul_hi_u32 s1, s11, 0x6e
	s_add_u32 s0, s5, s0
	s_addc_u32 s1, s9, s1
	v_mov_b32_e32 v168, v137
	v_mad_u64_u32 v[34:35], null, 0x6e, v50, s[0:1]
	v_mov_b32_e32 v169, v136
	s_mov_b32 s16, -2
	s_mov_b32 s14, 0
	v_mad_u64_u32 v[36:37], null, 0x6e, v60, v[34:35]
	v_add_co_u32 v36, vcc_lo, v36, v54
	v_add_co_ci_u32_e64 v37, null, 0, v37, vcc_lo
	global_load_dword v36, v[36:37], off offset:32
	s_waitcnt vmcnt(0)
	ds_write_b32 v56, v36
	v_mad_u64_u32 v[36:37], null, 0x6e, v53, v[34:35]
	v_add_co_u32 v36, vcc_lo, v36, v54
	v_add_co_ci_u32_e64 v37, null, 0, v37, vcc_lo
	global_load_dword v36, v[36:37], off offset:32
	s_waitcnt vmcnt(0)
	ds_write_b32 v62, v36
	;; [unrolled: 6-line block ×14, first 2 shown]
	v_mad_u64_u32 v[36:37], null, 0x6e, v90, v[34:35]
	v_mad_u64_u32 v[34:35], null, 0x6e, v92, v[34:35]
	v_add_co_u32 v36, vcc_lo, v36, v54
	v_add_co_ci_u32_e64 v37, null, 0, v37, vcc_lo
	v_add_co_u32 v34, vcc_lo, v34, v54
	v_add_co_ci_u32_e64 v35, null, 0, v35, vcc_lo
	s_clause 0x1
	global_load_dword v36, v[36:37], off offset:32
	global_load_dword v34, v[34:35], off offset:32
	s_waitcnt vmcnt(1)
	ds_write_b32 v78, v36
	s_waitcnt vmcnt(0)
	ds_write_b32 v79, v34
	v_mad_u64_u32 v[34:35], null, 0x6e, v84, s[0:1]
	v_mad_u64_u32 v[34:35], null, 0x6e, v51, v[34:35]
	global_load_ushort v34, v[34:35], off offset:108
	s_waitcnt vmcnt(0)
	v_cvt_f32_f16_e32 v34, v34
	ds_write_b32 v87, v34
	v_mad_u64_u32 v[34:35], null, 0x6e, v58, s[0:1]
	v_add_co_u32 v34, vcc_lo, v34, v59
	v_add_co_ci_u32_e64 v35, null, 0, v35, vcc_lo
	v_mad_u64_u32 v[36:37], null, 0x6e, v81, v[34:35]
	global_load_dword v36, v[36:37], off
	s_waitcnt vmcnt(0)
	v_not_b32_e32 v36, v36
	ds_write_b32 v138, v36
	v_mad_u64_u32 v[36:37], null, 0x6e, v89, v[34:35]
	global_load_dword v36, v[36:37], off
	s_waitcnt vmcnt(0)
	v_not_b32_e32 v36, v36
	ds_write_b32 v139, v36
	;; [unrolled: 5-line block ×6, first 2 shown]
	v_mad_u64_u32 v[36:37], null, 0x6e, v96, v[34:35]
	v_mad_u64_u32 v[34:35], null, 0x6e, v98, v[34:35]
	s_clause 0x1
	global_load_dword v36, v[36:37], off
	global_load_dword v34, v[34:35], off
	s_waitcnt vmcnt(1)
	v_not_b32_e32 v36, v36
	s_waitcnt vmcnt(0)
	v_not_b32_e32 v34, v34
	ds_write_b32 v144, v36
	ds_write_b32 v145, v34
	v_mad_u64_u32 v[34:35], null, 0x6e, v99, s[0:1]
	s_lshl_b32 s0, s11, 3
	s_mov_b32 s1, 0
	v_add_nc_u32_e32 v167, s0, v42
	v_mad_u64_u32 v[36:37], null, 0x6e, v104, v[34:35]
	v_add_co_u32 v38, vcc_lo, v36, v102
	v_add_co_ci_u32_e64 v39, null, 0, v37, vcc_lo
	s_clause 0x1
	global_load_dword v36, v[36:37], off offset:104
	global_load_dword v38, v[38:39], off offset:96
	s_waitcnt vmcnt(1)
	v_ashrrev_i32_e32 v36, v103, v36
	s_waitcnt vmcnt(0)
	v_ashrrev_i32_e32 v38, v101, v38
	v_lshlrev_b32_e32 v36, 4, v36
	v_and_b32_e32 v38, 0xf0f0f0f, v38
	v_and_or_b32 v36, 0x30303030, v36, v38
	v_lshrrev_b32_e32 v37, 16, v36
	v_and_b32_e32 v38, 0x3f00, v36
	v_lshlrev_b16 v36, 8, v36
	v_add_nc_u16 v36, 0xe000, v36
	v_or_b32_sdwa v36, v38, v36 dst_sel:DWORD dst_unused:UNUSED_PAD src0_sel:DWORD src1_sel:BYTE_1
	v_and_b32_e32 v38, 0x3f00, v37
	v_lshlrev_b16 v37, 8, v37
	v_add_nc_u16 v36, 0xe000, v36
	v_add_nc_u16 v37, 0xe000, v37
	v_or_b32_sdwa v37, v38, v37 dst_sel:DWORD dst_unused:UNUSED_PAD src0_sel:DWORD src1_sel:BYTE_1
	v_add_nc_u16 v37, 0xe000, v37
	v_lshlrev_b32_e32 v37, 16, v37
	v_or_b32_sdwa v36, v36, v37 dst_sel:DWORD dst_unused:UNUSED_PAD src0_sel:WORD_0 src1_sel:DWORD
	ds_write_b32 v146, v36
	v_mad_u64_u32 v[36:37], null, 0x6e, v105, v[34:35]
	v_add_co_u32 v38, vcc_lo, v36, v102
	v_add_co_ci_u32_e64 v39, null, 0, v37, vcc_lo
	s_clause 0x1
	global_load_dword v36, v[36:37], off offset:104
	global_load_dword v38, v[38:39], off offset:96
	s_waitcnt vmcnt(1)
	v_ashrrev_i32_e32 v36, v103, v36
	s_waitcnt vmcnt(0)
	v_ashrrev_i32_e32 v38, v101, v38
	v_lshlrev_b32_e32 v36, 4, v36
	v_and_b32_e32 v38, 0xf0f0f0f, v38
	v_and_or_b32 v36, 0x30303030, v36, v38
	v_lshrrev_b32_e32 v37, 16, v36
	v_and_b32_e32 v38, 0x3f00, v36
	v_lshlrev_b16 v36, 8, v36
	v_add_nc_u16 v36, 0xe000, v36
	v_or_b32_sdwa v36, v38, v36 dst_sel:DWORD dst_unused:UNUSED_PAD src0_sel:DWORD src1_sel:BYTE_1
	v_and_b32_e32 v38, 0x3f00, v37
	v_lshlrev_b16 v37, 8, v37
	v_add_nc_u16 v36, 0xe000, v36
	v_add_nc_u16 v37, 0xe000, v37
	v_or_b32_sdwa v37, v38, v37 dst_sel:DWORD dst_unused:UNUSED_PAD src0_sel:DWORD src1_sel:BYTE_1
	v_add_nc_u16 v37, 0xe000, v37
	v_lshlrev_b32_e32 v37, 16, v37
	v_or_b32_sdwa v36, v36, v37 dst_sel:DWORD dst_unused:UNUSED_PAD src0_sel:WORD_0 src1_sel:DWORD
	ds_write_b32 v147, v36
	v_mad_u64_u32 v[36:37], null, 0x6e, v106, v[34:35]
	v_mad_u64_u32 v[34:35], null, 0x6e, v107, v[34:35]
	v_add_co_u32 v38, vcc_lo, v36, v102
	v_add_co_ci_u32_e64 v39, null, 0, v37, vcc_lo
	s_clause 0x1
	global_load_dword v36, v[36:37], off offset:104
	global_load_dword v38, v[38:39], off offset:96
	s_waitcnt vmcnt(1)
	v_ashrrev_i32_e32 v36, v103, v36
	s_waitcnt vmcnt(0)
	v_ashrrev_i32_e32 v38, v101, v38
	v_lshlrev_b32_e32 v36, 4, v36
	v_and_b32_e32 v38, 0xf0f0f0f, v38
	v_and_or_b32 v36, 0x30303030, v36, v38
	v_lshrrev_b32_e32 v37, 16, v36
	v_and_b32_e32 v38, 0x3f00, v36
	v_lshlrev_b16 v36, 8, v36
	v_add_nc_u16 v36, 0xe000, v36
	v_or_b32_sdwa v36, v38, v36 dst_sel:DWORD dst_unused:UNUSED_PAD src0_sel:DWORD src1_sel:BYTE_1
	v_and_b32_e32 v38, 0x3f00, v37
	v_lshlrev_b16 v37, 8, v37
	v_add_nc_u16 v36, 0xe000, v36
	v_add_nc_u16 v37, 0xe000, v37
	v_or_b32_sdwa v37, v38, v37 dst_sel:DWORD dst_unused:UNUSED_PAD src0_sel:DWORD src1_sel:BYTE_1
	v_add_nc_u16 v37, 0xe000, v37
	v_lshlrev_b32_e32 v37, 16, v37
	v_or_b32_sdwa v36, v36, v37 dst_sel:DWORD dst_unused:UNUSED_PAD src0_sel:WORD_0 src1_sel:DWORD
	ds_write_b32 v148, v36
	v_add_co_u32 v36, vcc_lo, v34, v102
	v_add_co_ci_u32_e64 v37, null, 0, v35, vcc_lo
	s_clause 0x1
	global_load_dword v34, v[34:35], off offset:104
	global_load_dword v36, v[36:37], off offset:96
	s_waitcnt vmcnt(1)
	v_ashrrev_i32_e32 v34, v103, v34
	s_waitcnt vmcnt(0)
	v_ashrrev_i32_e32 v36, v101, v36
	v_lshlrev_b32_e32 v34, 4, v34
	v_and_b32_e32 v36, 0xf0f0f0f, v36
	v_and_or_b32 v34, 0x30303030, v34, v36
	v_lshrrev_b32_e32 v35, 16, v34
	v_and_b32_e32 v36, 0x3f00, v34
	v_lshlrev_b16 v34, 8, v34
	v_add_nc_u16 v34, 0xe000, v34
	v_or_b32_sdwa v34, v36, v34 dst_sel:DWORD dst_unused:UNUSED_PAD src0_sel:DWORD src1_sel:BYTE_1
	v_and_b32_e32 v36, 0x3f00, v35
	v_lshlrev_b16 v35, 8, v35
	v_add_nc_u16 v34, 0xe000, v34
	v_add_nc_u16 v35, 0xe000, v35
	v_or_b32_sdwa v35, v36, v35 dst_sel:DWORD dst_unused:UNUSED_PAD src0_sel:DWORD src1_sel:BYTE_1
	v_add_nc_u32_e32 v36, s0, v97
	v_add_nc_u16 v35, 0xe000, v35
	v_lshlrev_b32_e32 v35, 16, v35
	v_or_b32_sdwa v34, v34, v35 dst_sel:DWORD dst_unused:UNUSED_PAD src0_sel:WORD_0 src1_sel:DWORD
	ds_write_b32 v149, v34
	v_add_nc_u32_e32 v34, v36, v109
	v_mad_i64_i32 v[34:35], null, v34, 36, v[43:44]
	global_load_dword v34, v[34:35], off offset:4
	s_waitcnt vmcnt(0)
	ds_write_b32 v150, v34
	v_add_nc_u32_e32 v34, v36, v110
	v_mad_i64_i32 v[34:35], null, v34, 36, v[43:44]
	global_load_dword v34, v[34:35], off offset:4
	s_waitcnt vmcnt(0)
	;; [unrolled: 5-line block ×8, first 2 shown]
	ds_write_b32 v157, v34
	v_mad_u64_u32 v[34:35], null, v167, 36, s[2:3]
	global_load_dword v34, v[34:35], off
	s_waitcnt vmcnt(0)
	v_cvt_f32_f16_e32 v34, v34
	ds_write_b32 v108, v34
	s_waitcnt lgkmcnt(0)
	s_barrier
	buffer_gl0_inv
.LBB169_7:                              ;   Parent Loop BB169_6 Depth=1
                                        ; =>  This Inner Loop Header: Depth=2
	s_add_i32 s15, s16, 2
	v_lshlrev_b32_e32 v164, 2, v52
	s_lshr_b32 s17, s15, 4
	s_and_b32 s18, s15, 0x3ffffff8
	ds_read2_b32 v[45:46], v169 offset1:32
	ds_read_b128 v[38:41], v168
	ds_read_b128 v[34:37], v168 offset:16
	v_lshl_add_u32 v179, s18, 2, v117
	s_lshl_b32 s18, s17, 5
	s_lshl_b32 s17, s17, 2
	s_addk_i32 s18, 0x4200
	s_add_i32 s17, s17, 0x9380
	v_add3_u32 v176, s18, v164, v118
	ds_read2_b32 v[47:48], v179 offset1:1
	v_add3_u32 v186, s18, v158, v119
	v_add3_u32 v195, s18, v160, v121
	v_mov_b32_e32 v211, 0
	ds_read2_b32 v[165:166], v176 offset1:1
	v_mov_b32_e32 v212, 0
	v_mov_b32_e32 v206, 0
	;; [unrolled: 1-line block ×15, first 2 shown]
	s_waitcnt lgkmcnt(1)
	v_ashrrev_i32_e32 v47, s15, v47
	v_mov_b32_e32 v230, 0
	v_mov_b32_e32 v227, 0
	;; [unrolled: 1-line block ×3, first 2 shown]
	s_waitcnt lgkmcnt(0)
	v_ashrrev_i32_e32 v165, s1, v165
	v_and_b32_e32 v170, 0x3030303, v47
	v_bfe_u32 v47, v47, 24, 2
	v_ashrrev_i32_e32 v166, s1, v166
	v_mov_b32_e32 v221, 0
	v_lshlrev_b32_e32 v165, 2, v165
	v_lshrrev_b16 v172, 8, v170
	v_lshrrev_b32_e32 v171, 16, v170
	v_lshlrev_b32_e32 v166, 2, v166
	v_mov_b32_e32 v222, 0
	v_and_b32_e32 v165, 0x4040404, v165
	s_and_b32 s19, s14, -16
	v_mov_b32_e32 v232, 0
	v_and_b32_e32 v166, 0x4040404, v166
	s_add_i32 s16, s16, s19
	v_lshrrev_b16 v175, 8, v165
	v_lshrrev_b32_e32 v173, 16, v165
	v_lshrrev_b32_e32 v174, 24, v165
	v_sub_nc_u16 v165, v170, v165
	v_add_nc_u32_e32 v209, s16, v132
	v_sub_nc_u16 v170, v172, v175
	v_lshrrev_b32_e32 v172, 16, v166
	v_sub_nc_u16 v47, v47, v174
	v_lshrrev_b16 v174, 8, v166
	v_add_nc_u32_e32 v207, s16, v133
	v_lshlrev_b16 v170, 8, v170
	v_mov_b32_e32 v235, 0
	v_lshlrev_b16 v47, 8, v47
	v_add_nc_u32_e32 v214, s16, v134
	v_mov_b32_e32 v237, 0
	v_or_b32_sdwa v165, v165, v170 dst_sel:DWORD dst_unused:UNUSED_PAD src0_sel:BYTE_0 src1_sel:DWORD
	v_sub_nc_u16 v170, v171, v173
	v_lshrrev_b32_e32 v173, 24, v166
	v_mov_b32_e32 v238, 0
	v_mov_b32_e32 v239, 0
	s_add_i32 s14, s14, 2
	v_or_b32_sdwa v47, v170, v47 dst_sel:WORD_1 dst_unused:UNUSED_PAD src0_sel:BYTE_0 src1_sel:DWORD
	v_or_b32_sdwa v170, v165, v47 dst_sel:DWORD dst_unused:UNUSED_PAD src0_sel:WORD_0 src1_sel:DWORD
	v_ashrrev_i32_e32 v47, s15, v48
	v_dot4c_i32_i8 v211, v170, v38
	v_and_b32_e32 v48, 0x3030303, v47
	v_bfe_u32 v47, v47, 24, 2
	v_lshrrev_b16 v171, 8, v48
	v_lshrrev_b32_e32 v165, 16, v48
	v_sub_nc_u16 v48, v48, v166
	v_sub_nc_u16 v47, v47, v173
	;; [unrolled: 1-line block ×4, first 2 shown]
	v_lshlrev_b16 v47, 8, v47
	v_lshlrev_b16 v166, 8, v166
	v_or_b32_sdwa v47, v165, v47 dst_sel:WORD_1 dst_unused:UNUSED_PAD src0_sel:BYTE_0 src1_sel:DWORD
	v_or_b32_sdwa v48, v48, v166 dst_sel:DWORD dst_unused:UNUSED_PAD src0_sel:BYTE_0 src1_sel:DWORD
	ds_read2_b32 v[165:166], v176 offset0:2 offset1:3
	v_or_b32_sdwa v171, v48, v47 dst_sel:DWORD dst_unused:UNUSED_PAD src0_sel:WORD_0 src1_sel:DWORD
	ds_read2_b32 v[47:48], v179 offset0:2 offset1:3
	v_dot4c_i32_i8 v211, v171, v39
	s_waitcnt lgkmcnt(1)
	v_ashrrev_i32_e32 v165, s1, v165
	v_ashrrev_i32_e32 v166, s1, v166
	s_waitcnt lgkmcnt(0)
	v_ashrrev_i32_e32 v47, s15, v47
	v_lshlrev_b32_e32 v165, 2, v165
	v_lshlrev_b32_e32 v166, 2, v166
	v_and_b32_e32 v172, 0x3030303, v47
	v_and_b32_e32 v165, 0x4040404, v165
	v_bfe_u32 v47, v47, 24, 2
	v_and_b32_e32 v166, 0x4040404, v166
	v_lshrrev_b16 v174, 8, v172
	v_lshrrev_b16 v178, 8, v165
	v_lshrrev_b32_e32 v173, 16, v172
	v_lshrrev_b32_e32 v175, 16, v165
	;; [unrolled: 1-line block ×3, first 2 shown]
	v_sub_nc_u16 v165, v172, v165
	v_sub_nc_u16 v172, v174, v178
	v_lshrrev_b32_e32 v174, 16, v166
	v_sub_nc_u16 v47, v47, v177
	v_lshrrev_b16 v177, 8, v166
	v_lshlrev_b16 v172, 8, v172
	v_lshlrev_b16 v47, 8, v47
	v_or_b32_sdwa v165, v165, v172 dst_sel:DWORD dst_unused:UNUSED_PAD src0_sel:BYTE_0 src1_sel:DWORD
	v_sub_nc_u16 v172, v173, v175
	v_lshrrev_b32_e32 v175, 24, v166
	v_or_b32_sdwa v47, v172, v47 dst_sel:WORD_1 dst_unused:UNUSED_PAD src0_sel:BYTE_0 src1_sel:DWORD
	v_or_b32_sdwa v172, v165, v47 dst_sel:DWORD dst_unused:UNUSED_PAD src0_sel:WORD_0 src1_sel:DWORD
	v_ashrrev_i32_e32 v47, s15, v48
	v_dot4c_i32_i8 v211, v172, v40
	v_and_b32_e32 v48, 0x3030303, v47
	v_bfe_u32 v47, v47, 24, 2
	v_lshrrev_b16 v173, 8, v48
	v_lshrrev_b32_e32 v165, 16, v48
	v_sub_nc_u16 v48, v48, v166
	v_sub_nc_u16 v47, v47, v175
	;; [unrolled: 1-line block ×4, first 2 shown]
	v_lshlrev_b16 v47, 8, v47
	v_lshlrev_b16 v166, 8, v166
	v_or_b32_sdwa v47, v165, v47 dst_sel:WORD_1 dst_unused:UNUSED_PAD src0_sel:BYTE_0 src1_sel:DWORD
	v_or_b32_sdwa v48, v48, v166 dst_sel:DWORD dst_unused:UNUSED_PAD src0_sel:BYTE_0 src1_sel:DWORD
	ds_read2_b32 v[165:166], v176 offset0:4 offset1:5
	v_or_b32_sdwa v173, v48, v47 dst_sel:DWORD dst_unused:UNUSED_PAD src0_sel:WORD_0 src1_sel:DWORD
	ds_read2_b32 v[47:48], v179 offset0:4 offset1:5
	v_dot4c_i32_i8 v211, v173, v41
	s_waitcnt lgkmcnt(1)
	v_ashrrev_i32_e32 v165, s1, v165
	v_ashrrev_i32_e32 v166, s1, v166
	s_waitcnt lgkmcnt(0)
	v_ashrrev_i32_e32 v47, s15, v47
	v_lshlrev_b32_e32 v165, 2, v165
	v_lshlrev_b32_e32 v166, 2, v166
	v_and_b32_e32 v174, 0x3030303, v47
	v_and_b32_e32 v165, 0x4040404, v165
	v_bfe_u32 v47, v47, 24, 2
	v_and_b32_e32 v166, 0x4040404, v166
	v_lshrrev_b16 v177, 8, v174
	v_lshrrev_b16 v181, 8, v165
	v_lshrrev_b32_e32 v175, 16, v174
	v_lshrrev_b32_e32 v178, 16, v165
	;; [unrolled: 1-line block ×3, first 2 shown]
	v_sub_nc_u16 v165, v174, v165
	v_sub_nc_u16 v174, v177, v181
	v_lshrrev_b32_e32 v177, 16, v166
	v_sub_nc_u16 v47, v47, v180
	v_lshrrev_b16 v180, 8, v166
	v_lshlrev_b16 v174, 8, v174
	v_lshlrev_b16 v47, 8, v47
	v_or_b32_sdwa v165, v165, v174 dst_sel:DWORD dst_unused:UNUSED_PAD src0_sel:BYTE_0 src1_sel:DWORD
	v_sub_nc_u16 v174, v175, v178
	v_lshrrev_b32_e32 v178, 24, v166
	v_or_b32_sdwa v47, v174, v47 dst_sel:WORD_1 dst_unused:UNUSED_PAD src0_sel:BYTE_0 src1_sel:DWORD
	v_or_b32_sdwa v174, v165, v47 dst_sel:DWORD dst_unused:UNUSED_PAD src0_sel:WORD_0 src1_sel:DWORD
	v_ashrrev_i32_e32 v47, s15, v48
	v_dot4c_i32_i8 v212, v174, v34
	v_and_b32_e32 v48, 0x3030303, v47
	v_bfe_u32 v47, v47, 24, 2
	v_lshrrev_b16 v175, 8, v48
	v_lshrrev_b32_e32 v165, 16, v48
	v_sub_nc_u16 v48, v48, v166
	v_sub_nc_u16 v47, v47, v178
	;; [unrolled: 1-line block ×4, first 2 shown]
	v_lshlrev_b16 v47, 8, v47
	v_lshlrev_b16 v166, 8, v166
	v_or_b32_sdwa v47, v165, v47 dst_sel:WORD_1 dst_unused:UNUSED_PAD src0_sel:BYTE_0 src1_sel:DWORD
	v_or_b32_sdwa v48, v48, v166 dst_sel:DWORD dst_unused:UNUSED_PAD src0_sel:BYTE_0 src1_sel:DWORD
	ds_read2_b32 v[165:166], v176 offset0:6 offset1:7
	v_or_b32_sdwa v175, v48, v47 dst_sel:DWORD dst_unused:UNUSED_PAD src0_sel:WORD_0 src1_sel:DWORD
	ds_read2_b32 v[47:48], v179 offset0:6 offset1:7
	v_dot4c_i32_i8 v212, v175, v35
	s_waitcnt lgkmcnt(1)
	v_ashrrev_i32_e32 v165, s1, v165
	v_ashrrev_i32_e32 v166, s1, v166
	s_waitcnt lgkmcnt(0)
	v_ashrrev_i32_e32 v47, s15, v47
	v_lshlrev_b32_e32 v165, 2, v165
	v_lshlrev_b32_e32 v166, 2, v166
	v_and_b32_e32 v177, 0x3030303, v47
	v_bfe_u32 v47, v47, 24, 2
	v_and_b32_e32 v165, 0x4040404, v165
	v_and_b32_e32 v166, 0x4040404, v166
	v_lshrrev_b16 v180, 8, v177
	v_lshrrev_b32_e32 v178, 16, v177
	v_lshrrev_b32_e32 v181, 24, v165
	v_lshrrev_b16 v182, 8, v165
	v_lshrrev_b32_e32 v176, 16, v165
	v_sub_nc_u16 v165, v177, v165
	v_sub_nc_u16 v47, v47, v181
	;; [unrolled: 1-line block ×4, first 2 shown]
	v_lshrrev_b32_e32 v180, 24, v166
	v_lshrrev_b16 v181, 8, v166
	v_lshlrev_b16 v47, 8, v47
	v_lshlrev_b16 v177, 8, v177
	v_lshrrev_b32_e32 v178, 16, v166
	v_or_b32_sdwa v47, v176, v47 dst_sel:WORD_1 dst_unused:UNUSED_PAD src0_sel:BYTE_0 src1_sel:DWORD
	v_or_b32_sdwa v165, v165, v177 dst_sel:DWORD dst_unused:UNUSED_PAD src0_sel:BYTE_0 src1_sel:DWORD
	v_or_b32_sdwa v176, v165, v47 dst_sel:DWORD dst_unused:UNUSED_PAD src0_sel:WORD_0 src1_sel:DWORD
	v_ashrrev_i32_e32 v47, s15, v48
	v_dot4c_i32_i8 v212, v176, v36
	v_and_b32_e32 v48, 0x3030303, v47
	v_bfe_u32 v47, v47, 24, 2
	v_lshrrev_b16 v177, 8, v48
	v_lshrrev_b32_e32 v165, 16, v48
	v_sub_nc_u16 v48, v48, v166
	v_sub_nc_u16 v47, v47, v180
	v_sub_nc_u16 v166, v177, v181
	v_sub_nc_u16 v165, v165, v178
	ds_read2_b32 v[180:181], v186 offset1:1
	v_lshlrev_b16 v47, 8, v47
	v_lshlrev_b16 v166, 8, v166
	v_or_b32_sdwa v47, v165, v47 dst_sel:WORD_1 dst_unused:UNUSED_PAD src0_sel:BYTE_0 src1_sel:DWORD
	v_lshlrev_b32_e32 v165, 2, v50
	v_or_b32_sdwa v48, v48, v166 dst_sel:DWORD dst_unused:UNUSED_PAD src0_sel:BYTE_0 src1_sel:DWORD
	v_lshlrev_b32_e32 v166, 2, v100
	v_or_b32_sdwa v178, v48, v47 dst_sel:DWORD dst_unused:UNUSED_PAD src0_sel:WORD_0 src1_sel:DWORD
	v_add3_u32 v47, s17, v165, v166
	v_dot4c_i32_i8 v212, v178, v37
	ds_read_b32 v177, v47
	v_add_nc_u32_e32 v47, 0x1080, v179
	s_waitcnt lgkmcnt(1)
	v_ashrrev_i32_e32 v180, s1, v180
	v_ashrrev_i32_e32 v181, s1, v181
	ds_read2_b32 v[47:48], v47 offset1:1
	v_lshlrev_b32_e32 v180, 2, v180
	v_lshlrev_b32_e32 v181, 2, v181
	v_and_b32_e32 v180, 0x4040404, v180
	v_and_b32_e32 v181, 0x4040404, v181
	v_lshrrev_b16 v188, 8, v180
	v_lshrrev_b32_e32 v185, 16, v180
	v_lshrrev_b32_e32 v187, 24, v180
	s_waitcnt lgkmcnt(0)
	v_ashrrev_i32_e32 v47, s15, v47
	v_and_b32_e32 v182, 0x3030303, v47
	v_bfe_u32 v47, v47, 24, 2
	v_lshrrev_b16 v184, 8, v182
	v_lshrrev_b32_e32 v183, 16, v182
	v_sub_nc_u16 v180, v182, v180
	v_sub_nc_u16 v47, v47, v187
	v_lshrrev_b16 v187, 8, v181
	v_sub_nc_u16 v182, v184, v188
	v_lshrrev_b32_e32 v184, 16, v181
	v_lshlrev_b16 v47, 8, v47
	v_lshlrev_b16 v182, 8, v182
	v_or_b32_sdwa v180, v180, v182 dst_sel:DWORD dst_unused:UNUSED_PAD src0_sel:BYTE_0 src1_sel:DWORD
	v_sub_nc_u16 v182, v183, v185
	v_lshrrev_b32_e32 v185, 24, v181
	v_or_b32_sdwa v47, v182, v47 dst_sel:WORD_1 dst_unused:UNUSED_PAD src0_sel:BYTE_0 src1_sel:DWORD
	v_or_b32_sdwa v180, v180, v47 dst_sel:DWORD dst_unused:UNUSED_PAD src0_sel:WORD_0 src1_sel:DWORD
	v_ashrrev_i32_e32 v47, s15, v48
	v_dot4c_i32_i8 v206, v180, v38
	v_and_b32_e32 v48, 0x3030303, v47
	v_bfe_u32 v47, v47, 24, 2
	v_lshrrev_b16 v183, 8, v48
	v_lshrrev_b32_e32 v182, 16, v48
	v_sub_nc_u16 v48, v48, v181
	v_sub_nc_u16 v47, v47, v185
	v_sub_nc_u16 v181, v183, v187
	v_lshlrev_b16 v47, 8, v47
	v_lshlrev_b16 v181, 8, v181
	v_or_b32_sdwa v48, v48, v181 dst_sel:DWORD dst_unused:UNUSED_PAD src0_sel:BYTE_0 src1_sel:DWORD
	v_sub_nc_u16 v181, v182, v184
	ds_read2_b32 v[182:183], v186 offset0:2 offset1:3
	v_or_b32_sdwa v47, v181, v47 dst_sel:WORD_1 dst_unused:UNUSED_PAD src0_sel:BYTE_0 src1_sel:DWORD
	v_or_b32_sdwa v181, v48, v47 dst_sel:DWORD dst_unused:UNUSED_PAD src0_sel:WORD_0 src1_sel:DWORD
	v_add_nc_u32_e32 v47, 0x1088, v179
	v_dot4c_i32_i8 v206, v181, v39
	ds_read2_b32 v[47:48], v47 offset1:1
	s_waitcnt lgkmcnt(1)
	v_ashrrev_i32_e32 v182, s1, v182
	v_ashrrev_i32_e32 v183, s1, v183
	v_lshlrev_b32_e32 v182, 2, v182
	v_lshlrev_b32_e32 v183, 2, v183
	v_and_b32_e32 v182, 0x4040404, v182
	v_and_b32_e32 v183, 0x4040404, v183
	s_waitcnt lgkmcnt(0)
	v_ashrrev_i32_e32 v47, s15, v47
	v_lshrrev_b16 v190, 8, v182
	v_lshrrev_b32_e32 v188, 16, v182
	v_lshrrev_b32_e32 v189, 24, v182
	v_and_b32_e32 v184, 0x3030303, v47
	v_bfe_u32 v47, v47, 24, 2
	v_lshrrev_b16 v187, 8, v184
	v_lshrrev_b32_e32 v185, 16, v184
	v_sub_nc_u16 v182, v184, v182
	v_sub_nc_u16 v47, v47, v189
	v_lshrrev_b16 v189, 8, v183
	v_sub_nc_u16 v184, v187, v190
	v_lshrrev_b32_e32 v187, 16, v183
	v_lshlrev_b16 v47, 8, v47
	v_lshlrev_b16 v184, 8, v184
	v_or_b32_sdwa v182, v182, v184 dst_sel:DWORD dst_unused:UNUSED_PAD src0_sel:BYTE_0 src1_sel:DWORD
	v_sub_nc_u16 v184, v185, v188
	v_lshrrev_b32_e32 v188, 24, v183
	v_or_b32_sdwa v47, v184, v47 dst_sel:WORD_1 dst_unused:UNUSED_PAD src0_sel:BYTE_0 src1_sel:DWORD
	v_or_b32_sdwa v182, v182, v47 dst_sel:DWORD dst_unused:UNUSED_PAD src0_sel:WORD_0 src1_sel:DWORD
	v_ashrrev_i32_e32 v47, s15, v48
	v_dot4c_i32_i8 v206, v182, v40
	v_and_b32_e32 v48, 0x3030303, v47
	v_bfe_u32 v47, v47, 24, 2
	v_lshrrev_b16 v185, 8, v48
	v_lshrrev_b32_e32 v184, 16, v48
	v_sub_nc_u16 v48, v48, v183
	v_sub_nc_u16 v47, v47, v188
	v_sub_nc_u16 v183, v185, v189
	v_lshlrev_b16 v47, 8, v47
	v_lshlrev_b16 v183, 8, v183
	v_or_b32_sdwa v48, v48, v183 dst_sel:DWORD dst_unused:UNUSED_PAD src0_sel:BYTE_0 src1_sel:DWORD
	v_sub_nc_u16 v183, v184, v187
	ds_read2_b32 v[184:185], v186 offset0:4 offset1:5
	v_or_b32_sdwa v47, v183, v47 dst_sel:WORD_1 dst_unused:UNUSED_PAD src0_sel:BYTE_0 src1_sel:DWORD
	v_or_b32_sdwa v183, v48, v47 dst_sel:DWORD dst_unused:UNUSED_PAD src0_sel:WORD_0 src1_sel:DWORD
	v_add_nc_u32_e32 v47, 0x1090, v179
	v_dot4c_i32_i8 v206, v183, v41
	ds_read2_b32 v[47:48], v47 offset1:1
	s_waitcnt lgkmcnt(1)
	v_ashrrev_i32_e32 v184, s1, v184
	v_ashrrev_i32_e32 v185, s1, v185
	v_lshlrev_b32_e32 v184, 2, v184
	v_lshlrev_b32_e32 v185, 2, v185
	v_and_b32_e32 v184, 0x4040404, v184
	v_and_b32_e32 v185, 0x4040404, v185
	s_waitcnt lgkmcnt(0)
	v_ashrrev_i32_e32 v47, s15, v47
	v_lshrrev_b16 v192, 8, v184
	v_lshrrev_b32_e32 v190, 16, v184
	v_lshrrev_b32_e32 v191, 24, v184
	;; [unrolled: 47-line block ×3, first 2 shown]
	v_and_b32_e32 v188, 0x3030303, v47
	v_bfe_u32 v47, v47, 24, 2
	v_lshrrev_b16 v190, 8, v188
	v_lshrrev_b32_e32 v189, 16, v188
	v_sub_nc_u16 v186, v188, v186
	v_sub_nc_u16 v47, v47, v192
	v_lshrrev_b16 v192, 8, v187
	v_sub_nc_u16 v188, v190, v193
	v_lshrrev_b32_e32 v190, 16, v187
	v_lshlrev_b16 v47, 8, v47
	v_lshlrev_b16 v188, 8, v188
	v_or_b32_sdwa v186, v186, v188 dst_sel:DWORD dst_unused:UNUSED_PAD src0_sel:BYTE_0 src1_sel:DWORD
	v_sub_nc_u16 v188, v189, v191
	v_lshrrev_b32_e32 v191, 24, v187
	v_or_b32_sdwa v47, v188, v47 dst_sel:WORD_1 dst_unused:UNUSED_PAD src0_sel:BYTE_0 src1_sel:DWORD
	v_or_b32_sdwa v186, v186, v47 dst_sel:DWORD dst_unused:UNUSED_PAD src0_sel:WORD_0 src1_sel:DWORD
	v_ashrrev_i32_e32 v47, s15, v48
	v_dot4c_i32_i8 v208, v186, v36
	v_and_b32_e32 v48, 0x3030303, v47
	v_bfe_u32 v47, v47, 24, 2
	v_lshrrev_b16 v189, 8, v48
	v_lshrrev_b32_e32 v188, 16, v48
	v_sub_nc_u16 v48, v48, v187
	v_sub_nc_u16 v47, v47, v191
	;; [unrolled: 1-line block ×3, first 2 shown]
	v_lshlrev_b16 v47, 8, v47
	v_lshlrev_b16 v187, 8, v187
	v_or_b32_sdwa v48, v48, v187 dst_sel:DWORD dst_unused:UNUSED_PAD src0_sel:BYTE_0 src1_sel:DWORD
	v_sub_nc_u16 v187, v188, v190
	ds_read2_b32 v[189:190], v195 offset1:1
	v_or_b32_sdwa v47, v187, v47 dst_sel:WORD_1 dst_unused:UNUSED_PAD src0_sel:BYTE_0 src1_sel:DWORD
	v_or_b32_sdwa v188, v48, v47 dst_sel:DWORD dst_unused:UNUSED_PAD src0_sel:WORD_0 src1_sel:DWORD
	v_add3_u32 v47, s17, v159, v120
	v_dot4c_i32_i8 v208, v188, v37
	ds_read_b32 v187, v47
	v_add_nc_u32_e32 v47, 0x2100, v179
	s_waitcnt lgkmcnt(1)
	v_ashrrev_i32_e32 v189, s1, v189
	ds_read2_b32 v[47:48], v47 offset1:1
	v_ashrrev_i32_e32 v190, s1, v190
	v_lshlrev_b32_e32 v189, 2, v189
	v_lshlrev_b32_e32 v190, 2, v190
	v_and_b32_e32 v189, 0x4040404, v189
	v_and_b32_e32 v190, 0x4040404, v190
	v_lshrrev_b16 v197, 8, v189
	v_lshrrev_b32_e32 v194, 16, v189
	v_lshrrev_b32_e32 v196, 24, v189
	s_waitcnt lgkmcnt(0)
	v_ashrrev_i32_e32 v47, s15, v47
	v_and_b32_e32 v191, 0x3030303, v47
	v_bfe_u32 v47, v47, 24, 2
	v_lshrrev_b16 v193, 8, v191
	v_lshrrev_b32_e32 v192, 16, v191
	v_sub_nc_u16 v189, v191, v189
	v_sub_nc_u16 v47, v47, v196
	v_lshrrev_b16 v196, 8, v190
	v_sub_nc_u16 v191, v193, v197
	v_lshrrev_b32_e32 v193, 16, v190
	v_lshlrev_b16 v47, 8, v47
	v_lshlrev_b16 v191, 8, v191
	v_or_b32_sdwa v189, v189, v191 dst_sel:DWORD dst_unused:UNUSED_PAD src0_sel:BYTE_0 src1_sel:DWORD
	v_sub_nc_u16 v191, v192, v194
	v_lshrrev_b32_e32 v194, 24, v190
	v_or_b32_sdwa v47, v191, v47 dst_sel:WORD_1 dst_unused:UNUSED_PAD src0_sel:BYTE_0 src1_sel:DWORD
	v_or_b32_sdwa v189, v189, v47 dst_sel:DWORD dst_unused:UNUSED_PAD src0_sel:WORD_0 src1_sel:DWORD
	v_ashrrev_i32_e32 v47, s15, v48
	v_dot4c_i32_i8 v213, v189, v38
	v_and_b32_e32 v48, 0x3030303, v47
	v_bfe_u32 v47, v47, 24, 2
	v_lshrrev_b16 v192, 8, v48
	v_lshrrev_b32_e32 v191, 16, v48
	v_sub_nc_u16 v48, v48, v190
	v_sub_nc_u16 v47, v47, v194
	v_sub_nc_u16 v190, v192, v196
	v_lshlrev_b16 v47, 8, v47
	v_lshlrev_b16 v190, 8, v190
	v_or_b32_sdwa v48, v48, v190 dst_sel:DWORD dst_unused:UNUSED_PAD src0_sel:BYTE_0 src1_sel:DWORD
	v_sub_nc_u16 v190, v191, v193
	ds_read2_b32 v[191:192], v195 offset0:2 offset1:3
	v_or_b32_sdwa v47, v190, v47 dst_sel:WORD_1 dst_unused:UNUSED_PAD src0_sel:BYTE_0 src1_sel:DWORD
	v_or_b32_sdwa v190, v48, v47 dst_sel:DWORD dst_unused:UNUSED_PAD src0_sel:WORD_0 src1_sel:DWORD
	v_add_nc_u32_e32 v47, 0x2108, v179
	v_dot4c_i32_i8 v213, v190, v39
	ds_read2_b32 v[47:48], v47 offset1:1
	s_waitcnt lgkmcnt(1)
	v_ashrrev_i32_e32 v191, s1, v191
	v_ashrrev_i32_e32 v192, s1, v192
	v_lshlrev_b32_e32 v191, 2, v191
	v_lshlrev_b32_e32 v192, 2, v192
	v_and_b32_e32 v191, 0x4040404, v191
	v_and_b32_e32 v192, 0x4040404, v192
	s_waitcnt lgkmcnt(0)
	v_ashrrev_i32_e32 v47, s15, v47
	v_lshrrev_b16 v199, 8, v191
	v_lshrrev_b32_e32 v197, 16, v191
	v_lshrrev_b32_e32 v198, 24, v191
	v_and_b32_e32 v193, 0x3030303, v47
	v_bfe_u32 v47, v47, 24, 2
	v_lshrrev_b16 v196, 8, v193
	v_lshrrev_b32_e32 v194, 16, v193
	v_sub_nc_u16 v191, v193, v191
	v_sub_nc_u16 v47, v47, v198
	v_lshrrev_b16 v198, 8, v192
	v_sub_nc_u16 v193, v196, v199
	v_lshrrev_b32_e32 v196, 16, v192
	v_lshlrev_b16 v47, 8, v47
	v_lshlrev_b16 v193, 8, v193
	v_or_b32_sdwa v191, v191, v193 dst_sel:DWORD dst_unused:UNUSED_PAD src0_sel:BYTE_0 src1_sel:DWORD
	v_sub_nc_u16 v193, v194, v197
	v_lshrrev_b32_e32 v197, 24, v192
	v_or_b32_sdwa v47, v193, v47 dst_sel:WORD_1 dst_unused:UNUSED_PAD src0_sel:BYTE_0 src1_sel:DWORD
	v_or_b32_sdwa v191, v191, v47 dst_sel:DWORD dst_unused:UNUSED_PAD src0_sel:WORD_0 src1_sel:DWORD
	v_ashrrev_i32_e32 v47, s15, v48
	v_dot4c_i32_i8 v213, v191, v40
	v_and_b32_e32 v48, 0x3030303, v47
	v_bfe_u32 v47, v47, 24, 2
	v_lshrrev_b16 v194, 8, v48
	v_lshrrev_b32_e32 v193, 16, v48
	v_sub_nc_u16 v48, v48, v192
	v_sub_nc_u16 v47, v47, v197
	v_sub_nc_u16 v192, v194, v198
	v_lshlrev_b16 v47, 8, v47
	v_lshlrev_b16 v192, 8, v192
	v_or_b32_sdwa v48, v48, v192 dst_sel:DWORD dst_unused:UNUSED_PAD src0_sel:BYTE_0 src1_sel:DWORD
	v_sub_nc_u16 v192, v193, v196
	ds_read2_b32 v[193:194], v195 offset0:4 offset1:5
	v_or_b32_sdwa v47, v192, v47 dst_sel:WORD_1 dst_unused:UNUSED_PAD src0_sel:BYTE_0 src1_sel:DWORD
	v_or_b32_sdwa v192, v48, v47 dst_sel:DWORD dst_unused:UNUSED_PAD src0_sel:WORD_0 src1_sel:DWORD
	v_add_nc_u32_e32 v47, 0x2110, v179
	v_dot4c_i32_i8 v213, v192, v41
	ds_read2_b32 v[47:48], v47 offset1:1
	s_waitcnt lgkmcnt(1)
	v_ashrrev_i32_e32 v193, s1, v193
	v_ashrrev_i32_e32 v194, s1, v194
	v_lshlrev_b32_e32 v193, 2, v193
	v_lshlrev_b32_e32 v194, 2, v194
	v_and_b32_e32 v193, 0x4040404, v193
	v_and_b32_e32 v194, 0x4040404, v194
	s_waitcnt lgkmcnt(0)
	v_ashrrev_i32_e32 v47, s15, v47
	v_lshrrev_b16 v201, 8, v193
	v_lshrrev_b32_e32 v199, 16, v193
	v_lshrrev_b32_e32 v200, 24, v193
	;; [unrolled: 47-line block ×3, first 2 shown]
	v_and_b32_e32 v197, 0x3030303, v47
	v_bfe_u32 v47, v47, 24, 2
	v_lshrrev_b16 v199, 8, v197
	v_lshrrev_b32_e32 v198, 16, v197
	v_sub_nc_u16 v195, v197, v195
	v_sub_nc_u16 v47, v47, v201
	v_lshrrev_b16 v201, 8, v196
	v_sub_nc_u16 v197, v199, v202
	v_lshrrev_b32_e32 v199, 16, v196
	v_lshlrev_b16 v47, 8, v47
	v_lshlrev_b16 v197, 8, v197
	v_or_b32_sdwa v195, v195, v197 dst_sel:DWORD dst_unused:UNUSED_PAD src0_sel:BYTE_0 src1_sel:DWORD
	v_sub_nc_u16 v197, v198, v200
	v_lshrrev_b32_e32 v200, 24, v196
	v_or_b32_sdwa v47, v197, v47 dst_sel:WORD_1 dst_unused:UNUSED_PAD src0_sel:BYTE_0 src1_sel:DWORD
	v_or_b32_sdwa v195, v195, v47 dst_sel:DWORD dst_unused:UNUSED_PAD src0_sel:WORD_0 src1_sel:DWORD
	v_ashrrev_i32_e32 v47, s15, v48
	v_dot4c_i32_i8 v215, v195, v36
	v_and_b32_e32 v48, 0x3030303, v47
	v_bfe_u32 v47, v47, 24, 2
	v_lshrrev_b16 v198, 8, v48
	v_lshrrev_b32_e32 v197, 16, v48
	v_sub_nc_u16 v48, v48, v196
	v_sub_nc_u16 v47, v47, v200
	;; [unrolled: 1-line block ×3, first 2 shown]
	v_add3_u32 v201, s18, v162, v123
	v_lshlrev_b16 v47, 8, v47
	v_lshlrev_b16 v196, 8, v196
	ds_read2_b32 v[202:203], v201 offset1:1
	v_or_b32_sdwa v48, v48, v196 dst_sel:DWORD dst_unused:UNUSED_PAD src0_sel:BYTE_0 src1_sel:DWORD
	v_sub_nc_u16 v196, v197, v199
	v_or_b32_sdwa v47, v196, v47 dst_sel:WORD_1 dst_unused:UNUSED_PAD src0_sel:BYTE_0 src1_sel:DWORD
	v_or_b32_sdwa v197, v48, v47 dst_sel:DWORD dst_unused:UNUSED_PAD src0_sel:WORD_0 src1_sel:DWORD
	v_add3_u32 v47, s17, v161, v122
	v_dot4c_i32_i8 v215, v197, v37
	ds_read_b32 v196, v47
	v_add_nc_u32_e32 v47, 0x3180, v179
	s_waitcnt lgkmcnt(1)
	v_ashrrev_i32_e32 v202, s1, v202
	ds_read2_b32 v[47:48], v47 offset1:1
	v_lshlrev_b32_e32 v202, 2, v202
	v_and_b32_e32 v202, 0x4040404, v202
	v_lshrrev_b32_e32 v205, 24, v202
	v_lshrrev_b16 v210, 8, v202
	v_lshrrev_b32_e32 v204, 16, v202
	s_waitcnt lgkmcnt(0)
	v_ashrrev_i32_e32 v198, s15, v47
	v_and_b32_e32 v199, 0x3030303, v198
	v_bfe_u32 v198, v198, 24, 2
	v_lshrrev_b16 v200, 8, v199
	v_lshrrev_b32_e32 v47, 16, v199
	v_sub_nc_u16 v198, v198, v205
	v_sub_nc_u16 v199, v199, v202
	;; [unrolled: 1-line block ×4, first 2 shown]
	v_lshlrev_b16 v198, 8, v198
	v_lshlrev_b16 v200, 8, v200
	v_or_b32_sdwa v47, v47, v198 dst_sel:WORD_1 dst_unused:UNUSED_PAD src0_sel:BYTE_0 src1_sel:DWORD
	v_or_b32_sdwa v199, v199, v200 dst_sel:DWORD dst_unused:UNUSED_PAD src0_sel:BYTE_0 src1_sel:DWORD
	v_ashrrev_i32_e32 v200, s1, v203
	v_or_b32_sdwa v202, v199, v47 dst_sel:DWORD dst_unused:UNUSED_PAD src0_sel:WORD_0 src1_sel:DWORD
	v_ashrrev_i32_e32 v47, s15, v48
	v_lshlrev_b32_e32 v200, 2, v200
	v_and_b32_e32 v48, 0x3030303, v47
	v_and_b32_e32 v200, 0x4040404, v200
	v_bfe_u32 v47, v47, 24, 2
	v_lshrrev_b16 v199, 8, v48
	v_lshrrev_b32_e32 v204, 24, v200
	v_lshrrev_b16 v205, 8, v200
	v_lshrrev_b32_e32 v198, 16, v48
	v_lshrrev_b32_e32 v203, 16, v200
	v_sub_nc_u16 v48, v48, v200
	v_sub_nc_u16 v47, v47, v204
	;; [unrolled: 1-line block ×4, first 2 shown]
	v_lshlrev_b16 v47, 8, v47
	v_lshlrev_b16 v199, 8, v199
	v_or_b32_sdwa v47, v198, v47 dst_sel:WORD_1 dst_unused:UNUSED_PAD src0_sel:BYTE_0 src1_sel:DWORD
	v_or_b32_sdwa v48, v48, v199 dst_sel:DWORD dst_unused:UNUSED_PAD src0_sel:BYTE_0 src1_sel:DWORD
	ds_read2_b32 v[198:199], v201 offset0:2 offset1:3
	v_or_b32_sdwa v203, v48, v47 dst_sel:DWORD dst_unused:UNUSED_PAD src0_sel:WORD_0 src1_sel:DWORD
	v_add_nc_u32_e32 v47, 0x3188, v179
	ds_read2_b32 v[47:48], v47 offset1:1
	s_waitcnt lgkmcnt(1)
	v_ashrrev_i32_e32 v198, s1, v198
	v_ashrrev_i32_e32 v199, s1, v199
	v_lshlrev_b32_e32 v198, 2, v198
	v_lshlrev_b32_e32 v199, 2, v199
	s_waitcnt lgkmcnt(0)
	v_ashrrev_i32_e32 v47, s15, v47
	v_and_b32_e32 v198, 0x4040404, v198
	v_and_b32_e32 v199, 0x4040404, v199
	;; [unrolled: 1-line block ×3, first 2 shown]
	v_lshrrev_b16 v217, 8, v198
	v_bfe_u32 v47, v47, 24, 2
	v_lshrrev_b32_e32 v210, 16, v198
	v_lshrrev_b32_e32 v216, 24, v198
	v_lshrrev_b16 v205, 8, v200
	v_lshrrev_b32_e32 v204, 16, v200
	v_sub_nc_u16 v198, v200, v198
	v_sub_nc_u16 v47, v47, v216
	;; [unrolled: 1-line block ×3, first 2 shown]
	v_lshrrev_b16 v216, 8, v199
	v_lshrrev_b32_e32 v205, 16, v199
	v_lshlrev_b16 v47, 8, v47
	v_lshlrev_b16 v200, 8, v200
	v_or_b32_sdwa v198, v198, v200 dst_sel:DWORD dst_unused:UNUSED_PAD src0_sel:BYTE_0 src1_sel:DWORD
	v_sub_nc_u16 v200, v204, v210
	v_lshrrev_b32_e32 v210, 24, v199
	v_or_b32_sdwa v47, v200, v47 dst_sel:WORD_1 dst_unused:UNUSED_PAD src0_sel:BYTE_0 src1_sel:DWORD
	v_or_b32_sdwa v204, v198, v47 dst_sel:DWORD dst_unused:UNUSED_PAD src0_sel:WORD_0 src1_sel:DWORD
	v_ashrrev_i32_e32 v47, s15, v48
	v_and_b32_e32 v48, 0x3030303, v47
	v_bfe_u32 v47, v47, 24, 2
	v_lshrrev_b16 v200, 8, v48
	v_lshrrev_b32_e32 v198, 16, v48
	v_sub_nc_u16 v48, v48, v199
	v_sub_nc_u16 v47, v47, v210
	;; [unrolled: 1-line block ×4, first 2 shown]
	v_lshlrev_b16 v47, 8, v47
	v_lshlrev_b16 v199, 8, v199
	v_or_b32_sdwa v47, v198, v47 dst_sel:WORD_1 dst_unused:UNUSED_PAD src0_sel:BYTE_0 src1_sel:DWORD
	v_or_b32_sdwa v48, v48, v199 dst_sel:DWORD dst_unused:UNUSED_PAD src0_sel:BYTE_0 src1_sel:DWORD
	ds_read2_b32 v[199:200], v201 offset0:4 offset1:5
	v_or_b32_sdwa v205, v48, v47 dst_sel:DWORD dst_unused:UNUSED_PAD src0_sel:WORD_0 src1_sel:DWORD
	v_add_nc_u32_e32 v47, 0x3190, v179
	ds_read2_b32 v[47:48], v47 offset1:1
	s_waitcnt lgkmcnt(1)
	v_ashrrev_i32_e32 v199, s1, v199
	v_ashrrev_i32_e32 v200, s1, v200
	v_lshlrev_b32_e32 v199, 2, v199
	v_lshlrev_b32_e32 v200, 2, v200
	s_waitcnt lgkmcnt(0)
	v_ashrrev_i32_e32 v47, s15, v47
	v_and_b32_e32 v199, 0x4040404, v199
	v_and_b32_e32 v200, 0x4040404, v200
	;; [unrolled: 1-line block ×3, first 2 shown]
	v_lshrrev_b16 v219, 8, v199
	v_bfe_u32 v47, v47, 24, 2
	v_lshrrev_b32_e32 v217, 16, v199
	v_lshrrev_b32_e32 v218, 24, v199
	v_lshrrev_b16 v216, 8, v198
	v_lshrrev_b32_e32 v210, 16, v198
	v_sub_nc_u16 v198, v198, v199
	v_sub_nc_u16 v47, v47, v218
	;; [unrolled: 1-line block ×3, first 2 shown]
	v_lshrrev_b16 v218, 8, v200
	v_lshrrev_b32_e32 v216, 16, v200
	v_lshlrev_b16 v47, 8, v47
	v_lshlrev_b16 v199, 8, v199
	v_or_b32_sdwa v198, v198, v199 dst_sel:DWORD dst_unused:UNUSED_PAD src0_sel:BYTE_0 src1_sel:DWORD
	v_sub_nc_u16 v199, v210, v217
	v_lshrrev_b32_e32 v217, 24, v200
	v_or_b32_sdwa v47, v199, v47 dst_sel:WORD_1 dst_unused:UNUSED_PAD src0_sel:BYTE_0 src1_sel:DWORD
	v_or_b32_sdwa v199, v198, v47 dst_sel:DWORD dst_unused:UNUSED_PAD src0_sel:WORD_0 src1_sel:DWORD
	v_ashrrev_i32_e32 v47, s15, v48
	v_and_b32_e32 v48, 0x3030303, v47
	v_bfe_u32 v47, v47, 24, 2
	v_lshrrev_b16 v210, 8, v48
	v_lshrrev_b32_e32 v198, 16, v48
	v_sub_nc_u16 v48, v48, v200
	v_sub_nc_u16 v47, v47, v217
	;; [unrolled: 1-line block ×4, first 2 shown]
	v_lshlrev_b16 v47, 8, v47
	v_lshlrev_b16 v200, 8, v200
	v_or_b32_sdwa v47, v198, v47 dst_sel:WORD_1 dst_unused:UNUSED_PAD src0_sel:BYTE_0 src1_sel:DWORD
	v_or_b32_sdwa v48, v48, v200 dst_sel:DWORD dst_unused:UNUSED_PAD src0_sel:BYTE_0 src1_sel:DWORD
	ds_read2_b32 v[200:201], v201 offset0:6 offset1:7
	v_or_b32_sdwa v198, v48, v47 dst_sel:DWORD dst_unused:UNUSED_PAD src0_sel:WORD_0 src1_sel:DWORD
	v_add_nc_u32_e32 v47, 0x3198, v179
	ds_read2_b32 v[47:48], v47 offset1:1
	s_waitcnt lgkmcnt(1)
	v_ashrrev_i32_e32 v200, s1, v200
	v_ashrrev_i32_e32 v201, s1, v201
	s_add_i32 s1, s1, 1
	s_cmp_lt_u32 s15, 6
	v_lshlrev_b32_e32 v200, 2, v200
	v_lshlrev_b32_e32 v201, 2, v201
	s_waitcnt lgkmcnt(0)
	v_ashrrev_i32_e32 v47, s15, v47
	v_and_b32_e32 v200, 0x4040404, v200
	v_and_b32_e32 v201, 0x4040404, v201
	;; [unrolled: 1-line block ×3, first 2 shown]
	v_bfe_u32 v47, v47, 24, 2
	v_lshrrev_b16 v219, 8, v200
	v_lshrrev_b32_e32 v217, 16, v200
	v_lshrrev_b32_e32 v218, 24, v200
	v_lshrrev_b16 v216, 8, v179
	v_lshrrev_b32_e32 v210, 16, v179
	v_sub_nc_u16 v179, v179, v200
	v_sub_nc_u16 v47, v47, v218
	;; [unrolled: 1-line block ×3, first 2 shown]
	v_lshrrev_b32_e32 v216, 16, v201
	v_lshrrev_b16 v218, 8, v201
	v_mov_b32_e32 v219, 0
	v_lshlrev_b16 v47, 8, v47
	v_lshlrev_b16 v200, 8, v200
	v_or_b32_sdwa v179, v179, v200 dst_sel:DWORD dst_unused:UNUSED_PAD src0_sel:BYTE_0 src1_sel:DWORD
	v_sub_nc_u16 v200, v210, v217
	v_lshrrev_b32_e32 v217, 24, v201
	v_or_b32_sdwa v47, v200, v47 dst_sel:WORD_1 dst_unused:UNUSED_PAD src0_sel:BYTE_0 src1_sel:DWORD
	v_or_b32_sdwa v200, v179, v47 dst_sel:DWORD dst_unused:UNUSED_PAD src0_sel:WORD_0 src1_sel:DWORD
	v_ashrrev_i32_e32 v47, s15, v48
	v_and_b32_e32 v48, 0x3030303, v47
	v_bfe_u32 v47, v47, 24, 2
	v_lshrrev_b32_e32 v179, 16, v48
	v_lshrrev_b16 v210, 8, v48
	v_sub_nc_u16 v48, v48, v201
	v_sub_nc_u16 v47, v47, v217
	v_add_nc_u32_e32 v217, s16, v135
	v_sub_nc_u16 v179, v179, v216
	v_sub_nc_u16 v201, v210, v218
	v_mov_b32_e32 v216, 0
	v_mov_b32_e32 v218, 0
	v_lshlrev_b16 v47, 8, v47
	s_mov_b32 s16, s15
	v_lshlrev_b16 v201, 8, v201
	v_dot4c_i32_i8 v216, v202, v38
	v_dot4c_i32_i8 v218, v199, v34
	v_or_b32_sdwa v47, v179, v47 dst_sel:WORD_1 dst_unused:UNUSED_PAD src0_sel:BYTE_0 src1_sel:DWORD
	v_or_b32_sdwa v48, v48, v201 dst_sel:DWORD dst_unused:UNUSED_PAD src0_sel:BYTE_0 src1_sel:DWORD
	v_dot4c_i32_i8 v216, v203, v39
	v_dot4c_i32_i8 v218, v198, v35
	v_or_b32_sdwa v201, v48, v47 dst_sel:DWORD dst_unused:UNUSED_PAD src0_sel:WORD_0 src1_sel:DWORD
	v_add3_u32 v47, s17, v163, v124
	v_dot4c_i32_i8 v216, v204, v40
	v_dot4c_i32_i8 v218, v200, v36
	ds_read_b32 v179, v47
	v_dot4c_i32_i8 v216, v205, v41
	v_dot4c_i32_i8 v218, v201, v37
	ds_read_b128 v[34:37], v168 offset:1024
	ds_read_b128 v[38:41], v168 offset:1040
	s_waitcnt lgkmcnt(1)
	v_dot4c_i32_i8 v231, v170, v34
	s_waitcnt lgkmcnt(0)
	v_dot4c_i32_i8 v236, v174, v38
	v_dot4c_i32_i8 v226, v180, v34
	;; [unrolled: 1-line block ×31, first 2 shown]
	ds_read2_b32 v[47:48], v169 offset0:64 offset1:96
	ds_read_b128 v[34:37], v168 offset:2048
	ds_read_b128 v[38:41], v168 offset:2064
	s_waitcnt lgkmcnt(1)
	v_dot4c_i32_i8 v234, v170, v34
	s_waitcnt lgkmcnt(0)
	v_dot4c_i32_i8 v233, v174, v38
	v_dot4c_i32_i8 v229, v180, v34
	v_dot4c_i32_i8 v230, v184, v38
	v_dot4c_i32_i8 v227, v189, v34
	v_dot4c_i32_i8 v228, v193, v38
	v_dot4c_i32_i8 v221, v202, v34
	v_dot4c_i32_i8 v222, v199, v38
	v_dot4c_i32_i8 v234, v171, v35
	v_dot4c_i32_i8 v233, v175, v39
	v_dot4c_i32_i8 v229, v181, v35
	v_dot4c_i32_i8 v230, v185, v39
	v_dot4c_i32_i8 v227, v190, v35
	v_dot4c_i32_i8 v228, v194, v39
	v_dot4c_i32_i8 v221, v203, v35
	v_dot4c_i32_i8 v222, v198, v39
	v_dot4c_i32_i8 v234, v172, v36
	v_dot4c_i32_i8 v233, v176, v40
	v_dot4c_i32_i8 v229, v182, v36
	v_dot4c_i32_i8 v230, v186, v40
	v_dot4c_i32_i8 v227, v191, v36
	v_dot4c_i32_i8 v228, v195, v40
	v_dot4c_i32_i8 v221, v204, v36
	v_dot4c_i32_i8 v222, v200, v40
	v_dot4c_i32_i8 v234, v173, v37
	v_dot4c_i32_i8 v233, v178, v41
	v_dot4c_i32_i8 v229, v183, v37
	v_dot4c_i32_i8 v230, v188, v41
	v_dot4c_i32_i8 v227, v192, v37
	v_dot4c_i32_i8 v228, v197, v41
	v_dot4c_i32_i8 v221, v205, v37
	v_dot4c_i32_i8 v222, v201, v41
	ds_read_b128 v[38:41], v168 offset:3072
	ds_read_b128 v[34:37], v168 offset:3088
	ds_read_u16 v210, v209 offset:2
	ds_read_u16 v207, v207 offset:2
	s_waitcnt lgkmcnt(3)
	v_dot4c_i32_i8 v232, v170, v38
	s_waitcnt lgkmcnt(2)
	v_dot4c_i32_i8 v235, v174, v34
	s_waitcnt lgkmcnt(1)
	v_lshrrev_b16 v209, 8, v210
	v_bfe_i32 v210, v210, 0, 8
	v_dot4c_i32_i8 v232, v171, v39
	v_dot4c_i32_i8 v235, v175, v35
	v_bfe_i32 v209, v209, 0, 8
	v_mul_lo_u32 v231, v231, v210
	v_dot4c_i32_i8 v232, v172, v40
	v_dot4c_i32_i8 v235, v176, v36
	v_mul_lo_u32 v233, v233, v209
	v_mul_lo_u32 v212, v212, v209
	v_dot4c_i32_i8 v232, v173, v41
	v_dot4c_i32_i8 v235, v178, v37
	v_mul_lo_u32 v232, v232, v210
	v_mad_u64_u32 v[233:234], null, v234, v210, v[233:234]
	v_mad_u64_u32 v[211:212], null, v211, v210, v[212:213]
	v_mul_f32_e32 v212, v177, v46
	v_mad_u64_u32 v[234:235], null, v235, v209, v[232:233]
                                        ; kill: def $vgpr232 killed $sgpr0 killed $exec
	v_cvt_f32_i32_e32 v211, v211
	v_mad_u64_u32 v[231:232], null, v236, v209, v[231:232]
	v_mul_f32_e32 v232, v177, v45
	v_mul_f32_e32 v236, v177, v47
	;; [unrolled: 1-line block ×3, first 2 shown]
	v_cvt_f32_i32_e32 v234, v234
	v_cvt_f32_i32_e32 v233, v233
	v_fma_f32 v19, v232, v211, v19
	v_cvt_f32_i32_e32 v231, v231
	v_mov_b32_e32 v232, 0
	s_waitcnt lgkmcnt(0)
	v_lshrrev_b16 v211, 8, v207
	v_fma_f32 v21, v236, v233, v21
	v_fma_f32 v20, v235, v234, v20
	v_fmac_f32_e32 v18, v212, v231
	v_mov_b32_e32 v231, 0
	v_dot4c_i32_i8 v232, v184, v34
	v_bfe_i32 v211, v211, 0, 8
	v_bfe_i32 v212, v207, 0, 8
	v_mov_b32_e32 v233, 0
	v_dot4c_i32_i8 v231, v180, v38
	v_dot4c_i32_i8 v232, v185, v35
	v_mul_lo_u32 v230, v230, v211
	v_mul_lo_u32 v207, v226, v212
	;; [unrolled: 1-line block ×3, first 2 shown]
	v_dot4c_i32_i8 v231, v181, v39
	v_dot4c_i32_i8 v232, v186, v36
	v_mov_b32_e32 v234, 0
	v_mov_b32_e32 v235, 0
	;; [unrolled: 1-line block ×3, first 2 shown]
	v_dot4c_i32_i8 v231, v182, v40
	v_dot4c_i32_i8 v232, v188, v37
	;; [unrolled: 1-line block ×3, first 2 shown]
	v_mul_lo_u32 v226, v231, v212
                                        ; kill: def $vgpr231 killed $sgpr0 killed $exec
	v_mad_u64_u32 v[229:230], null, v229, v212, v[230:231]
	v_mad_u64_u32 v[230:231], null, v232, v211, v[226:227]
	;; [unrolled: 1-line block ×4, first 2 shown]
	v_mul_f32_e32 v207, v187, v46
	v_mul_f32_e32 v225, v187, v48
	v_cvt_f32_i32_e32 v230, v230
	v_mul_f32_e32 v226, v187, v47
	v_cvt_f32_i32_e32 v229, v229
	;; [unrolled: 2-line block ×3, first 2 shown]
	v_fma_f32 v32, v225, v230, v32
	v_mov_b32_e32 v225, 0
	v_fma_f32 v33, v226, v229, v33
	v_mov_b32_e32 v226, 0
	v_fmac_f32_e32 v30, v207, v206
	ds_read_u16 v206, v214 offset:2
	v_dot4c_i32_i8 v225, v189, v38
	v_cvt_f32_i32_e32 v231, v231
	v_dot4c_i32_i8 v226, v193, v34
	v_mov_b32_e32 v229, 0
	v_mov_b32_e32 v230, 0
	v_dot4c_i32_i8 v225, v190, v39
	v_fma_f32 v31, v208, v231, v31
	v_dot4c_i32_i8 v226, v194, v35
	v_mov_b32_e32 v231, 0
	v_mov_b32_e32 v232, 0
	v_dot4c_i32_i8 v225, v191, v40
	v_dot4c_i32_i8 v226, v195, v36
	;; [unrolled: 1-line block ×4, first 2 shown]
	s_waitcnt lgkmcnt(0)
	v_lshrrev_b16 v207, 8, v206
	v_bfe_i32 v214, v206, 0, 8
	v_bfe_i32 v208, v207, 0, 8
	v_mul_lo_u32 v206, v224, v214
	v_mul_lo_u32 v224, v228, v208
	;; [unrolled: 1-line block ×4, first 2 shown]
                                        ; kill: def $vgpr225 killed $sgpr0 killed $exec
	v_mad_u64_u32 v[224:225], null, v227, v214, v[224:225]
	v_mad_u64_u32 v[225:226], null, v226, v208, v[215:216]
	;; [unrolled: 1-line block ×3, first 2 shown]
	v_mul_f32_e32 v213, v196, v45
                                        ; kill: def $vgpr207 killed $sgpr0 killed $exec
	v_mul_f32_e32 v215, v196, v48
	v_mad_u64_u32 v[206:207], null, v223, v208, v[206:207]
	v_mul_f32_e32 v207, v196, v46
	v_mul_f32_e32 v223, v196, v47
	v_cvt_f32_i32_e32 v226, v226
	v_cvt_f32_i32_e32 v225, v225
	;; [unrolled: 1-line block ×4, first 2 shown]
	v_fma_f32 v27, v213, v226, v27
	v_mov_b32_e32 v213, 0
	v_fma_f32 v28, v215, v225, v28
	v_fma_f32 v29, v223, v224, v29
	v_fmac_f32_e32 v26, v207, v206
	v_mov_b32_e32 v223, 0
	v_dot4c_i32_i8 v213, v202, v38
                                        ; kill: def $vgpr38 killed $sgpr0 killed $exec
	v_mov_b32_e32 v224, 0
	v_mov_b32_e32 v215, 0
	v_dot4c_i32_i8 v213, v203, v39
	v_mov_b32_e32 v39, 0
	v_dot4c_i32_i8 v213, v204, v40
	v_dot4c_i32_i8 v39, v199, v34
	ds_read_u16 v34, v217 offset:2
	v_mov_b32_e32 v217, 0
	v_dot4c_i32_i8 v213, v205, v41
	v_dot4c_i32_i8 v39, v198, v35
	v_mul_f32_e32 v41, v179, v47
	v_mov_b32_e32 v47, 0
	v_dot4c_i32_i8 v39, v200, v36
	v_dot4c_i32_i8 v39, v201, v37
	s_waitcnt lgkmcnt(0)
	v_lshrrev_b16 v35, 8, v34
	v_bfe_i32 v207, v34, 0, 8
	v_bfe_i32 v206, v35, 0, 8
	v_mul_lo_u32 v36, v213, v207
	v_mul_lo_u32 v34, v220, v207
	v_mov_b32_e32 v213, 0
	v_mov_b32_e32 v220, 0
	v_mul_lo_u32 v37, v222, v206
	v_mul_lo_u32 v35, v218, v206
	v_mov_b32_e32 v218, 0
	v_mov_b32_e32 v222, 0
	v_mad_u64_u32 v[37:38], null, v221, v207, v[37:38]
	v_mov_b32_e32 v221, 0
	v_mad_u64_u32 v[38:39], null, v39, v206, v[36:37]
                                        ; kill: def $vgpr36 killed $sgpr0 killed $exec
	v_cvt_f32_i32_e32 v37, v37
	v_mad_u64_u32 v[35:36], null, v216, v207, v[35:36]
	v_mul_f32_e32 v36, v179, v45
	v_mov_b32_e32 v216, 0
	v_fma_f32 v25, v41, v37, v25
	v_cvt_f32_i32_e32 v38, v38
	v_mad_u64_u32 v[39:40], null, v219, v206, v[34:35]
	v_mul_f32_e32 v34, v179, v46
	v_mul_f32_e32 v40, v179, v48
	v_cvt_f32_i32_e32 v35, v35
	v_mov_b32_e32 v219, 0
	v_mov_b32_e32 v48, 0
	v_cvt_f32_i32_e32 v39, v39
	v_fma_f32 v24, v40, v38, v24
	v_fma_f32 v23, v36, v35, v23
	v_fmac_f32_e32 v22, v34, v39
	ds_read2_b32 v[45:46], v169 offset0:128 offset1:160
	ds_read_b128 v[38:41], v168 offset:4096
	ds_read_b128 v[34:37], v168 offset:4112
	s_waitcnt lgkmcnt(1)
	v_dot4c_i32_i8 v213, v170, v38
	v_dot4c_i32_i8 v217, v180, v38
	;; [unrolled: 1-line block ×4, first 2 shown]
	s_waitcnt lgkmcnt(0)
	v_dot4c_i32_i8 v221, v174, v34
	v_dot4c_i32_i8 v213, v171, v39
	v_dot4c_i32_i8 v217, v181, v39
	v_dot4c_i32_i8 v218, v190, v39
	v_dot4c_i32_i8 v47, v203, v39
	v_dot4c_i32_i8 v220, v184, v34
	v_dot4c_i32_i8 v213, v172, v40
	v_dot4c_i32_i8 v217, v182, v40
	v_dot4c_i32_i8 v218, v191, v40
	v_dot4c_i32_i8 v47, v204, v40
	v_mov_b32_e32 v40, 0
	v_dot4c_i32_i8 v219, v193, v34
	v_dot4c_i32_i8 v221, v175, v35
	;; [unrolled: 1-line block ×17, first 2 shown]
	v_mov_b32_e32 v41, 0
	v_dot4c_i32_i8 v40, v201, v37
	ds_read_b128 v[34:37], v168 offset:5120
	ds_read_b128 v[225:228], v168 offset:5136
	s_waitcnt lgkmcnt(1)
	v_dot4c_i32_i8 v229, v170, v34
	s_waitcnt lgkmcnt(0)
	v_dot4c_i32_i8 v230, v174, v225
	v_dot4c_i32_i8 v223, v180, v34
	;; [unrolled: 1-line block ×31, first 2 shown]
	ds_read2_b32 v[38:39], v169 offset0:192 offset1:224
	ds_read_b128 v[34:37], v168 offset:6144
	ds_read_b128 v[225:228], v168 offset:6160
	v_add_nc_u32_e32 v169, 4, v169
	v_mul_lo_u32 v41, v41, v207
	s_waitcnt lgkmcnt(1)
	v_dot4c_i32_i8 v232, v170, v34
	s_waitcnt lgkmcnt(0)
	v_dot4c_i32_i8 v233, v174, v225
	v_dot4c_i32_i8 v234, v180, v34
	;; [unrolled: 1-line block ×31, first 2 shown]
	ds_read_b128 v[225:228], v168 offset:7168
	ds_read_b128 v[34:37], v168 offset:7184
	v_add_nc_u32_e32 v168, 32, v168
	s_waitcnt lgkmcnt(1)
	v_dot4c_i32_i8 v238, v170, v225
	s_waitcnt lgkmcnt(0)
	v_dot4c_i32_i8 v239, v174, v34
                                        ; kill: def $vgpr174 killed $sgpr0 killed $exec
	v_mul_lo_u32 v170, v229, v210
	v_dot4c_i32_i8 v238, v171, v226
	v_dot4c_i32_i8 v239, v175, v35
	v_mul_lo_u32 v171, v221, v209
	v_dot4c_i32_i8 v238, v172, v227
	v_dot4c_i32_i8 v239, v176, v36
	;; [unrolled: 1-line block ×3, first 2 shown]
	v_mul_lo_u32 v173, v233, v209
	v_dot4c_i32_i8 v239, v178, v37
	v_mul_lo_u32 v172, v238, v210
	v_mad_u64_u32 v[173:174], null, v232, v210, v[173:174]
	v_mad_u64_u32 v[174:175], null, v239, v209, v[172:173]
                                        ; kill: def $vgpr172 killed $sgpr0 killed $exec
	v_cvt_f32_i32_e32 v173, v173
	v_mad_u64_u32 v[171:172], null, v213, v210, v[171:172]
	v_mul_f32_e32 v172, v177, v45
	v_cvt_f32_i32_e32 v174, v174
	v_mad_u64_u32 v[175:176], null, v230, v209, v[170:171]
	v_cvt_f32_i32_e32 v171, v171
	v_mul_f32_e32 v170, v177, v46
	v_mul_f32_e32 v176, v177, v39
	;; [unrolled: 1-line block ×3, first 2 shown]
	v_fma_f32 v15, v172, v171, v15
	v_mov_b32_e32 v172, 0
	v_cvt_f32_i32_e32 v175, v175
	v_fma_f32 v17, v177, v173, v17
	v_mul_lo_u32 v173, v235, v211
	v_fma_f32 v16, v176, v174, v16
	v_dot4c_i32_i8 v172, v180, v225
	v_fmac_f32_e32 v14, v170, v175
	v_mov_b32_e32 v175, 0
                                        ; kill: def $vgpr174 killed $sgpr0 killed $exec
	v_mul_lo_u32 v171, v220, v211
	v_mul_lo_u32 v170, v223, v212
	v_dot4c_i32_i8 v172, v181, v226
	v_mad_u64_u32 v[173:174], null, v234, v212, v[173:174]
	v_dot4c_i32_i8 v175, v184, v34
	v_mul_f32_e32 v177, v187, v38
	v_dot4c_i32_i8 v172, v182, v227
	v_dot4c_i32_i8 v175, v185, v35
	;; [unrolled: 1-line block ×4, first 2 shown]
	v_mul_lo_u32 v172, v172, v212
	v_dot4c_i32_i8 v175, v188, v37
	v_mad_u64_u32 v[174:175], null, v175, v211, v[172:173]
                                        ; kill: def $vgpr172 killed $sgpr0 killed $exec
	v_cvt_f32_i32_e32 v173, v173
	v_mad_u64_u32 v[171:172], null, v217, v212, v[171:172]
	v_mul_f32_e32 v172, v187, v45
	v_fma_f32 v13, v177, v173, v13
	v_mul_lo_u32 v173, v237, v208
	v_cvt_f32_i32_e32 v174, v174
	v_mul_f32_e32 v177, v196, v38
	v_mad_u64_u32 v[175:176], null, v231, v211, v[170:171]
	v_cvt_f32_i32_e32 v171, v171
	v_mul_f32_e32 v170, v187, v46
	v_mul_f32_e32 v176, v187, v39
	v_fma_f32 v11, v172, v171, v11
	v_mov_b32_e32 v172, 0
	v_cvt_f32_i32_e32 v175, v175
	v_fma_f32 v12, v176, v174, v12
                                        ; kill: def $vgpr174 killed $sgpr0 killed $exec
	v_mul_lo_u32 v171, v219, v208
	v_mad_u64_u32 v[173:174], null, v236, v214, v[173:174]
	v_dot4c_i32_i8 v172, v189, v225
	v_fmac_f32_e32 v10, v170, v175
	v_mov_b32_e32 v175, 0
	v_mul_lo_u32 v170, v224, v214
	v_dot4c_i32_i8 v172, v190, v226
	v_dot4c_i32_i8 v175, v193, v34
	;; [unrolled: 1-line block ×6, first 2 shown]
	v_mul_lo_u32 v172, v172, v214
	v_dot4c_i32_i8 v175, v197, v37
	v_mad_u64_u32 v[174:175], null, v175, v208, v[172:173]
                                        ; kill: def $vgpr172 killed $sgpr0 killed $exec
	v_cvt_f32_i32_e32 v173, v173
	v_mad_u64_u32 v[171:172], null, v218, v214, v[171:172]
	v_mul_f32_e32 v172, v196, v45
	v_fma_f32 v9, v177, v173, v9
	v_cvt_f32_i32_e32 v174, v174
	v_mad_u64_u32 v[175:176], null, v222, v208, v[170:171]
	v_mul_f32_e32 v170, v196, v46
	v_cvt_f32_i32_e32 v171, v171
	v_mul_f32_e32 v176, v196, v39
	v_mul_f32_e32 v39, v179, v39
	v_cvt_f32_i32_e32 v175, v175
	v_fma_f32 v7, v172, v171, v7
	v_mov_b32_e32 v171, 0
	v_fma_f32 v8, v176, v174, v8
	v_fmac_f32_e32 v6, v170, v175
	v_mov_b32_e32 v170, 0
	v_dot4c_i32_i8 v171, v199, v34
	v_mul_lo_u32 v34, v216, v206
	v_dot4c_i32_i8 v170, v202, v225
	v_dot4c_i32_i8 v171, v198, v35
                                        ; kill: def $vgpr35 killed $sgpr0 killed $exec
	v_dot4c_i32_i8 v170, v203, v226
	v_dot4c_i32_i8 v171, v200, v36
	v_mad_u64_u32 v[34:35], null, v215, v207, v[34:35]
	v_dot4c_i32_i8 v170, v204, v227
	v_dot4c_i32_i8 v171, v201, v37
	v_mul_lo_u32 v37, v40, v206
	v_mad_u64_u32 v[40:41], null, v48, v206, v[41:42]
	v_dot4c_i32_i8 v170, v205, v228
	v_mul_f32_e32 v41, v179, v45
	v_cvt_f32_i32_e32 v34, v34
	v_mul_lo_u32 v36, v170, v207
	v_cvt_f32_i32_e32 v40, v40
	v_mad_u64_u32 v[35:36], null, v171, v206, v[36:37]
	v_mad_u64_u32 v[36:37], null, v47, v207, v[37:38]
	v_mul_f32_e32 v37, v179, v46
	v_mul_f32_e32 v38, v179, v38
	v_cvt_f32_i32_e32 v35, v35
	v_fmac_f32_e32 v2, v37, v40
	v_cvt_f32_i32_e32 v36, v36
	v_fma_f32 v5, v38, v34, v5
	v_fma_f32 v4, v39, v35, v4
	;; [unrolled: 1-line block ×3, first 2 shown]
	s_cbranch_scc1 .LBB169_7
; %bb.8:                                ;   in Loop: Header=BB169_6 Depth=1
	v_add_nc_u32_e32 v168, s0, v125
	v_add_nc_u32_e32 v47, 4, v167
	s_barrier
	buffer_gl0_inv
	v_add_nc_u32_e32 v34, v168, v109
	v_add_nc_u32_e32 v36, v168, v110
	;; [unrolled: 1-line block ×5, first 2 shown]
	v_mad_u64_u32 v[47:48], null, v47, 36, s[2:3]
	v_mad_i64_i32 v[34:35], null, v34, 36, v[43:44]
	v_add_nc_u32_e32 v169, v168, v114
	v_mad_i64_i32 v[36:37], null, v36, 36, v[43:44]
	v_add_nc_u32_e32 v170, v168, v115
	;; [unrolled: 2-line block ×3, first 2 shown]
	v_mad_i64_i32 v[40:41], null, v40, 36, v[43:44]
	v_mad_i64_i32 v[45:46], null, v45, 36, v[43:44]
	v_mad_i64_i32 v[168:169], null, v169, 36, v[43:44]
	v_mad_i64_i32 v[170:171], null, v170, 36, v[43:44]
	v_mad_i64_i32 v[172:173], null, v172, 36, v[43:44]
	s_clause 0x8
	global_load_dword v47, v[47:48], off
	global_load_dword v34, v[34:35], off offset:4
	global_load_dword v35, v[36:37], off offset:4
	global_load_dword v36, v[38:39], off offset:4
	global_load_dword v37, v[40:41], off offset:4
	global_load_dword v38, v[45:46], off offset:4
	global_load_dword v39, v[168:169], off offset:4
	global_load_dword v40, v[170:171], off offset:4
	global_load_dword v41, v[172:173], off offset:4
	v_mov_b32_e32 v168, v137
	v_mov_b32_e32 v169, v136
	s_mov_b32 s1, 4
	s_mov_b32 s14, 8
	;; [unrolled: 1-line block ×3, first 2 shown]
	s_waitcnt vmcnt(8)
	v_cvt_f32_f16_e32 v45, v47
	s_waitcnt vmcnt(7)
	ds_write_b32 v150, v34
	s_waitcnt vmcnt(6)
	ds_write_b32 v151, v35
	;; [unrolled: 2-line block ×8, first 2 shown]
	ds_write_b32 v108, v45
	s_waitcnt lgkmcnt(0)
	s_barrier
	buffer_gl0_inv
.LBB169_9:                              ;   Parent Loop BB169_6 Depth=1
                                        ; =>  This Inner Loop Header: Depth=2
	s_add_i32 s15, s17, 2
	ds_read2_b32 v[45:46], v169 offset1:32
	ds_read_b128 v[38:41], v168
	ds_read_b128 v[34:37], v168 offset:16
	s_lshr_b32 s20, s15, 4
	s_and_b32 s19, s15, 0x3ffffff8
	s_add_i32 s16, s17, -6
	v_lshl_add_u32 v197, s19, 2, v117
	s_lshl_b32 s19, s20, 5
	s_and_b32 s18, s14, -16
	s_addk_i32 s19, 0x4200
	s_add_i32 s17, s17, s18
	v_add3_u32 v176, s19, v164, v118
	ds_read2_b32 v[47:48], v197 offset1:1
	s_lshl_b32 s18, s20, 2
	v_add3_u32 v184, s19, v158, v119
	s_add_i32 s18, s18, 0x9380
	ds_read2_b32 v[170:171], v176 offset1:1
	v_add3_u32 v194, s19, v160, v121
	v_mov_b32_e32 v206, 0
	v_mov_b32_e32 v209, 0
	;; [unrolled: 1-line block ×14, first 2 shown]
	s_waitcnt lgkmcnt(1)
	v_ashrrev_i32_e32 v47, s16, v47
	v_mov_b32_e32 v233, 0
	v_mov_b32_e32 v229, 0
	;; [unrolled: 1-line block ×3, first 2 shown]
	s_waitcnt lgkmcnt(0)
	v_ashrrev_i32_e32 v170, s1, v170
	v_and_b32_e32 v172, 0x3030303, v47
	v_bfe_u32 v47, v47, 24, 2
	v_ashrrev_i32_e32 v171, s1, v171
	v_mov_b32_e32 v227, 0
	v_lshlrev_b32_e32 v170, 2, v170
	v_lshrrev_b16 v174, 8, v172
	v_lshrrev_b32_e32 v173, 16, v172
	v_lshlrev_b32_e32 v171, 2, v171
	v_mov_b32_e32 v228, 0
	v_and_b32_e32 v170, 0x4040404, v170
	v_mov_b32_e32 v221, 0
	v_mov_b32_e32 v222, 0
	v_and_b32_e32 v171, 0x4040404, v171
	v_add_nc_u32_e32 v208, s17, v128
	v_lshrrev_b16 v178, 8, v170
	v_lshrrev_b32_e32 v175, 16, v170
	v_lshrrev_b32_e32 v177, 24, v170
	v_sub_nc_u16 v170, v172, v170
	v_mov_b32_e32 v232, 0
	v_sub_nc_u16 v172, v174, v178
	v_lshrrev_b32_e32 v174, 16, v171
	v_sub_nc_u16 v47, v47, v177
	v_lshrrev_b16 v177, 8, v171
	v_mov_b32_e32 v235, 0
	v_lshlrev_b16 v172, 8, v172
	v_add_nc_u32_e32 v210, s17, v129
	v_lshlrev_b16 v47, 8, v47
	v_add_nc_u32_e32 v213, s17, v130
	v_mov_b32_e32 v238, 0
	v_or_b32_sdwa v170, v170, v172 dst_sel:DWORD dst_unused:UNUSED_PAD src0_sel:BYTE_0 src1_sel:DWORD
	v_sub_nc_u16 v172, v173, v175
	v_lshrrev_b32_e32 v175, 24, v171
	v_mov_b32_e32 v239, 0
	s_add_i32 s14, s14, 2
	v_or_b32_sdwa v47, v172, v47 dst_sel:WORD_1 dst_unused:UNUSED_PAD src0_sel:BYTE_0 src1_sel:DWORD
	v_or_b32_sdwa v170, v170, v47 dst_sel:DWORD dst_unused:UNUSED_PAD src0_sel:WORD_0 src1_sel:DWORD
	v_ashrrev_i32_e32 v47, s16, v48
	v_dot4c_i32_i8 v206, v170, v38
	v_and_b32_e32 v48, 0x3030303, v47
	v_bfe_u32 v47, v47, 24, 2
	v_lshrrev_b16 v173, 8, v48
	v_lshrrev_b32_e32 v172, 16, v48
	v_sub_nc_u16 v48, v48, v171
	v_sub_nc_u16 v47, v47, v175
	v_sub_nc_u16 v171, v173, v177
	v_lshlrev_b16 v47, 8, v47
	v_lshlrev_b16 v171, 8, v171
	v_or_b32_sdwa v48, v48, v171 dst_sel:DWORD dst_unused:UNUSED_PAD src0_sel:BYTE_0 src1_sel:DWORD
	v_sub_nc_u16 v171, v172, v174
	ds_read2_b32 v[172:173], v176 offset0:2 offset1:3
	v_or_b32_sdwa v47, v171, v47 dst_sel:WORD_1 dst_unused:UNUSED_PAD src0_sel:BYTE_0 src1_sel:DWORD
	v_or_b32_sdwa v171, v48, v47 dst_sel:DWORD dst_unused:UNUSED_PAD src0_sel:WORD_0 src1_sel:DWORD
	ds_read2_b32 v[47:48], v197 offset0:2 offset1:3
	v_dot4c_i32_i8 v206, v171, v39
	s_waitcnt lgkmcnt(1)
	v_ashrrev_i32_e32 v172, s1, v172
	v_ashrrev_i32_e32 v173, s1, v173
	v_lshlrev_b32_e32 v172, 2, v172
	v_lshlrev_b32_e32 v173, 2, v173
	s_waitcnt lgkmcnt(0)
	v_ashrrev_i32_e32 v47, s16, v47
	v_and_b32_e32 v172, 0x4040404, v172
	v_and_b32_e32 v173, 0x4040404, v173
	v_and_b32_e32 v174, 0x3030303, v47
	v_bfe_u32 v47, v47, 24, 2
	v_lshrrev_b16 v180, 8, v172
	v_lshrrev_b32_e32 v178, 16, v172
	v_lshrrev_b32_e32 v179, 24, v172
	v_lshrrev_b16 v177, 8, v174
	v_lshrrev_b32_e32 v175, 16, v174
	v_sub_nc_u16 v172, v174, v172
	v_sub_nc_u16 v47, v47, v179
	v_sub_nc_u16 v174, v177, v180
	v_lshrrev_b16 v179, 8, v173
	v_lshrrev_b32_e32 v177, 16, v173
	v_lshlrev_b16 v47, 8, v47
	v_lshlrev_b16 v174, 8, v174
	v_or_b32_sdwa v172, v172, v174 dst_sel:DWORD dst_unused:UNUSED_PAD src0_sel:BYTE_0 src1_sel:DWORD
	v_sub_nc_u16 v174, v175, v178
	v_lshrrev_b32_e32 v178, 24, v173
	v_or_b32_sdwa v47, v174, v47 dst_sel:WORD_1 dst_unused:UNUSED_PAD src0_sel:BYTE_0 src1_sel:DWORD
	v_or_b32_sdwa v172, v172, v47 dst_sel:DWORD dst_unused:UNUSED_PAD src0_sel:WORD_0 src1_sel:DWORD
	v_ashrrev_i32_e32 v47, s16, v48
	v_dot4c_i32_i8 v206, v172, v40
	v_and_b32_e32 v48, 0x3030303, v47
	v_bfe_u32 v47, v47, 24, 2
	v_lshrrev_b16 v175, 8, v48
	v_lshrrev_b32_e32 v174, 16, v48
	v_sub_nc_u16 v48, v48, v173
	v_sub_nc_u16 v47, v47, v178
	v_sub_nc_u16 v173, v175, v179
	v_lshlrev_b16 v47, 8, v47
	v_lshlrev_b16 v173, 8, v173
	v_or_b32_sdwa v48, v48, v173 dst_sel:DWORD dst_unused:UNUSED_PAD src0_sel:BYTE_0 src1_sel:DWORD
	v_sub_nc_u16 v173, v174, v177
	ds_read2_b32 v[174:175], v176 offset0:4 offset1:5
	v_or_b32_sdwa v47, v173, v47 dst_sel:WORD_1 dst_unused:UNUSED_PAD src0_sel:BYTE_0 src1_sel:DWORD
	v_or_b32_sdwa v173, v48, v47 dst_sel:DWORD dst_unused:UNUSED_PAD src0_sel:WORD_0 src1_sel:DWORD
	ds_read2_b32 v[47:48], v197 offset0:4 offset1:5
	v_dot4c_i32_i8 v206, v173, v41
	s_waitcnt lgkmcnt(1)
	v_ashrrev_i32_e32 v174, s1, v174
	v_ashrrev_i32_e32 v175, s1, v175
	v_lshlrev_b32_e32 v174, 2, v174
	v_lshlrev_b32_e32 v175, 2, v175
	s_waitcnt lgkmcnt(0)
	v_ashrrev_i32_e32 v47, s16, v47
	v_and_b32_e32 v174, 0x4040404, v174
	v_and_b32_e32 v175, 0x4040404, v175
	v_and_b32_e32 v177, 0x3030303, v47
	v_bfe_u32 v47, v47, 24, 2
	v_lshrrev_b16 v182, 8, v174
	v_lshrrev_b32_e32 v180, 16, v174
	v_lshrrev_b32_e32 v181, 24, v174
	v_lshrrev_b16 v179, 8, v177
	v_lshrrev_b32_e32 v178, 16, v177
	v_sub_nc_u16 v174, v177, v174
	v_sub_nc_u16 v47, v47, v181
	v_sub_nc_u16 v177, v179, v182
	v_lshrrev_b16 v181, 8, v175
	v_lshrrev_b32_e32 v179, 16, v175
	v_lshlrev_b16 v47, 8, v47
	v_lshlrev_b16 v177, 8, v177
	v_or_b32_sdwa v174, v174, v177 dst_sel:DWORD dst_unused:UNUSED_PAD src0_sel:BYTE_0 src1_sel:DWORD
	v_sub_nc_u16 v177, v178, v180
	v_lshrrev_b32_e32 v180, 24, v175
	;; [unrolled: 46-line block ×3, first 2 shown]
	v_or_b32_sdwa v47, v178, v47 dst_sel:WORD_1 dst_unused:UNUSED_PAD src0_sel:BYTE_0 src1_sel:DWORD
	v_or_b32_sdwa v176, v176, v47 dst_sel:DWORD dst_unused:UNUSED_PAD src0_sel:WORD_0 src1_sel:DWORD
	v_ashrrev_i32_e32 v47, s16, v48
	v_dot4c_i32_i8 v209, v176, v36
	v_and_b32_e32 v48, 0x3030303, v47
	v_bfe_u32 v47, v47, 24, 2
	v_lshrrev_b16 v179, 8, v48
	v_lshrrev_b32_e32 v178, 16, v48
	v_sub_nc_u16 v48, v48, v177
	v_sub_nc_u16 v47, v47, v181
	;; [unrolled: 1-line block ×3, first 2 shown]
	v_lshlrev_b16 v47, 8, v47
	v_lshlrev_b16 v177, 8, v177
	v_or_b32_sdwa v48, v48, v177 dst_sel:DWORD dst_unused:UNUSED_PAD src0_sel:BYTE_0 src1_sel:DWORD
	v_sub_nc_u16 v177, v178, v180
	ds_read2_b32 v[179:180], v184 offset1:1
	v_or_b32_sdwa v47, v177, v47 dst_sel:WORD_1 dst_unused:UNUSED_PAD src0_sel:BYTE_0 src1_sel:DWORD
	v_or_b32_sdwa v178, v48, v47 dst_sel:DWORD dst_unused:UNUSED_PAD src0_sel:WORD_0 src1_sel:DWORD
	v_add3_u32 v47, s18, v165, v166
	v_dot4c_i32_i8 v209, v178, v37
	ds_read_b32 v177, v47
	v_add_nc_u32_e32 v47, 0x1080, v197
	s_waitcnt lgkmcnt(1)
	v_ashrrev_i32_e32 v179, s1, v179
	ds_read2_b32 v[47:48], v47 offset1:1
	v_ashrrev_i32_e32 v180, s1, v180
	v_lshlrev_b32_e32 v179, 2, v179
	v_lshlrev_b32_e32 v180, 2, v180
	v_and_b32_e32 v179, 0x4040404, v179
	v_and_b32_e32 v180, 0x4040404, v180
	v_lshrrev_b16 v187, 8, v179
	v_lshrrev_b32_e32 v185, 16, v179
	v_lshrrev_b32_e32 v186, 24, v179
	s_waitcnt lgkmcnt(0)
	v_ashrrev_i32_e32 v47, s16, v47
	v_and_b32_e32 v181, 0x3030303, v47
	v_bfe_u32 v47, v47, 24, 2
	v_lshrrev_b16 v183, 8, v181
	v_lshrrev_b32_e32 v182, 16, v181
	v_sub_nc_u16 v179, v181, v179
	v_sub_nc_u16 v47, v47, v186
	v_lshrrev_b16 v186, 8, v180
	v_sub_nc_u16 v181, v183, v187
	v_lshrrev_b32_e32 v183, 16, v180
	v_lshlrev_b16 v47, 8, v47
	v_lshlrev_b16 v181, 8, v181
	v_or_b32_sdwa v179, v179, v181 dst_sel:DWORD dst_unused:UNUSED_PAD src0_sel:BYTE_0 src1_sel:DWORD
	v_sub_nc_u16 v181, v182, v185
	v_lshrrev_b32_e32 v185, 24, v180
	v_or_b32_sdwa v47, v181, v47 dst_sel:WORD_1 dst_unused:UNUSED_PAD src0_sel:BYTE_0 src1_sel:DWORD
	v_or_b32_sdwa v181, v179, v47 dst_sel:DWORD dst_unused:UNUSED_PAD src0_sel:WORD_0 src1_sel:DWORD
	v_ashrrev_i32_e32 v47, s16, v48
	v_dot4c_i32_i8 v207, v181, v38
	v_and_b32_e32 v48, 0x3030303, v47
	v_bfe_u32 v47, v47, 24, 2
	v_lshrrev_b16 v182, 8, v48
	v_lshrrev_b32_e32 v179, 16, v48
	v_sub_nc_u16 v48, v48, v180
	v_sub_nc_u16 v47, v47, v185
	;; [unrolled: 1-line block ×4, first 2 shown]
	v_lshlrev_b16 v47, 8, v47
	v_lshlrev_b16 v180, 8, v180
	v_or_b32_sdwa v47, v179, v47 dst_sel:WORD_1 dst_unused:UNUSED_PAD src0_sel:BYTE_0 src1_sel:DWORD
	v_or_b32_sdwa v48, v48, v180 dst_sel:DWORD dst_unused:UNUSED_PAD src0_sel:BYTE_0 src1_sel:DWORD
	ds_read2_b32 v[179:180], v184 offset0:2 offset1:3
	v_or_b32_sdwa v182, v48, v47 dst_sel:DWORD dst_unused:UNUSED_PAD src0_sel:WORD_0 src1_sel:DWORD
	v_add_nc_u32_e32 v47, 0x1088, v197
	v_dot4c_i32_i8 v207, v182, v39
	ds_read2_b32 v[47:48], v47 offset1:1
	s_waitcnt lgkmcnt(1)
	v_ashrrev_i32_e32 v179, s1, v179
	v_ashrrev_i32_e32 v180, s1, v180
	v_lshlrev_b32_e32 v179, 2, v179
	v_lshlrev_b32_e32 v180, 2, v180
	s_waitcnt lgkmcnt(0)
	v_ashrrev_i32_e32 v47, s16, v47
	v_and_b32_e32 v179, 0x4040404, v179
	v_and_b32_e32 v180, 0x4040404, v180
	;; [unrolled: 1-line block ×3, first 2 shown]
	v_bfe_u32 v47, v47, 24, 2
	v_lshrrev_b16 v189, 8, v179
	v_lshrrev_b32_e32 v187, 16, v179
	v_lshrrev_b32_e32 v188, 24, v179
	v_lshrrev_b16 v186, 8, v183
	v_lshrrev_b32_e32 v185, 16, v183
	v_sub_nc_u16 v179, v183, v179
	v_sub_nc_u16 v47, v47, v188
	;; [unrolled: 1-line block ×3, first 2 shown]
	v_lshrrev_b16 v188, 8, v180
	v_lshrrev_b32_e32 v186, 16, v180
	v_lshlrev_b16 v47, 8, v47
	v_lshlrev_b16 v183, 8, v183
	v_or_b32_sdwa v179, v179, v183 dst_sel:DWORD dst_unused:UNUSED_PAD src0_sel:BYTE_0 src1_sel:DWORD
	v_sub_nc_u16 v183, v185, v187
	v_lshrrev_b32_e32 v187, 24, v180
	v_or_b32_sdwa v47, v183, v47 dst_sel:WORD_1 dst_unused:UNUSED_PAD src0_sel:BYTE_0 src1_sel:DWORD
	v_or_b32_sdwa v185, v179, v47 dst_sel:DWORD dst_unused:UNUSED_PAD src0_sel:WORD_0 src1_sel:DWORD
	v_ashrrev_i32_e32 v47, s16, v48
	v_dot4c_i32_i8 v207, v185, v40
	v_and_b32_e32 v48, 0x3030303, v47
	v_bfe_u32 v47, v47, 24, 2
	v_lshrrev_b16 v183, 8, v48
	v_lshrrev_b32_e32 v179, 16, v48
	v_sub_nc_u16 v48, v48, v180
	v_sub_nc_u16 v47, v47, v187
	;; [unrolled: 1-line block ×4, first 2 shown]
	v_lshlrev_b16 v47, 8, v47
	v_lshlrev_b16 v180, 8, v180
	v_or_b32_sdwa v47, v179, v47 dst_sel:WORD_1 dst_unused:UNUSED_PAD src0_sel:BYTE_0 src1_sel:DWORD
	v_or_b32_sdwa v48, v48, v180 dst_sel:DWORD dst_unused:UNUSED_PAD src0_sel:BYTE_0 src1_sel:DWORD
	ds_read2_b32 v[179:180], v184 offset0:4 offset1:5
	v_or_b32_sdwa v187, v48, v47 dst_sel:DWORD dst_unused:UNUSED_PAD src0_sel:WORD_0 src1_sel:DWORD
	v_add_nc_u32_e32 v47, 0x1090, v197
	v_dot4c_i32_i8 v207, v187, v41
	ds_read2_b32 v[47:48], v47 offset1:1
	s_waitcnt lgkmcnt(1)
	v_ashrrev_i32_e32 v179, s1, v179
	v_ashrrev_i32_e32 v180, s1, v180
	v_lshlrev_b32_e32 v179, 2, v179
	v_lshlrev_b32_e32 v180, 2, v180
	s_waitcnt lgkmcnt(0)
	v_ashrrev_i32_e32 v47, s16, v47
	v_and_b32_e32 v179, 0x4040404, v179
	v_and_b32_e32 v180, 0x4040404, v180
	;; [unrolled: 1-line block ×3, first 2 shown]
	v_bfe_u32 v47, v47, 24, 2
	v_lshrrev_b16 v191, 8, v179
	v_lshrrev_b32_e32 v189, 16, v179
	v_lshrrev_b32_e32 v190, 24, v179
	v_lshrrev_b16 v188, 8, v183
	v_lshrrev_b32_e32 v186, 16, v183
	v_sub_nc_u16 v179, v183, v179
	v_sub_nc_u16 v47, v47, v190
	;; [unrolled: 1-line block ×3, first 2 shown]
	v_lshrrev_b16 v190, 8, v180
	v_lshrrev_b32_e32 v188, 16, v180
	v_lshlrev_b16 v47, 8, v47
	v_lshlrev_b16 v183, 8, v183
	v_or_b32_sdwa v179, v179, v183 dst_sel:DWORD dst_unused:UNUSED_PAD src0_sel:BYTE_0 src1_sel:DWORD
	v_sub_nc_u16 v183, v186, v189
	v_lshrrev_b32_e32 v189, 24, v180
	v_or_b32_sdwa v47, v183, v47 dst_sel:WORD_1 dst_unused:UNUSED_PAD src0_sel:BYTE_0 src1_sel:DWORD
	v_or_b32_sdwa v179, v179, v47 dst_sel:DWORD dst_unused:UNUSED_PAD src0_sel:WORD_0 src1_sel:DWORD
	v_ashrrev_i32_e32 v47, s16, v48
	v_dot4c_i32_i8 v211, v179, v34
	v_and_b32_e32 v48, 0x3030303, v47
	v_bfe_u32 v47, v47, 24, 2
	v_lshrrev_b16 v186, 8, v48
	v_lshrrev_b32_e32 v183, 16, v48
	v_sub_nc_u16 v48, v48, v180
	v_sub_nc_u16 v47, v47, v189
	;; [unrolled: 1-line block ×3, first 2 shown]
	v_lshlrev_b16 v47, 8, v47
	v_lshlrev_b16 v180, 8, v180
	v_or_b32_sdwa v48, v48, v180 dst_sel:DWORD dst_unused:UNUSED_PAD src0_sel:BYTE_0 src1_sel:DWORD
	v_sub_nc_u16 v180, v183, v188
	ds_read2_b32 v[183:184], v184 offset0:6 offset1:7
	v_or_b32_sdwa v47, v180, v47 dst_sel:WORD_1 dst_unused:UNUSED_PAD src0_sel:BYTE_0 src1_sel:DWORD
	v_or_b32_sdwa v180, v48, v47 dst_sel:DWORD dst_unused:UNUSED_PAD src0_sel:WORD_0 src1_sel:DWORD
	v_add_nc_u32_e32 v47, 0x1098, v197
	v_dot4c_i32_i8 v211, v180, v35
	ds_read2_b32 v[47:48], v47 offset1:1
	s_waitcnt lgkmcnt(1)
	v_ashrrev_i32_e32 v183, s1, v183
	v_ashrrev_i32_e32 v184, s1, v184
	v_lshlrev_b32_e32 v183, 2, v183
	v_lshlrev_b32_e32 v184, 2, v184
	v_and_b32_e32 v183, 0x4040404, v183
	v_and_b32_e32 v184, 0x4040404, v184
	s_waitcnt lgkmcnt(0)
	v_ashrrev_i32_e32 v47, s16, v47
	v_lshrrev_b16 v192, 8, v183
	v_lshrrev_b32_e32 v190, 16, v183
	v_lshrrev_b32_e32 v191, 24, v183
	v_and_b32_e32 v186, 0x3030303, v47
	v_bfe_u32 v47, v47, 24, 2
	v_lshrrev_b16 v189, 8, v186
	v_lshrrev_b32_e32 v188, 16, v186
	v_sub_nc_u16 v183, v186, v183
	v_sub_nc_u16 v47, v47, v191
	v_lshrrev_b16 v191, 8, v184
	v_sub_nc_u16 v186, v189, v192
	v_lshrrev_b32_e32 v189, 16, v184
	v_lshlrev_b16 v47, 8, v47
	v_lshlrev_b16 v186, 8, v186
	v_or_b32_sdwa v183, v183, v186 dst_sel:DWORD dst_unused:UNUSED_PAD src0_sel:BYTE_0 src1_sel:DWORD
	v_sub_nc_u16 v186, v188, v190
	v_lshrrev_b32_e32 v190, 24, v184
	v_or_b32_sdwa v47, v186, v47 dst_sel:WORD_1 dst_unused:UNUSED_PAD src0_sel:BYTE_0 src1_sel:DWORD
	v_or_b32_sdwa v183, v183, v47 dst_sel:DWORD dst_unused:UNUSED_PAD src0_sel:WORD_0 src1_sel:DWORD
	v_ashrrev_i32_e32 v47, s16, v48
	v_dot4c_i32_i8 v211, v183, v36
	v_and_b32_e32 v48, 0x3030303, v47
	v_bfe_u32 v47, v47, 24, 2
	v_lshrrev_b16 v188, 8, v48
	v_lshrrev_b32_e32 v186, 16, v48
	v_sub_nc_u16 v48, v48, v184
	v_sub_nc_u16 v47, v47, v190
	;; [unrolled: 1-line block ×3, first 2 shown]
	v_lshlrev_b16 v47, 8, v47
	v_lshlrev_b16 v184, 8, v184
	v_or_b32_sdwa v48, v48, v184 dst_sel:DWORD dst_unused:UNUSED_PAD src0_sel:BYTE_0 src1_sel:DWORD
	v_sub_nc_u16 v184, v186, v189
	ds_read2_b32 v[188:189], v194 offset1:1
	v_or_b32_sdwa v47, v184, v47 dst_sel:WORD_1 dst_unused:UNUSED_PAD src0_sel:BYTE_0 src1_sel:DWORD
	v_or_b32_sdwa v186, v48, v47 dst_sel:DWORD dst_unused:UNUSED_PAD src0_sel:WORD_0 src1_sel:DWORD
	v_add3_u32 v47, s18, v159, v120
	v_dot4c_i32_i8 v211, v186, v37
	ds_read_b32 v184, v47
	v_add_nc_u32_e32 v47, 0x2100, v197
	s_waitcnt lgkmcnt(1)
	v_ashrrev_i32_e32 v188, s1, v188
	ds_read2_b32 v[47:48], v47 offset1:1
	v_ashrrev_i32_e32 v189, s1, v189
	v_lshlrev_b32_e32 v188, 2, v188
	v_lshlrev_b32_e32 v189, 2, v189
	v_and_b32_e32 v188, 0x4040404, v188
	v_and_b32_e32 v189, 0x4040404, v189
	v_lshrrev_b16 v196, 8, v188
	v_lshrrev_b32_e32 v193, 16, v188
	v_lshrrev_b32_e32 v195, 24, v188
	s_waitcnt lgkmcnt(0)
	v_ashrrev_i32_e32 v47, s16, v47
	v_and_b32_e32 v190, 0x3030303, v47
	v_bfe_u32 v47, v47, 24, 2
	v_lshrrev_b16 v192, 8, v190
	v_lshrrev_b32_e32 v191, 16, v190
	v_sub_nc_u16 v188, v190, v188
	v_sub_nc_u16 v47, v47, v195
	v_lshrrev_b16 v195, 8, v189
	v_sub_nc_u16 v190, v192, v196
	v_lshrrev_b32_e32 v192, 16, v189
	v_lshlrev_b16 v47, 8, v47
	v_lshlrev_b16 v190, 8, v190
	v_or_b32_sdwa v188, v188, v190 dst_sel:DWORD dst_unused:UNUSED_PAD src0_sel:BYTE_0 src1_sel:DWORD
	v_sub_nc_u16 v190, v191, v193
	v_lshrrev_b32_e32 v193, 24, v189
	v_or_b32_sdwa v47, v190, v47 dst_sel:WORD_1 dst_unused:UNUSED_PAD src0_sel:BYTE_0 src1_sel:DWORD
	v_or_b32_sdwa v188, v188, v47 dst_sel:DWORD dst_unused:UNUSED_PAD src0_sel:WORD_0 src1_sel:DWORD
	v_ashrrev_i32_e32 v47, s16, v48
	v_dot4c_i32_i8 v212, v188, v38
	v_and_b32_e32 v48, 0x3030303, v47
	v_bfe_u32 v47, v47, 24, 2
	v_lshrrev_b16 v191, 8, v48
	v_lshrrev_b32_e32 v190, 16, v48
	v_sub_nc_u16 v48, v48, v189
	v_sub_nc_u16 v47, v47, v193
	v_sub_nc_u16 v189, v191, v195
	v_lshlrev_b16 v47, 8, v47
	v_lshlrev_b16 v189, 8, v189
	v_or_b32_sdwa v48, v48, v189 dst_sel:DWORD dst_unused:UNUSED_PAD src0_sel:BYTE_0 src1_sel:DWORD
	v_sub_nc_u16 v189, v190, v192
	ds_read2_b32 v[190:191], v194 offset0:2 offset1:3
	v_or_b32_sdwa v47, v189, v47 dst_sel:WORD_1 dst_unused:UNUSED_PAD src0_sel:BYTE_0 src1_sel:DWORD
	v_or_b32_sdwa v189, v48, v47 dst_sel:DWORD dst_unused:UNUSED_PAD src0_sel:WORD_0 src1_sel:DWORD
	v_add_nc_u32_e32 v47, 0x2108, v197
	v_dot4c_i32_i8 v212, v189, v39
	ds_read2_b32 v[47:48], v47 offset1:1
	s_waitcnt lgkmcnt(1)
	v_ashrrev_i32_e32 v190, s1, v190
	v_ashrrev_i32_e32 v191, s1, v191
	v_lshlrev_b32_e32 v190, 2, v190
	v_lshlrev_b32_e32 v191, 2, v191
	v_and_b32_e32 v190, 0x4040404, v190
	v_and_b32_e32 v191, 0x4040404, v191
	s_waitcnt lgkmcnt(0)
	v_ashrrev_i32_e32 v47, s16, v47
	v_lshrrev_b16 v199, 8, v190
	v_lshrrev_b32_e32 v196, 16, v190
	v_lshrrev_b32_e32 v198, 24, v190
	v_and_b32_e32 v192, 0x3030303, v47
	v_bfe_u32 v47, v47, 24, 2
	v_lshrrev_b16 v195, 8, v192
	v_lshrrev_b32_e32 v193, 16, v192
	v_sub_nc_u16 v190, v192, v190
	v_sub_nc_u16 v47, v47, v198
	v_lshrrev_b16 v198, 8, v191
	v_sub_nc_u16 v192, v195, v199
	v_lshrrev_b32_e32 v195, 16, v191
	v_lshlrev_b16 v47, 8, v47
	v_lshlrev_b16 v192, 8, v192
	v_or_b32_sdwa v190, v190, v192 dst_sel:DWORD dst_unused:UNUSED_PAD src0_sel:BYTE_0 src1_sel:DWORD
	v_sub_nc_u16 v192, v193, v196
	v_lshrrev_b32_e32 v196, 24, v191
	v_or_b32_sdwa v47, v192, v47 dst_sel:WORD_1 dst_unused:UNUSED_PAD src0_sel:BYTE_0 src1_sel:DWORD
	v_or_b32_sdwa v190, v190, v47 dst_sel:DWORD dst_unused:UNUSED_PAD src0_sel:WORD_0 src1_sel:DWORD
	v_ashrrev_i32_e32 v47, s16, v48
	v_dot4c_i32_i8 v212, v190, v40
	v_and_b32_e32 v48, 0x3030303, v47
	v_bfe_u32 v47, v47, 24, 2
	v_lshrrev_b16 v193, 8, v48
	v_lshrrev_b32_e32 v192, 16, v48
	v_sub_nc_u16 v48, v48, v191
	v_sub_nc_u16 v47, v47, v196
	v_sub_nc_u16 v191, v193, v198
	v_lshlrev_b16 v47, 8, v47
	v_lshlrev_b16 v191, 8, v191
	v_or_b32_sdwa v48, v48, v191 dst_sel:DWORD dst_unused:UNUSED_PAD src0_sel:BYTE_0 src1_sel:DWORD
	v_sub_nc_u16 v191, v192, v195
	ds_read2_b32 v[192:193], v194 offset0:4 offset1:5
	v_or_b32_sdwa v47, v191, v47 dst_sel:WORD_1 dst_unused:UNUSED_PAD src0_sel:BYTE_0 src1_sel:DWORD
	v_or_b32_sdwa v191, v48, v47 dst_sel:DWORD dst_unused:UNUSED_PAD src0_sel:WORD_0 src1_sel:DWORD
	v_add_nc_u32_e32 v47, 0x2110, v197
	v_dot4c_i32_i8 v212, v191, v41
	ds_read2_b32 v[47:48], v47 offset1:1
	s_waitcnt lgkmcnt(1)
	v_ashrrev_i32_e32 v192, s1, v192
	v_ashrrev_i32_e32 v193, s1, v193
	v_lshlrev_b32_e32 v192, 2, v192
	v_lshlrev_b32_e32 v193, 2, v193
	v_and_b32_e32 v192, 0x4040404, v192
	v_and_b32_e32 v193, 0x4040404, v193
	s_waitcnt lgkmcnt(0)
	v_ashrrev_i32_e32 v47, s16, v47
	v_lshrrev_b16 v201, 8, v192
	v_lshrrev_b32_e32 v199, 16, v192
	v_lshrrev_b32_e32 v200, 24, v192
	;; [unrolled: 47-line block ×3, first 2 shown]
	v_and_b32_e32 v196, 0x3030303, v47
	v_bfe_u32 v47, v47, 24, 2
	v_lshrrev_b16 v199, 8, v196
	v_lshrrev_b32_e32 v198, 16, v196
	v_sub_nc_u16 v194, v196, v194
	v_sub_nc_u16 v47, v47, v201
	v_lshrrev_b16 v201, 8, v195
	v_sub_nc_u16 v196, v199, v202
	v_lshrrev_b32_e32 v199, 16, v195
	v_lshlrev_b16 v47, 8, v47
	v_lshlrev_b16 v196, 8, v196
	v_or_b32_sdwa v194, v194, v196 dst_sel:DWORD dst_unused:UNUSED_PAD src0_sel:BYTE_0 src1_sel:DWORD
	v_sub_nc_u16 v196, v198, v200
	v_lshrrev_b32_e32 v200, 24, v195
	v_or_b32_sdwa v47, v196, v47 dst_sel:WORD_1 dst_unused:UNUSED_PAD src0_sel:BYTE_0 src1_sel:DWORD
	v_or_b32_sdwa v194, v194, v47 dst_sel:DWORD dst_unused:UNUSED_PAD src0_sel:WORD_0 src1_sel:DWORD
	v_ashrrev_i32_e32 v47, s16, v48
	v_dot4c_i32_i8 v214, v194, v36
	v_and_b32_e32 v48, 0x3030303, v47
	v_bfe_u32 v47, v47, 24, 2
	v_lshrrev_b16 v198, 8, v48
	v_lshrrev_b32_e32 v196, 16, v48
	v_sub_nc_u16 v48, v48, v195
	v_sub_nc_u16 v47, v47, v200
	;; [unrolled: 1-line block ×3, first 2 shown]
	v_add3_u32 v201, s19, v162, v123
	v_lshlrev_b16 v47, 8, v47
	v_lshlrev_b16 v195, 8, v195
	ds_read2_b32 v[202:203], v201 offset1:1
	v_or_b32_sdwa v48, v48, v195 dst_sel:DWORD dst_unused:UNUSED_PAD src0_sel:BYTE_0 src1_sel:DWORD
	v_sub_nc_u16 v195, v196, v199
	v_or_b32_sdwa v47, v195, v47 dst_sel:WORD_1 dst_unused:UNUSED_PAD src0_sel:BYTE_0 src1_sel:DWORD
	v_or_b32_sdwa v196, v48, v47 dst_sel:DWORD dst_unused:UNUSED_PAD src0_sel:WORD_0 src1_sel:DWORD
	v_add3_u32 v47, s18, v161, v122
	v_dot4c_i32_i8 v214, v196, v37
	ds_read_b32 v195, v47
	v_add_nc_u32_e32 v47, 0x3180, v197
	s_waitcnt lgkmcnt(1)
	v_ashrrev_i32_e32 v202, s1, v202
	ds_read2_b32 v[47:48], v47 offset1:1
	v_lshlrev_b32_e32 v202, 2, v202
	v_and_b32_e32 v202, 0x4040404, v202
	v_lshrrev_b32_e32 v205, 24, v202
	v_lshrrev_b16 v215, 8, v202
	v_lshrrev_b32_e32 v204, 16, v202
	s_waitcnt lgkmcnt(0)
	v_ashrrev_i32_e32 v198, s16, v47
	v_and_b32_e32 v199, 0x3030303, v198
	v_bfe_u32 v198, v198, 24, 2
	v_lshrrev_b16 v200, 8, v199
	v_lshrrev_b32_e32 v47, 16, v199
	v_sub_nc_u16 v198, v198, v205
	v_sub_nc_u16 v199, v199, v202
	;; [unrolled: 1-line block ×4, first 2 shown]
	v_lshlrev_b16 v198, 8, v198
	v_lshlrev_b16 v200, 8, v200
	v_or_b32_sdwa v47, v47, v198 dst_sel:WORD_1 dst_unused:UNUSED_PAD src0_sel:BYTE_0 src1_sel:DWORD
	v_or_b32_sdwa v199, v199, v200 dst_sel:DWORD dst_unused:UNUSED_PAD src0_sel:BYTE_0 src1_sel:DWORD
	v_ashrrev_i32_e32 v200, s1, v203
	v_or_b32_sdwa v202, v199, v47 dst_sel:DWORD dst_unused:UNUSED_PAD src0_sel:WORD_0 src1_sel:DWORD
	v_ashrrev_i32_e32 v47, s16, v48
	v_lshlrev_b32_e32 v200, 2, v200
	v_and_b32_e32 v48, 0x3030303, v47
	v_and_b32_e32 v200, 0x4040404, v200
	v_bfe_u32 v47, v47, 24, 2
	v_lshrrev_b16 v199, 8, v48
	v_lshrrev_b32_e32 v204, 24, v200
	v_lshrrev_b16 v205, 8, v200
	v_lshrrev_b32_e32 v198, 16, v48
	v_lshrrev_b32_e32 v203, 16, v200
	v_sub_nc_u16 v48, v48, v200
	v_sub_nc_u16 v47, v47, v204
	;; [unrolled: 1-line block ×4, first 2 shown]
	v_lshlrev_b16 v47, 8, v47
	v_lshlrev_b16 v199, 8, v199
	v_or_b32_sdwa v47, v198, v47 dst_sel:WORD_1 dst_unused:UNUSED_PAD src0_sel:BYTE_0 src1_sel:DWORD
	v_or_b32_sdwa v48, v48, v199 dst_sel:DWORD dst_unused:UNUSED_PAD src0_sel:BYTE_0 src1_sel:DWORD
	ds_read2_b32 v[198:199], v201 offset0:2 offset1:3
	v_or_b32_sdwa v203, v48, v47 dst_sel:DWORD dst_unused:UNUSED_PAD src0_sel:WORD_0 src1_sel:DWORD
	v_add_nc_u32_e32 v47, 0x3188, v197
	ds_read2_b32 v[47:48], v47 offset1:1
	s_waitcnt lgkmcnt(1)
	v_ashrrev_i32_e32 v198, s1, v198
	v_ashrrev_i32_e32 v199, s1, v199
	v_lshlrev_b32_e32 v198, 2, v198
	v_lshlrev_b32_e32 v199, 2, v199
	s_waitcnt lgkmcnt(0)
	v_ashrrev_i32_e32 v47, s16, v47
	v_and_b32_e32 v198, 0x4040404, v198
	v_and_b32_e32 v199, 0x4040404, v199
	;; [unrolled: 1-line block ×3, first 2 shown]
	v_lshrrev_b16 v217, 8, v198
	v_bfe_u32 v47, v47, 24, 2
	v_lshrrev_b32_e32 v215, 16, v198
	v_lshrrev_b32_e32 v216, 24, v198
	v_lshrrev_b16 v205, 8, v200
	v_lshrrev_b32_e32 v204, 16, v200
	v_sub_nc_u16 v198, v200, v198
	v_sub_nc_u16 v47, v47, v216
	;; [unrolled: 1-line block ×3, first 2 shown]
	v_lshrrev_b16 v216, 8, v199
	v_lshrrev_b32_e32 v205, 16, v199
	v_lshlrev_b16 v47, 8, v47
	v_lshlrev_b16 v200, 8, v200
	v_or_b32_sdwa v198, v198, v200 dst_sel:DWORD dst_unused:UNUSED_PAD src0_sel:BYTE_0 src1_sel:DWORD
	v_sub_nc_u16 v200, v204, v215
	v_lshrrev_b32_e32 v215, 24, v199
	v_or_b32_sdwa v47, v200, v47 dst_sel:WORD_1 dst_unused:UNUSED_PAD src0_sel:BYTE_0 src1_sel:DWORD
	v_or_b32_sdwa v204, v198, v47 dst_sel:DWORD dst_unused:UNUSED_PAD src0_sel:WORD_0 src1_sel:DWORD
	v_ashrrev_i32_e32 v47, s16, v48
	v_and_b32_e32 v48, 0x3030303, v47
	v_bfe_u32 v47, v47, 24, 2
	v_lshrrev_b16 v200, 8, v48
	v_lshrrev_b32_e32 v198, 16, v48
	v_sub_nc_u16 v48, v48, v199
	v_sub_nc_u16 v47, v47, v215
	;; [unrolled: 1-line block ×4, first 2 shown]
	v_lshlrev_b16 v47, 8, v47
	v_lshlrev_b16 v199, 8, v199
	v_or_b32_sdwa v47, v198, v47 dst_sel:WORD_1 dst_unused:UNUSED_PAD src0_sel:BYTE_0 src1_sel:DWORD
	v_or_b32_sdwa v48, v48, v199 dst_sel:DWORD dst_unused:UNUSED_PAD src0_sel:BYTE_0 src1_sel:DWORD
	ds_read2_b32 v[198:199], v201 offset0:4 offset1:5
	v_or_b32_sdwa v205, v48, v47 dst_sel:DWORD dst_unused:UNUSED_PAD src0_sel:WORD_0 src1_sel:DWORD
	v_add_nc_u32_e32 v47, 0x3190, v197
	ds_read2_b32 v[47:48], v47 offset1:1
	s_waitcnt lgkmcnt(1)
	v_ashrrev_i32_e32 v198, s1, v198
	v_ashrrev_i32_e32 v199, s1, v199
	v_lshlrev_b32_e32 v198, 2, v198
	v_lshlrev_b32_e32 v199, 2, v199
	s_waitcnt lgkmcnt(0)
	v_ashrrev_i32_e32 v47, s16, v47
	v_and_b32_e32 v198, 0x4040404, v198
	v_and_b32_e32 v199, 0x4040404, v199
	;; [unrolled: 1-line block ×3, first 2 shown]
	v_bfe_u32 v47, v47, 24, 2
	v_lshrrev_b16 v219, 8, v198
	v_lshrrev_b32_e32 v217, 16, v198
	v_lshrrev_b32_e32 v218, 24, v198
	v_lshrrev_b16 v216, 8, v200
	v_lshrrev_b32_e32 v215, 16, v200
	v_sub_nc_u16 v198, v200, v198
	v_sub_nc_u16 v47, v47, v218
	;; [unrolled: 1-line block ×3, first 2 shown]
	v_lshrrev_b16 v218, 8, v199
	v_lshrrev_b32_e32 v216, 16, v199
	v_lshlrev_b16 v47, 8, v47
	v_lshlrev_b16 v200, 8, v200
	v_or_b32_sdwa v198, v198, v200 dst_sel:DWORD dst_unused:UNUSED_PAD src0_sel:BYTE_0 src1_sel:DWORD
	v_sub_nc_u16 v200, v215, v217
	v_lshrrev_b32_e32 v217, 24, v199
	v_or_b32_sdwa v47, v200, v47 dst_sel:WORD_1 dst_unused:UNUSED_PAD src0_sel:BYTE_0 src1_sel:DWORD
	v_or_b32_sdwa v198, v198, v47 dst_sel:DWORD dst_unused:UNUSED_PAD src0_sel:WORD_0 src1_sel:DWORD
	v_ashrrev_i32_e32 v47, s16, v48
	v_and_b32_e32 v48, 0x3030303, v47
	v_bfe_u32 v47, v47, 24, 2
	v_lshrrev_b16 v215, 8, v48
	v_lshrrev_b32_e32 v200, 16, v48
	v_sub_nc_u16 v48, v48, v199
	v_sub_nc_u16 v47, v47, v217
	;; [unrolled: 1-line block ×3, first 2 shown]
	v_lshlrev_b16 v47, 8, v47
	v_lshlrev_b16 v199, 8, v199
	v_or_b32_sdwa v48, v48, v199 dst_sel:DWORD dst_unused:UNUSED_PAD src0_sel:BYTE_0 src1_sel:DWORD
	v_sub_nc_u16 v199, v200, v216
	ds_read2_b32 v[200:201], v201 offset0:6 offset1:7
	v_or_b32_sdwa v47, v199, v47 dst_sel:WORD_1 dst_unused:UNUSED_PAD src0_sel:BYTE_0 src1_sel:DWORD
	v_or_b32_sdwa v199, v48, v47 dst_sel:DWORD dst_unused:UNUSED_PAD src0_sel:WORD_0 src1_sel:DWORD
	v_add_nc_u32_e32 v47, 0x3198, v197
	ds_read2_b32 v[47:48], v47 offset1:1
	s_waitcnt lgkmcnt(1)
	v_ashrrev_i32_e32 v200, s1, v200
	v_ashrrev_i32_e32 v201, s1, v201
	s_add_i32 s1, s1, 1
	s_cmp_lt_u32 s15, 14
	v_lshlrev_b32_e32 v200, 2, v200
	v_lshlrev_b32_e32 v201, 2, v201
	v_and_b32_e32 v200, 0x4040404, v200
	v_and_b32_e32 v201, 0x4040404, v201
	s_waitcnt lgkmcnt(0)
	v_ashrrev_i32_e32 v47, s16, v47
	v_lshrrev_b16 v219, 8, v200
	v_lshrrev_b32_e32 v217, 16, v200
	v_lshrrev_b32_e32 v218, 24, v200
	v_and_b32_e32 v197, 0x3030303, v47
	v_bfe_u32 v47, v47, 24, 2
	v_lshrrev_b16 v216, 8, v197
	v_lshrrev_b32_e32 v215, 16, v197
	v_sub_nc_u16 v197, v197, v200
	v_sub_nc_u16 v47, v47, v218
	v_lshrrev_b16 v218, 8, v201
	v_sub_nc_u16 v200, v216, v219
	v_lshrrev_b32_e32 v216, 16, v201
	v_mov_b32_e32 v219, 0
	v_lshlrev_b16 v47, 8, v47
	v_lshlrev_b16 v200, 8, v200
	v_or_b32_sdwa v197, v197, v200 dst_sel:DWORD dst_unused:UNUSED_PAD src0_sel:BYTE_0 src1_sel:DWORD
	v_sub_nc_u16 v200, v215, v217
	v_lshrrev_b32_e32 v217, 24, v201
	v_or_b32_sdwa v47, v200, v47 dst_sel:WORD_1 dst_unused:UNUSED_PAD src0_sel:BYTE_0 src1_sel:DWORD
	v_or_b32_sdwa v200, v197, v47 dst_sel:DWORD dst_unused:UNUSED_PAD src0_sel:WORD_0 src1_sel:DWORD
	v_ashrrev_i32_e32 v47, s16, v48
	v_and_b32_e32 v48, 0x3030303, v47
	v_bfe_u32 v47, v47, 24, 2
	v_lshrrev_b32_e32 v197, 16, v48
	v_lshrrev_b16 v215, 8, v48
	v_sub_nc_u16 v48, v48, v201
	v_sub_nc_u16 v47, v47, v217
	v_add_nc_u32_e32 v217, s17, v131
	v_sub_nc_u16 v197, v197, v216
	v_sub_nc_u16 v201, v215, v218
	v_mov_b32_e32 v216, 0
	v_mov_b32_e32 v218, 0
	v_lshlrev_b16 v47, 8, v47
	s_mov_b32 s17, s15
	v_lshlrev_b16 v201, 8, v201
	v_dot4c_i32_i8 v216, v202, v38
	v_dot4c_i32_i8 v218, v198, v34
	v_or_b32_sdwa v47, v197, v47 dst_sel:WORD_1 dst_unused:UNUSED_PAD src0_sel:BYTE_0 src1_sel:DWORD
	v_or_b32_sdwa v48, v48, v201 dst_sel:DWORD dst_unused:UNUSED_PAD src0_sel:BYTE_0 src1_sel:DWORD
	v_dot4c_i32_i8 v216, v203, v39
	v_dot4c_i32_i8 v218, v199, v35
	v_or_b32_sdwa v201, v48, v47 dst_sel:DWORD dst_unused:UNUSED_PAD src0_sel:WORD_0 src1_sel:DWORD
	v_add3_u32 v47, s18, v163, v124
	v_dot4c_i32_i8 v216, v204, v40
	v_dot4c_i32_i8 v218, v200, v36
	ds_read_b32 v197, v47
	v_dot4c_i32_i8 v216, v205, v41
	v_dot4c_i32_i8 v218, v201, v37
	ds_read_b128 v[34:37], v168 offset:1024
	ds_read_b128 v[38:41], v168 offset:1040
	s_waitcnt lgkmcnt(1)
	v_dot4c_i32_i8 v231, v170, v34
	s_waitcnt lgkmcnt(0)
	v_dot4c_i32_i8 v237, v174, v38
	v_dot4c_i32_i8 v226, v181, v34
	;; [unrolled: 1-line block ×31, first 2 shown]
	ds_read2_b32 v[47:48], v169 offset0:64 offset1:96
	ds_read_b128 v[34:37], v168 offset:2048
	ds_read_b128 v[38:41], v168 offset:2064
	s_waitcnt lgkmcnt(1)
	v_dot4c_i32_i8 v234, v170, v34
	s_waitcnt lgkmcnt(0)
	v_dot4c_i32_i8 v233, v174, v38
	v_dot4c_i32_i8 v229, v181, v34
	;; [unrolled: 1-line block ×31, first 2 shown]
	ds_read_b128 v[38:41], v168 offset:3072
	ds_read_b128 v[34:37], v168 offset:3088
	ds_read_u16 v215, v208 offset:33538
	s_waitcnt lgkmcnt(2)
	v_dot4c_i32_i8 v232, v170, v38
	s_waitcnt lgkmcnt(1)
	v_dot4c_i32_i8 v235, v174, v34
	s_waitcnt lgkmcnt(0)
	v_lshrrev_b16 v208, 8, v215
	v_bfe_i32 v215, v215, 0, 8
	v_dot4c_i32_i8 v232, v171, v39
	v_dot4c_i32_i8 v235, v175, v35
	v_bfe_i32 v208, v208, 0, 8
	v_mul_lo_u32 v231, v231, v215
	v_dot4c_i32_i8 v232, v172, v40
	v_dot4c_i32_i8 v235, v176, v36
	v_mul_lo_u32 v233, v233, v208
	v_mul_lo_u32 v209, v209, v208
	v_dot4c_i32_i8 v232, v173, v41
	v_dot4c_i32_i8 v235, v178, v37
	v_mul_lo_u32 v232, v232, v215
	v_mad_u64_u32 v[233:234], null, v234, v215, v[233:234]
	v_mad_u64_u32 v[234:235], null, v235, v208, v[232:233]
                                        ; kill: def $vgpr232 killed $sgpr0 killed $exec
	v_mad_u64_u32 v[235:236], null, v206, v215, v[209:210]
	v_mad_u64_u32 v[231:232], null, v237, v208, v[231:232]
	ds_read_u16 v210, v210 offset:34562
	v_mul_f32_e32 v206, v177, v46
	v_mul_f32_e32 v209, v177, v45
	;; [unrolled: 1-line block ×3, first 2 shown]
	v_cvt_f32_i32_e32 v235, v235
	v_mul_f32_e32 v232, v177, v48
	v_cvt_f32_i32_e32 v231, v231
	v_cvt_f32_i32_e32 v234, v234
	;; [unrolled: 1-line block ×3, first 2 shown]
	v_fma_f32 v19, v209, v235, v19
	v_mov_b32_e32 v235, 0
	v_fmac_f32_e32 v18, v206, v231
	v_mov_b32_e32 v206, 0
	v_mov_b32_e32 v231, 0
	v_fma_f32 v21, v236, v233, v21
	v_fma_f32 v20, v232, v234, v20
	v_mov_b32_e32 v232, 0
	v_dot4c_i32_i8 v206, v181, v38
	v_dot4c_i32_i8 v231, v179, v34
	v_mov_b32_e32 v233, 0
	s_waitcnt lgkmcnt(0)
	v_lshrrev_b16 v209, 8, v210
	v_bfe_i32 v210, v210, 0, 8
	v_dot4c_i32_i8 v206, v182, v39
	v_dot4c_i32_i8 v231, v180, v35
	v_mov_b32_e32 v234, 0
	v_bfe_i32 v209, v209, 0, 8
	v_mul_lo_u32 v226, v226, v210
	v_dot4c_i32_i8 v206, v185, v40
	v_dot4c_i32_i8 v231, v183, v36
	v_mov_b32_e32 v236, 0
	v_mul_lo_u32 v230, v230, v209
	v_mul_lo_u32 v211, v211, v209
	v_dot4c_i32_i8 v206, v187, v41
	v_dot4c_i32_i8 v231, v186, v37
	v_mad_u64_u32 v[225:226], null, v225, v209, v[226:227]
	v_mul_f32_e32 v226, v184, v48
	v_mul_lo_u32 v206, v206, v210
	v_mad_u64_u32 v[229:230], null, v229, v210, v[230:231]
	v_mov_b32_e32 v237, 0
	v_cvt_f32_i32_e32 v225, v225
	v_mad_u64_u32 v[230:231], null, v231, v209, v[206:207]
	v_mad_u64_u32 v[206:207], null, v207, v210, v[211:212]
	v_mul_f32_e32 v211, v184, v45
	v_mul_f32_e32 v207, v184, v46
	;; [unrolled: 1-line block ×3, first 2 shown]
	v_cvt_f32_i32_e32 v229, v229
	v_cvt_f32_i32_e32 v230, v230
	;; [unrolled: 1-line block ×3, first 2 shown]
	v_fmac_f32_e32 v30, v207, v225
	v_mov_b32_e32 v225, 0
	v_fma_f32 v32, v226, v230, v32
	v_mov_b32_e32 v226, 0
	v_fma_f32 v31, v211, v206, v31
	ds_read_u16 v206, v213 offset:35586
	v_dot4c_i32_i8 v225, v188, v38
	v_fma_f32 v33, v231, v229, v33
	v_dot4c_i32_i8 v226, v192, v34
	v_mov_b32_e32 v230, 0
	v_mov_b32_e32 v231, 0
	v_dot4c_i32_i8 v225, v189, v39
	v_dot4c_i32_i8 v226, v193, v35
	;; [unrolled: 1-line block ×6, first 2 shown]
	s_waitcnt lgkmcnt(0)
	v_lshrrev_b16 v207, 8, v206
	v_bfe_i32 v213, v206, 0, 8
	v_bfe_i32 v211, v207, 0, 8
	v_mul_lo_u32 v206, v224, v213
	v_mul_lo_u32 v224, v228, v211
	;; [unrolled: 1-line block ×4, first 2 shown]
                                        ; kill: def $vgpr225 killed $sgpr0 killed $exec
	v_mad_u64_u32 v[224:225], null, v227, v213, v[224:225]
	v_mad_u64_u32 v[225:226], null, v226, v211, v[214:215]
	;; [unrolled: 1-line block ×3, first 2 shown]
	v_mul_f32_e32 v212, v195, v45
                                        ; kill: def $vgpr207 killed $sgpr0 killed $exec
	v_mul_f32_e32 v214, v195, v48
	v_mad_u64_u32 v[206:207], null, v223, v211, v[206:207]
	v_mul_f32_e32 v207, v195, v46
	v_mul_f32_e32 v223, v195, v47
	v_cvt_f32_i32_e32 v226, v226
	v_cvt_f32_i32_e32 v225, v225
	;; [unrolled: 1-line block ×4, first 2 shown]
	v_fma_f32 v27, v212, v226, v27
	v_mov_b32_e32 v212, 0
	v_fma_f32 v28, v214, v225, v28
	v_mov_b32_e32 v225, 0
	v_fmac_f32_e32 v26, v207, v206
	v_fma_f32 v29, v223, v224, v29
	v_dot4c_i32_i8 v212, v202, v38
                                        ; kill: def $vgpr38 killed $sgpr0 killed $exec
	v_mov_b32_e32 v223, 0
	v_mov_b32_e32 v224, 0
	;; [unrolled: 1-line block ×3, first 2 shown]
	v_dot4c_i32_i8 v212, v203, v39
	v_mov_b32_e32 v39, 0
	v_dot4c_i32_i8 v212, v204, v40
	v_dot4c_i32_i8 v39, v198, v34
	ds_read_u16 v34, v217 offset:36610
	v_mov_b32_e32 v217, 0
	v_dot4c_i32_i8 v212, v205, v41
	v_dot4c_i32_i8 v39, v199, v35
	v_mul_f32_e32 v41, v197, v47
	v_mov_b32_e32 v47, 0
	v_dot4c_i32_i8 v39, v200, v36
	v_dot4c_i32_i8 v39, v201, v37
	s_waitcnt lgkmcnt(0)
	v_lshrrev_b16 v35, 8, v34
	v_bfe_i32 v207, v34, 0, 8
	v_bfe_i32 v206, v35, 0, 8
	v_mul_lo_u32 v36, v212, v207
	v_mul_lo_u32 v34, v220, v207
	v_mov_b32_e32 v212, 0
	v_mov_b32_e32 v220, 0
	v_mul_lo_u32 v37, v222, v206
	v_mul_lo_u32 v35, v218, v206
	v_mov_b32_e32 v218, 0
	v_mov_b32_e32 v222, 0
	v_mad_u64_u32 v[37:38], null, v221, v207, v[37:38]
	v_mov_b32_e32 v221, 0
	v_mad_u64_u32 v[38:39], null, v39, v206, v[36:37]
                                        ; kill: def $vgpr36 killed $sgpr0 killed $exec
	v_cvt_f32_i32_e32 v37, v37
	v_mad_u64_u32 v[35:36], null, v216, v207, v[35:36]
	v_mul_f32_e32 v36, v197, v45
	v_mov_b32_e32 v216, 0
	v_fma_f32 v25, v41, v37, v25
	v_cvt_f32_i32_e32 v38, v38
	v_mad_u64_u32 v[39:40], null, v219, v206, v[34:35]
	v_mul_f32_e32 v34, v197, v46
	v_mul_f32_e32 v40, v197, v48
	v_cvt_f32_i32_e32 v35, v35
	v_mov_b32_e32 v219, 0
	v_mov_b32_e32 v48, 0
	v_cvt_f32_i32_e32 v39, v39
	v_fma_f32 v24, v40, v38, v24
	v_fma_f32 v23, v36, v35, v23
	v_fmac_f32_e32 v22, v34, v39
	ds_read2_b32 v[45:46], v169 offset0:128 offset1:160
	ds_read_b128 v[38:41], v168 offset:4096
	ds_read_b128 v[34:37], v168 offset:4112
	s_waitcnt lgkmcnt(1)
	v_dot4c_i32_i8 v212, v170, v38
	v_dot4c_i32_i8 v218, v181, v38
	;; [unrolled: 1-line block ×4, first 2 shown]
	s_waitcnt lgkmcnt(0)
	v_dot4c_i32_i8 v225, v174, v34
	v_dot4c_i32_i8 v212, v171, v39
	;; [unrolled: 1-line block ×10, first 2 shown]
	v_mov_b32_e32 v40, 0
	v_dot4c_i32_i8 v219, v192, v34
	v_dot4c_i32_i8 v225, v175, v35
	;; [unrolled: 1-line block ×17, first 2 shown]
	v_mov_b32_e32 v41, 0
	v_dot4c_i32_i8 v40, v201, v37
	ds_read_b128 v[34:37], v168 offset:5120
	ds_read_b128 v[226:229], v168 offset:5136
	s_waitcnt lgkmcnt(1)
	v_dot4c_i32_i8 v230, v170, v34
	s_waitcnt lgkmcnt(0)
	v_dot4c_i32_i8 v231, v174, v226
	v_dot4c_i32_i8 v223, v181, v34
	;; [unrolled: 1-line block ×31, first 2 shown]
	ds_read2_b32 v[38:39], v169 offset0:192 offset1:224
	ds_read_b128 v[34:37], v168 offset:6144
	ds_read_b128 v[226:229], v168 offset:6160
	v_add_nc_u32_e32 v169, 4, v169
	v_mul_lo_u32 v41, v41, v207
	s_waitcnt lgkmcnt(1)
	v_dot4c_i32_i8 v232, v170, v34
	s_waitcnt lgkmcnt(0)
	v_dot4c_i32_i8 v233, v174, v226
	v_dot4c_i32_i8 v234, v181, v34
	;; [unrolled: 1-line block ×31, first 2 shown]
	ds_read_b128 v[226:229], v168 offset:7168
	ds_read_b128 v[34:37], v168 offset:7184
	v_add_nc_u32_e32 v168, 32, v168
	s_waitcnt lgkmcnt(1)
	v_dot4c_i32_i8 v238, v170, v226
	s_waitcnt lgkmcnt(0)
	v_dot4c_i32_i8 v239, v174, v34
                                        ; kill: def $vgpr174 killed $sgpr0 killed $exec
	v_mul_lo_u32 v170, v230, v215
	v_dot4c_i32_i8 v238, v171, v227
	v_dot4c_i32_i8 v239, v175, v35
	v_mul_lo_u32 v171, v225, v208
	v_dot4c_i32_i8 v238, v172, v228
	v_dot4c_i32_i8 v239, v176, v36
	;; [unrolled: 1-line block ×3, first 2 shown]
	v_mul_lo_u32 v173, v233, v208
	v_dot4c_i32_i8 v239, v178, v37
	v_mul_lo_u32 v172, v238, v215
	v_mad_u64_u32 v[173:174], null, v232, v215, v[173:174]
	v_mad_u64_u32 v[174:175], null, v239, v208, v[172:173]
                                        ; kill: def $vgpr172 killed $sgpr0 killed $exec
	v_cvt_f32_i32_e32 v173, v173
	v_mad_u64_u32 v[171:172], null, v212, v215, v[171:172]
	v_mul_f32_e32 v172, v177, v45
	v_cvt_f32_i32_e32 v174, v174
	v_mad_u64_u32 v[175:176], null, v231, v208, v[170:171]
	v_cvt_f32_i32_e32 v171, v171
	v_mul_f32_e32 v170, v177, v46
	v_mul_f32_e32 v176, v177, v39
	;; [unrolled: 1-line block ×3, first 2 shown]
	v_fma_f32 v15, v172, v171, v15
	v_mov_b32_e32 v172, 0
	v_cvt_f32_i32_e32 v175, v175
	v_fma_f32 v17, v177, v173, v17
	v_mul_lo_u32 v173, v235, v209
	v_fma_f32 v16, v176, v174, v16
	v_dot4c_i32_i8 v172, v181, v226
	v_fmac_f32_e32 v14, v170, v175
	v_mov_b32_e32 v175, 0
                                        ; kill: def $vgpr174 killed $sgpr0 killed $exec
	v_mul_lo_u32 v171, v220, v209
	v_mul_lo_u32 v170, v223, v210
	v_dot4c_i32_i8 v172, v182, v227
	v_mad_u64_u32 v[173:174], null, v234, v210, v[173:174]
	v_dot4c_i32_i8 v175, v179, v34
	v_mul_f32_e32 v177, v184, v38
	v_dot4c_i32_i8 v172, v185, v228
	v_dot4c_i32_i8 v175, v180, v35
	;; [unrolled: 1-line block ×4, first 2 shown]
	v_mul_lo_u32 v172, v172, v210
	v_dot4c_i32_i8 v175, v186, v37
	v_mad_u64_u32 v[174:175], null, v175, v209, v[172:173]
                                        ; kill: def $vgpr172 killed $sgpr0 killed $exec
	v_cvt_f32_i32_e32 v173, v173
	v_mad_u64_u32 v[171:172], null, v218, v210, v[171:172]
	v_mul_f32_e32 v172, v184, v45
	v_fma_f32 v13, v177, v173, v13
	v_mul_lo_u32 v173, v237, v211
	v_cvt_f32_i32_e32 v174, v174
	v_mul_f32_e32 v177, v195, v38
	v_mad_u64_u32 v[175:176], null, v224, v209, v[170:171]
	v_cvt_f32_i32_e32 v171, v171
	v_mul_f32_e32 v170, v184, v46
	v_mul_f32_e32 v176, v184, v39
	v_fma_f32 v11, v172, v171, v11
	v_mov_b32_e32 v172, 0
	v_cvt_f32_i32_e32 v175, v175
	v_fma_f32 v12, v176, v174, v12
                                        ; kill: def $vgpr174 killed $sgpr0 killed $exec
	v_mul_lo_u32 v171, v219, v211
	v_mad_u64_u32 v[173:174], null, v236, v213, v[173:174]
	v_dot4c_i32_i8 v172, v188, v226
	v_fmac_f32_e32 v10, v170, v175
	v_mov_b32_e32 v175, 0
	v_mul_lo_u32 v170, v222, v213
	v_dot4c_i32_i8 v172, v189, v227
	v_dot4c_i32_i8 v175, v192, v34
	;; [unrolled: 1-line block ×6, first 2 shown]
	v_mul_lo_u32 v172, v172, v213
	v_dot4c_i32_i8 v175, v196, v37
	v_mad_u64_u32 v[174:175], null, v175, v211, v[172:173]
                                        ; kill: def $vgpr172 killed $sgpr0 killed $exec
	v_cvt_f32_i32_e32 v173, v173
	v_mad_u64_u32 v[171:172], null, v217, v213, v[171:172]
	v_mul_f32_e32 v172, v195, v45
	v_fma_f32 v9, v177, v173, v9
	v_cvt_f32_i32_e32 v174, v174
	v_mad_u64_u32 v[175:176], null, v221, v211, v[170:171]
	v_mul_f32_e32 v170, v195, v46
	v_cvt_f32_i32_e32 v171, v171
	v_mul_f32_e32 v176, v195, v39
	v_mul_f32_e32 v39, v197, v39
	v_cvt_f32_i32_e32 v175, v175
	v_fma_f32 v7, v172, v171, v7
	v_mov_b32_e32 v171, 0
	v_fma_f32 v8, v176, v174, v8
	v_fmac_f32_e32 v6, v170, v175
	v_mov_b32_e32 v170, 0
	v_dot4c_i32_i8 v171, v198, v34
	v_mul_lo_u32 v34, v216, v206
	v_dot4c_i32_i8 v170, v202, v226
	v_dot4c_i32_i8 v171, v199, v35
                                        ; kill: def $vgpr35 killed $sgpr0 killed $exec
	v_dot4c_i32_i8 v170, v203, v227
	v_dot4c_i32_i8 v171, v200, v36
	v_mad_u64_u32 v[34:35], null, v214, v207, v[34:35]
	v_dot4c_i32_i8 v170, v204, v228
	v_dot4c_i32_i8 v171, v201, v37
	v_mul_lo_u32 v37, v40, v206
	v_mad_u64_u32 v[40:41], null, v48, v206, v[41:42]
	v_dot4c_i32_i8 v170, v205, v229
	v_mul_f32_e32 v41, v197, v45
	v_cvt_f32_i32_e32 v34, v34
	v_mul_lo_u32 v36, v170, v207
	v_cvt_f32_i32_e32 v40, v40
	v_mad_u64_u32 v[35:36], null, v171, v206, v[36:37]
	v_mad_u64_u32 v[36:37], null, v47, v207, v[37:38]
	v_mul_f32_e32 v37, v197, v46
	v_mul_f32_e32 v38, v197, v38
	v_cvt_f32_i32_e32 v35, v35
	v_fmac_f32_e32 v2, v37, v40
	v_cvt_f32_i32_e32 v36, v36
	v_fma_f32 v5, v38, v34, v5
	v_fma_f32 v4, v39, v35, v4
	;; [unrolled: 1-line block ×3, first 2 shown]
	s_cbranch_scc1 .LBB169_9
; %bb.10:                               ;   in Loop: Header=BB169_6 Depth=1
	s_or_b32 s1, s11, 1
	s_cmp_ge_i32 s1, s4
	s_barrier
	buffer_gl0_inv
	s_cbranch_scc1 .LBB169_5
; %bb.11:                               ;   in Loop: Header=BB169_6 Depth=1
	v_add_nc_u32_e32 v168, s0, v126
	v_add_nc_u32_e32 v47, 8, v167
	s_mov_b32 s1, 16
	s_mov_b32 s17, 14
	s_mov_b32 s14, 0
	v_add_nc_u32_e32 v34, v168, v109
	v_add_nc_u32_e32 v36, v168, v110
	;; [unrolled: 1-line block ×5, first 2 shown]
	v_mad_u64_u32 v[47:48], null, v47, 36, s[2:3]
	v_mad_i64_i32 v[34:35], null, v34, 36, v[43:44]
	v_add_nc_u32_e32 v169, v168, v114
	v_mad_i64_i32 v[36:37], null, v36, 36, v[43:44]
	v_add_nc_u32_e32 v170, v168, v115
	;; [unrolled: 2-line block ×3, first 2 shown]
	v_mad_i64_i32 v[40:41], null, v40, 36, v[43:44]
	v_mad_i64_i32 v[45:46], null, v45, 36, v[43:44]
	;; [unrolled: 1-line block ×5, first 2 shown]
	s_clause 0x8
	global_load_dword v47, v[47:48], off
	global_load_dword v34, v[34:35], off offset:4
	global_load_dword v35, v[36:37], off offset:4
	;; [unrolled: 1-line block ×8, first 2 shown]
	v_mov_b32_e32 v168, v137
	v_mov_b32_e32 v169, v136
	s_waitcnt vmcnt(8)
	v_cvt_f32_f16_e32 v45, v47
	s_waitcnt vmcnt(7)
	ds_write_b32 v150, v34
	s_waitcnt vmcnt(6)
	ds_write_b32 v151, v35
	;; [unrolled: 2-line block ×8, first 2 shown]
	ds_write_b32 v108, v45
	s_waitcnt lgkmcnt(0)
	s_barrier
	buffer_gl0_inv
.LBB169_12:                             ;   Parent Loop BB169_6 Depth=1
                                        ; =>  This Inner Loop Header: Depth=2
	s_add_i32 s15, s17, 2
	ds_read2_b32 v[45:46], v169 offset1:32
	ds_read_b128 v[38:41], v168
	ds_read_b128 v[34:37], v168 offset:16
	s_lshr_b32 s18, s15, 4
	s_and_b32 s19, s15, 0x3ffffff8
	s_add_i32 s16, s17, -14
	v_lshl_add_u32 v197, s19, 2, v117
	s_lshl_b32 s19, s18, 5
	s_lshl_b32 s18, s18, 2
	s_addk_i32 s19, 0x4200
	s_add_i32 s18, s18, 0x9380
	v_add3_u32 v176, s19, v164, v118
	ds_read2_b32 v[47:48], v197 offset1:1
	v_add3_u32 v184, s19, v158, v119
	v_add3_u32 v194, s19, v160, v121
	v_mov_b32_e32 v206, 0
	ds_read2_b32 v[170:171], v176 offset1:1
	v_mov_b32_e32 v209, 0
	v_mov_b32_e32 v207, 0
	;; [unrolled: 1-line block ×15, first 2 shown]
	s_waitcnt lgkmcnt(1)
	v_ashrrev_i32_e32 v47, s16, v47
	v_mov_b32_e32 v230, 0
	v_mov_b32_e32 v227, 0
	;; [unrolled: 1-line block ×3, first 2 shown]
	s_waitcnt lgkmcnt(0)
	v_ashrrev_i32_e32 v170, s14, v170
	v_and_b32_e32 v172, 0x3030303, v47
	v_bfe_u32 v47, v47, 24, 2
	v_ashrrev_i32_e32 v171, s14, v171
	v_mov_b32_e32 v221, 0
	v_lshlrev_b32_e32 v170, 2, v170
	v_lshrrev_b16 v174, 8, v172
	v_lshrrev_b32_e32 v173, 16, v172
	v_lshlrev_b32_e32 v171, 2, v171
	v_mov_b32_e32 v222, 0
	v_and_b32_e32 v170, 0x4040404, v170
	s_and_b32 s20, s1, -16
	v_mov_b32_e32 v232, 0
	v_and_b32_e32 v171, 0x4040404, v171
	s_add_i32 s17, s17, s20
	v_lshrrev_b16 v178, 8, v170
	v_lshrrev_b32_e32 v175, 16, v170
	v_lshrrev_b32_e32 v177, 24, v170
	v_sub_nc_u16 v170, v172, v170
	v_add_nc_u32_e32 v208, s17, v128
	v_sub_nc_u16 v172, v174, v178
	v_lshrrev_b32_e32 v174, 16, v171
	v_sub_nc_u16 v47, v47, v177
	v_lshrrev_b16 v177, 8, v171
	v_mov_b32_e32 v235, 0
	v_lshlrev_b16 v172, 8, v172
	v_add_nc_u32_e32 v210, s17, v129
	v_lshlrev_b16 v47, 8, v47
	v_add_nc_u32_e32 v213, s17, v130
	v_mov_b32_e32 v238, 0
	v_or_b32_sdwa v170, v170, v172 dst_sel:DWORD dst_unused:UNUSED_PAD src0_sel:BYTE_0 src1_sel:DWORD
	v_sub_nc_u16 v172, v173, v175
	v_lshrrev_b32_e32 v175, 24, v171
	v_mov_b32_e32 v239, 0
	s_add_i32 s1, s1, 2
	v_or_b32_sdwa v47, v172, v47 dst_sel:WORD_1 dst_unused:UNUSED_PAD src0_sel:BYTE_0 src1_sel:DWORD
	v_or_b32_sdwa v170, v170, v47 dst_sel:DWORD dst_unused:UNUSED_PAD src0_sel:WORD_0 src1_sel:DWORD
	v_ashrrev_i32_e32 v47, s16, v48
	v_dot4c_i32_i8 v206, v170, v38
	v_and_b32_e32 v48, 0x3030303, v47
	v_bfe_u32 v47, v47, 24, 2
	v_lshrrev_b16 v173, 8, v48
	v_lshrrev_b32_e32 v172, 16, v48
	v_sub_nc_u16 v48, v48, v171
	v_sub_nc_u16 v47, v47, v175
	v_sub_nc_u16 v171, v173, v177
	v_lshlrev_b16 v47, 8, v47
	v_lshlrev_b16 v171, 8, v171
	v_or_b32_sdwa v48, v48, v171 dst_sel:DWORD dst_unused:UNUSED_PAD src0_sel:BYTE_0 src1_sel:DWORD
	v_sub_nc_u16 v171, v172, v174
	ds_read2_b32 v[172:173], v176 offset0:2 offset1:3
	v_or_b32_sdwa v47, v171, v47 dst_sel:WORD_1 dst_unused:UNUSED_PAD src0_sel:BYTE_0 src1_sel:DWORD
	v_or_b32_sdwa v171, v48, v47 dst_sel:DWORD dst_unused:UNUSED_PAD src0_sel:WORD_0 src1_sel:DWORD
	ds_read2_b32 v[47:48], v197 offset0:2 offset1:3
	v_dot4c_i32_i8 v206, v171, v39
	s_waitcnt lgkmcnt(1)
	v_ashrrev_i32_e32 v172, s14, v172
	v_ashrrev_i32_e32 v173, s14, v173
	v_lshlrev_b32_e32 v172, 2, v172
	v_lshlrev_b32_e32 v173, 2, v173
	s_waitcnt lgkmcnt(0)
	v_ashrrev_i32_e32 v47, s16, v47
	v_and_b32_e32 v172, 0x4040404, v172
	v_and_b32_e32 v173, 0x4040404, v173
	v_and_b32_e32 v174, 0x3030303, v47
	v_bfe_u32 v47, v47, 24, 2
	v_lshrrev_b16 v180, 8, v172
	v_lshrrev_b32_e32 v178, 16, v172
	v_lshrrev_b32_e32 v179, 24, v172
	v_lshrrev_b16 v177, 8, v174
	v_lshrrev_b32_e32 v175, 16, v174
	v_sub_nc_u16 v172, v174, v172
	v_sub_nc_u16 v47, v47, v179
	v_sub_nc_u16 v174, v177, v180
	v_lshrrev_b16 v179, 8, v173
	v_lshrrev_b32_e32 v177, 16, v173
	v_lshlrev_b16 v47, 8, v47
	v_lshlrev_b16 v174, 8, v174
	v_or_b32_sdwa v172, v172, v174 dst_sel:DWORD dst_unused:UNUSED_PAD src0_sel:BYTE_0 src1_sel:DWORD
	v_sub_nc_u16 v174, v175, v178
	v_lshrrev_b32_e32 v178, 24, v173
	v_or_b32_sdwa v47, v174, v47 dst_sel:WORD_1 dst_unused:UNUSED_PAD src0_sel:BYTE_0 src1_sel:DWORD
	v_or_b32_sdwa v172, v172, v47 dst_sel:DWORD dst_unused:UNUSED_PAD src0_sel:WORD_0 src1_sel:DWORD
	v_ashrrev_i32_e32 v47, s16, v48
	v_dot4c_i32_i8 v206, v172, v40
	v_and_b32_e32 v48, 0x3030303, v47
	v_bfe_u32 v47, v47, 24, 2
	v_lshrrev_b16 v175, 8, v48
	v_lshrrev_b32_e32 v174, 16, v48
	v_sub_nc_u16 v48, v48, v173
	v_sub_nc_u16 v47, v47, v178
	v_sub_nc_u16 v173, v175, v179
	v_lshlrev_b16 v47, 8, v47
	v_lshlrev_b16 v173, 8, v173
	v_or_b32_sdwa v48, v48, v173 dst_sel:DWORD dst_unused:UNUSED_PAD src0_sel:BYTE_0 src1_sel:DWORD
	v_sub_nc_u16 v173, v174, v177
	ds_read2_b32 v[174:175], v176 offset0:4 offset1:5
	v_or_b32_sdwa v47, v173, v47 dst_sel:WORD_1 dst_unused:UNUSED_PAD src0_sel:BYTE_0 src1_sel:DWORD
	v_or_b32_sdwa v173, v48, v47 dst_sel:DWORD dst_unused:UNUSED_PAD src0_sel:WORD_0 src1_sel:DWORD
	ds_read2_b32 v[47:48], v197 offset0:4 offset1:5
	v_dot4c_i32_i8 v206, v173, v41
	s_waitcnt lgkmcnt(1)
	v_ashrrev_i32_e32 v174, s14, v174
	v_ashrrev_i32_e32 v175, s14, v175
	v_lshlrev_b32_e32 v174, 2, v174
	v_lshlrev_b32_e32 v175, 2, v175
	s_waitcnt lgkmcnt(0)
	v_ashrrev_i32_e32 v47, s16, v47
	v_and_b32_e32 v174, 0x4040404, v174
	v_and_b32_e32 v175, 0x4040404, v175
	v_and_b32_e32 v177, 0x3030303, v47
	v_bfe_u32 v47, v47, 24, 2
	v_lshrrev_b16 v182, 8, v174
	v_lshrrev_b32_e32 v180, 16, v174
	v_lshrrev_b32_e32 v181, 24, v174
	v_lshrrev_b16 v179, 8, v177
	v_lshrrev_b32_e32 v178, 16, v177
	v_sub_nc_u16 v174, v177, v174
	v_sub_nc_u16 v47, v47, v181
	v_sub_nc_u16 v177, v179, v182
	v_lshrrev_b16 v181, 8, v175
	v_lshrrev_b32_e32 v179, 16, v175
	v_lshlrev_b16 v47, 8, v47
	v_lshlrev_b16 v177, 8, v177
	v_or_b32_sdwa v174, v174, v177 dst_sel:DWORD dst_unused:UNUSED_PAD src0_sel:BYTE_0 src1_sel:DWORD
	v_sub_nc_u16 v177, v178, v180
	v_lshrrev_b32_e32 v180, 24, v175
	;; [unrolled: 46-line block ×3, first 2 shown]
	v_or_b32_sdwa v47, v178, v47 dst_sel:WORD_1 dst_unused:UNUSED_PAD src0_sel:BYTE_0 src1_sel:DWORD
	v_or_b32_sdwa v176, v176, v47 dst_sel:DWORD dst_unused:UNUSED_PAD src0_sel:WORD_0 src1_sel:DWORD
	v_ashrrev_i32_e32 v47, s16, v48
	v_dot4c_i32_i8 v209, v176, v36
	v_and_b32_e32 v48, 0x3030303, v47
	v_bfe_u32 v47, v47, 24, 2
	v_lshrrev_b16 v179, 8, v48
	v_lshrrev_b32_e32 v178, 16, v48
	v_sub_nc_u16 v48, v48, v177
	v_sub_nc_u16 v47, v47, v181
	;; [unrolled: 1-line block ×3, first 2 shown]
	v_lshlrev_b16 v47, 8, v47
	v_lshlrev_b16 v177, 8, v177
	v_or_b32_sdwa v48, v48, v177 dst_sel:DWORD dst_unused:UNUSED_PAD src0_sel:BYTE_0 src1_sel:DWORD
	v_sub_nc_u16 v177, v178, v180
	ds_read2_b32 v[179:180], v184 offset1:1
	v_or_b32_sdwa v47, v177, v47 dst_sel:WORD_1 dst_unused:UNUSED_PAD src0_sel:BYTE_0 src1_sel:DWORD
	v_or_b32_sdwa v178, v48, v47 dst_sel:DWORD dst_unused:UNUSED_PAD src0_sel:WORD_0 src1_sel:DWORD
	v_add3_u32 v47, s18, v165, v166
	v_dot4c_i32_i8 v209, v178, v37
	ds_read_b32 v177, v47
	v_add_nc_u32_e32 v47, 0x1080, v197
	s_waitcnt lgkmcnt(1)
	v_ashrrev_i32_e32 v179, s14, v179
	ds_read2_b32 v[47:48], v47 offset1:1
	v_ashrrev_i32_e32 v180, s14, v180
	v_lshlrev_b32_e32 v179, 2, v179
	v_lshlrev_b32_e32 v180, 2, v180
	v_and_b32_e32 v179, 0x4040404, v179
	v_and_b32_e32 v180, 0x4040404, v180
	v_lshrrev_b16 v187, 8, v179
	v_lshrrev_b32_e32 v185, 16, v179
	v_lshrrev_b32_e32 v186, 24, v179
	s_waitcnt lgkmcnt(0)
	v_ashrrev_i32_e32 v47, s16, v47
	v_and_b32_e32 v181, 0x3030303, v47
	v_bfe_u32 v47, v47, 24, 2
	v_lshrrev_b16 v183, 8, v181
	v_lshrrev_b32_e32 v182, 16, v181
	v_sub_nc_u16 v179, v181, v179
	v_sub_nc_u16 v47, v47, v186
	v_lshrrev_b16 v186, 8, v180
	v_sub_nc_u16 v181, v183, v187
	v_lshrrev_b32_e32 v183, 16, v180
	v_lshlrev_b16 v47, 8, v47
	v_lshlrev_b16 v181, 8, v181
	v_or_b32_sdwa v179, v179, v181 dst_sel:DWORD dst_unused:UNUSED_PAD src0_sel:BYTE_0 src1_sel:DWORD
	v_sub_nc_u16 v181, v182, v185
	v_lshrrev_b32_e32 v185, 24, v180
	v_or_b32_sdwa v47, v181, v47 dst_sel:WORD_1 dst_unused:UNUSED_PAD src0_sel:BYTE_0 src1_sel:DWORD
	v_or_b32_sdwa v181, v179, v47 dst_sel:DWORD dst_unused:UNUSED_PAD src0_sel:WORD_0 src1_sel:DWORD
	v_ashrrev_i32_e32 v47, s16, v48
	v_dot4c_i32_i8 v207, v181, v38
	v_and_b32_e32 v48, 0x3030303, v47
	v_bfe_u32 v47, v47, 24, 2
	v_lshrrev_b16 v182, 8, v48
	v_lshrrev_b32_e32 v179, 16, v48
	v_sub_nc_u16 v48, v48, v180
	v_sub_nc_u16 v47, v47, v185
	;; [unrolled: 1-line block ×4, first 2 shown]
	v_lshlrev_b16 v47, 8, v47
	v_lshlrev_b16 v180, 8, v180
	v_or_b32_sdwa v47, v179, v47 dst_sel:WORD_1 dst_unused:UNUSED_PAD src0_sel:BYTE_0 src1_sel:DWORD
	v_or_b32_sdwa v48, v48, v180 dst_sel:DWORD dst_unused:UNUSED_PAD src0_sel:BYTE_0 src1_sel:DWORD
	ds_read2_b32 v[179:180], v184 offset0:2 offset1:3
	v_or_b32_sdwa v182, v48, v47 dst_sel:DWORD dst_unused:UNUSED_PAD src0_sel:WORD_0 src1_sel:DWORD
	v_add_nc_u32_e32 v47, 0x1088, v197
	v_dot4c_i32_i8 v207, v182, v39
	ds_read2_b32 v[47:48], v47 offset1:1
	s_waitcnt lgkmcnt(1)
	v_ashrrev_i32_e32 v179, s14, v179
	v_ashrrev_i32_e32 v180, s14, v180
	v_lshlrev_b32_e32 v179, 2, v179
	v_lshlrev_b32_e32 v180, 2, v180
	s_waitcnt lgkmcnt(0)
	v_ashrrev_i32_e32 v47, s16, v47
	v_and_b32_e32 v179, 0x4040404, v179
	v_and_b32_e32 v180, 0x4040404, v180
	;; [unrolled: 1-line block ×3, first 2 shown]
	v_bfe_u32 v47, v47, 24, 2
	v_lshrrev_b16 v189, 8, v179
	v_lshrrev_b32_e32 v187, 16, v179
	v_lshrrev_b32_e32 v188, 24, v179
	v_lshrrev_b16 v186, 8, v183
	v_lshrrev_b32_e32 v185, 16, v183
	v_sub_nc_u16 v179, v183, v179
	v_sub_nc_u16 v47, v47, v188
	;; [unrolled: 1-line block ×3, first 2 shown]
	v_lshrrev_b16 v188, 8, v180
	v_lshrrev_b32_e32 v186, 16, v180
	v_lshlrev_b16 v47, 8, v47
	v_lshlrev_b16 v183, 8, v183
	v_or_b32_sdwa v179, v179, v183 dst_sel:DWORD dst_unused:UNUSED_PAD src0_sel:BYTE_0 src1_sel:DWORD
	v_sub_nc_u16 v183, v185, v187
	v_lshrrev_b32_e32 v187, 24, v180
	v_or_b32_sdwa v47, v183, v47 dst_sel:WORD_1 dst_unused:UNUSED_PAD src0_sel:BYTE_0 src1_sel:DWORD
	v_or_b32_sdwa v185, v179, v47 dst_sel:DWORD dst_unused:UNUSED_PAD src0_sel:WORD_0 src1_sel:DWORD
	v_ashrrev_i32_e32 v47, s16, v48
	v_dot4c_i32_i8 v207, v185, v40
	v_and_b32_e32 v48, 0x3030303, v47
	v_bfe_u32 v47, v47, 24, 2
	v_lshrrev_b16 v183, 8, v48
	v_lshrrev_b32_e32 v179, 16, v48
	v_sub_nc_u16 v48, v48, v180
	v_sub_nc_u16 v47, v47, v187
	;; [unrolled: 1-line block ×4, first 2 shown]
	v_lshlrev_b16 v47, 8, v47
	v_lshlrev_b16 v180, 8, v180
	v_or_b32_sdwa v47, v179, v47 dst_sel:WORD_1 dst_unused:UNUSED_PAD src0_sel:BYTE_0 src1_sel:DWORD
	v_or_b32_sdwa v48, v48, v180 dst_sel:DWORD dst_unused:UNUSED_PAD src0_sel:BYTE_0 src1_sel:DWORD
	ds_read2_b32 v[179:180], v184 offset0:4 offset1:5
	v_or_b32_sdwa v187, v48, v47 dst_sel:DWORD dst_unused:UNUSED_PAD src0_sel:WORD_0 src1_sel:DWORD
	v_add_nc_u32_e32 v47, 0x1090, v197
	v_dot4c_i32_i8 v207, v187, v41
	ds_read2_b32 v[47:48], v47 offset1:1
	s_waitcnt lgkmcnt(1)
	v_ashrrev_i32_e32 v179, s14, v179
	v_ashrrev_i32_e32 v180, s14, v180
	v_lshlrev_b32_e32 v179, 2, v179
	v_lshlrev_b32_e32 v180, 2, v180
	s_waitcnt lgkmcnt(0)
	v_ashrrev_i32_e32 v47, s16, v47
	v_and_b32_e32 v179, 0x4040404, v179
	v_and_b32_e32 v180, 0x4040404, v180
	;; [unrolled: 1-line block ×3, first 2 shown]
	v_bfe_u32 v47, v47, 24, 2
	v_lshrrev_b16 v191, 8, v179
	v_lshrrev_b32_e32 v189, 16, v179
	v_lshrrev_b32_e32 v190, 24, v179
	v_lshrrev_b16 v188, 8, v183
	v_lshrrev_b32_e32 v186, 16, v183
	v_sub_nc_u16 v179, v183, v179
	v_sub_nc_u16 v47, v47, v190
	;; [unrolled: 1-line block ×3, first 2 shown]
	v_lshrrev_b16 v190, 8, v180
	v_lshrrev_b32_e32 v188, 16, v180
	v_lshlrev_b16 v47, 8, v47
	v_lshlrev_b16 v183, 8, v183
	v_or_b32_sdwa v179, v179, v183 dst_sel:DWORD dst_unused:UNUSED_PAD src0_sel:BYTE_0 src1_sel:DWORD
	v_sub_nc_u16 v183, v186, v189
	v_lshrrev_b32_e32 v189, 24, v180
	v_or_b32_sdwa v47, v183, v47 dst_sel:WORD_1 dst_unused:UNUSED_PAD src0_sel:BYTE_0 src1_sel:DWORD
	v_or_b32_sdwa v179, v179, v47 dst_sel:DWORD dst_unused:UNUSED_PAD src0_sel:WORD_0 src1_sel:DWORD
	v_ashrrev_i32_e32 v47, s16, v48
	v_dot4c_i32_i8 v211, v179, v34
	v_and_b32_e32 v48, 0x3030303, v47
	v_bfe_u32 v47, v47, 24, 2
	v_lshrrev_b16 v186, 8, v48
	v_lshrrev_b32_e32 v183, 16, v48
	v_sub_nc_u16 v48, v48, v180
	v_sub_nc_u16 v47, v47, v189
	;; [unrolled: 1-line block ×3, first 2 shown]
	v_lshlrev_b16 v47, 8, v47
	v_lshlrev_b16 v180, 8, v180
	v_or_b32_sdwa v48, v48, v180 dst_sel:DWORD dst_unused:UNUSED_PAD src0_sel:BYTE_0 src1_sel:DWORD
	v_sub_nc_u16 v180, v183, v188
	ds_read2_b32 v[183:184], v184 offset0:6 offset1:7
	v_or_b32_sdwa v47, v180, v47 dst_sel:WORD_1 dst_unused:UNUSED_PAD src0_sel:BYTE_0 src1_sel:DWORD
	v_or_b32_sdwa v180, v48, v47 dst_sel:DWORD dst_unused:UNUSED_PAD src0_sel:WORD_0 src1_sel:DWORD
	v_add_nc_u32_e32 v47, 0x1098, v197
	v_dot4c_i32_i8 v211, v180, v35
	ds_read2_b32 v[47:48], v47 offset1:1
	s_waitcnt lgkmcnt(1)
	v_ashrrev_i32_e32 v183, s14, v183
	v_ashrrev_i32_e32 v184, s14, v184
	v_lshlrev_b32_e32 v183, 2, v183
	v_lshlrev_b32_e32 v184, 2, v184
	v_and_b32_e32 v183, 0x4040404, v183
	v_and_b32_e32 v184, 0x4040404, v184
	s_waitcnt lgkmcnt(0)
	v_ashrrev_i32_e32 v47, s16, v47
	v_lshrrev_b16 v192, 8, v183
	v_lshrrev_b32_e32 v190, 16, v183
	v_lshrrev_b32_e32 v191, 24, v183
	v_and_b32_e32 v186, 0x3030303, v47
	v_bfe_u32 v47, v47, 24, 2
	v_lshrrev_b16 v189, 8, v186
	v_lshrrev_b32_e32 v188, 16, v186
	v_sub_nc_u16 v183, v186, v183
	v_sub_nc_u16 v47, v47, v191
	v_lshrrev_b16 v191, 8, v184
	v_sub_nc_u16 v186, v189, v192
	v_lshrrev_b32_e32 v189, 16, v184
	v_lshlrev_b16 v47, 8, v47
	v_lshlrev_b16 v186, 8, v186
	v_or_b32_sdwa v183, v183, v186 dst_sel:DWORD dst_unused:UNUSED_PAD src0_sel:BYTE_0 src1_sel:DWORD
	v_sub_nc_u16 v186, v188, v190
	v_lshrrev_b32_e32 v190, 24, v184
	v_or_b32_sdwa v47, v186, v47 dst_sel:WORD_1 dst_unused:UNUSED_PAD src0_sel:BYTE_0 src1_sel:DWORD
	v_or_b32_sdwa v183, v183, v47 dst_sel:DWORD dst_unused:UNUSED_PAD src0_sel:WORD_0 src1_sel:DWORD
	v_ashrrev_i32_e32 v47, s16, v48
	v_dot4c_i32_i8 v211, v183, v36
	v_and_b32_e32 v48, 0x3030303, v47
	v_bfe_u32 v47, v47, 24, 2
	v_lshrrev_b16 v188, 8, v48
	v_lshrrev_b32_e32 v186, 16, v48
	v_sub_nc_u16 v48, v48, v184
	v_sub_nc_u16 v47, v47, v190
	;; [unrolled: 1-line block ×3, first 2 shown]
	v_lshlrev_b16 v47, 8, v47
	v_lshlrev_b16 v184, 8, v184
	v_or_b32_sdwa v48, v48, v184 dst_sel:DWORD dst_unused:UNUSED_PAD src0_sel:BYTE_0 src1_sel:DWORD
	v_sub_nc_u16 v184, v186, v189
	ds_read2_b32 v[188:189], v194 offset1:1
	v_or_b32_sdwa v47, v184, v47 dst_sel:WORD_1 dst_unused:UNUSED_PAD src0_sel:BYTE_0 src1_sel:DWORD
	v_or_b32_sdwa v186, v48, v47 dst_sel:DWORD dst_unused:UNUSED_PAD src0_sel:WORD_0 src1_sel:DWORD
	v_add3_u32 v47, s18, v159, v120
	v_dot4c_i32_i8 v211, v186, v37
	ds_read_b32 v184, v47
	v_add_nc_u32_e32 v47, 0x2100, v197
	s_waitcnt lgkmcnt(1)
	v_ashrrev_i32_e32 v188, s14, v188
	ds_read2_b32 v[47:48], v47 offset1:1
	v_ashrrev_i32_e32 v189, s14, v189
	v_lshlrev_b32_e32 v188, 2, v188
	v_lshlrev_b32_e32 v189, 2, v189
	v_and_b32_e32 v188, 0x4040404, v188
	v_and_b32_e32 v189, 0x4040404, v189
	v_lshrrev_b16 v196, 8, v188
	v_lshrrev_b32_e32 v193, 16, v188
	v_lshrrev_b32_e32 v195, 24, v188
	s_waitcnt lgkmcnt(0)
	v_ashrrev_i32_e32 v47, s16, v47
	v_and_b32_e32 v190, 0x3030303, v47
	v_bfe_u32 v47, v47, 24, 2
	v_lshrrev_b16 v192, 8, v190
	v_lshrrev_b32_e32 v191, 16, v190
	v_sub_nc_u16 v188, v190, v188
	v_sub_nc_u16 v47, v47, v195
	v_lshrrev_b16 v195, 8, v189
	v_sub_nc_u16 v190, v192, v196
	v_lshrrev_b32_e32 v192, 16, v189
	v_lshlrev_b16 v47, 8, v47
	v_lshlrev_b16 v190, 8, v190
	v_or_b32_sdwa v188, v188, v190 dst_sel:DWORD dst_unused:UNUSED_PAD src0_sel:BYTE_0 src1_sel:DWORD
	v_sub_nc_u16 v190, v191, v193
	v_lshrrev_b32_e32 v193, 24, v189
	v_or_b32_sdwa v47, v190, v47 dst_sel:WORD_1 dst_unused:UNUSED_PAD src0_sel:BYTE_0 src1_sel:DWORD
	v_or_b32_sdwa v188, v188, v47 dst_sel:DWORD dst_unused:UNUSED_PAD src0_sel:WORD_0 src1_sel:DWORD
	v_ashrrev_i32_e32 v47, s16, v48
	v_dot4c_i32_i8 v212, v188, v38
	v_and_b32_e32 v48, 0x3030303, v47
	v_bfe_u32 v47, v47, 24, 2
	v_lshrrev_b16 v191, 8, v48
	v_lshrrev_b32_e32 v190, 16, v48
	v_sub_nc_u16 v48, v48, v189
	v_sub_nc_u16 v47, v47, v193
	v_sub_nc_u16 v189, v191, v195
	v_lshlrev_b16 v47, 8, v47
	v_lshlrev_b16 v189, 8, v189
	v_or_b32_sdwa v48, v48, v189 dst_sel:DWORD dst_unused:UNUSED_PAD src0_sel:BYTE_0 src1_sel:DWORD
	v_sub_nc_u16 v189, v190, v192
	ds_read2_b32 v[190:191], v194 offset0:2 offset1:3
	v_or_b32_sdwa v47, v189, v47 dst_sel:WORD_1 dst_unused:UNUSED_PAD src0_sel:BYTE_0 src1_sel:DWORD
	v_or_b32_sdwa v189, v48, v47 dst_sel:DWORD dst_unused:UNUSED_PAD src0_sel:WORD_0 src1_sel:DWORD
	v_add_nc_u32_e32 v47, 0x2108, v197
	v_dot4c_i32_i8 v212, v189, v39
	ds_read2_b32 v[47:48], v47 offset1:1
	s_waitcnt lgkmcnt(1)
	v_ashrrev_i32_e32 v190, s14, v190
	v_ashrrev_i32_e32 v191, s14, v191
	v_lshlrev_b32_e32 v190, 2, v190
	v_lshlrev_b32_e32 v191, 2, v191
	v_and_b32_e32 v190, 0x4040404, v190
	v_and_b32_e32 v191, 0x4040404, v191
	s_waitcnt lgkmcnt(0)
	v_ashrrev_i32_e32 v47, s16, v47
	v_lshrrev_b16 v199, 8, v190
	v_lshrrev_b32_e32 v196, 16, v190
	v_lshrrev_b32_e32 v198, 24, v190
	v_and_b32_e32 v192, 0x3030303, v47
	v_bfe_u32 v47, v47, 24, 2
	v_lshrrev_b16 v195, 8, v192
	v_lshrrev_b32_e32 v193, 16, v192
	v_sub_nc_u16 v190, v192, v190
	v_sub_nc_u16 v47, v47, v198
	v_lshrrev_b16 v198, 8, v191
	v_sub_nc_u16 v192, v195, v199
	v_lshrrev_b32_e32 v195, 16, v191
	v_lshlrev_b16 v47, 8, v47
	v_lshlrev_b16 v192, 8, v192
	v_or_b32_sdwa v190, v190, v192 dst_sel:DWORD dst_unused:UNUSED_PAD src0_sel:BYTE_0 src1_sel:DWORD
	v_sub_nc_u16 v192, v193, v196
	v_lshrrev_b32_e32 v196, 24, v191
	v_or_b32_sdwa v47, v192, v47 dst_sel:WORD_1 dst_unused:UNUSED_PAD src0_sel:BYTE_0 src1_sel:DWORD
	v_or_b32_sdwa v190, v190, v47 dst_sel:DWORD dst_unused:UNUSED_PAD src0_sel:WORD_0 src1_sel:DWORD
	v_ashrrev_i32_e32 v47, s16, v48
	v_dot4c_i32_i8 v212, v190, v40
	v_and_b32_e32 v48, 0x3030303, v47
	v_bfe_u32 v47, v47, 24, 2
	v_lshrrev_b16 v193, 8, v48
	v_lshrrev_b32_e32 v192, 16, v48
	v_sub_nc_u16 v48, v48, v191
	v_sub_nc_u16 v47, v47, v196
	v_sub_nc_u16 v191, v193, v198
	v_lshlrev_b16 v47, 8, v47
	v_lshlrev_b16 v191, 8, v191
	v_or_b32_sdwa v48, v48, v191 dst_sel:DWORD dst_unused:UNUSED_PAD src0_sel:BYTE_0 src1_sel:DWORD
	v_sub_nc_u16 v191, v192, v195
	ds_read2_b32 v[192:193], v194 offset0:4 offset1:5
	v_or_b32_sdwa v47, v191, v47 dst_sel:WORD_1 dst_unused:UNUSED_PAD src0_sel:BYTE_0 src1_sel:DWORD
	v_or_b32_sdwa v191, v48, v47 dst_sel:DWORD dst_unused:UNUSED_PAD src0_sel:WORD_0 src1_sel:DWORD
	v_add_nc_u32_e32 v47, 0x2110, v197
	v_dot4c_i32_i8 v212, v191, v41
	ds_read2_b32 v[47:48], v47 offset1:1
	s_waitcnt lgkmcnt(1)
	v_ashrrev_i32_e32 v192, s14, v192
	v_ashrrev_i32_e32 v193, s14, v193
	v_lshlrev_b32_e32 v192, 2, v192
	v_lshlrev_b32_e32 v193, 2, v193
	v_and_b32_e32 v192, 0x4040404, v192
	v_and_b32_e32 v193, 0x4040404, v193
	s_waitcnt lgkmcnt(0)
	v_ashrrev_i32_e32 v47, s16, v47
	v_lshrrev_b16 v201, 8, v192
	v_lshrrev_b32_e32 v199, 16, v192
	v_lshrrev_b32_e32 v200, 24, v192
	;; [unrolled: 47-line block ×3, first 2 shown]
	v_and_b32_e32 v196, 0x3030303, v47
	v_bfe_u32 v47, v47, 24, 2
	v_lshrrev_b16 v199, 8, v196
	v_lshrrev_b32_e32 v198, 16, v196
	v_sub_nc_u16 v194, v196, v194
	v_sub_nc_u16 v47, v47, v201
	v_lshrrev_b16 v201, 8, v195
	v_sub_nc_u16 v196, v199, v202
	v_lshrrev_b32_e32 v199, 16, v195
	v_lshlrev_b16 v47, 8, v47
	v_lshlrev_b16 v196, 8, v196
	v_or_b32_sdwa v194, v194, v196 dst_sel:DWORD dst_unused:UNUSED_PAD src0_sel:BYTE_0 src1_sel:DWORD
	v_sub_nc_u16 v196, v198, v200
	v_lshrrev_b32_e32 v200, 24, v195
	v_or_b32_sdwa v47, v196, v47 dst_sel:WORD_1 dst_unused:UNUSED_PAD src0_sel:BYTE_0 src1_sel:DWORD
	v_or_b32_sdwa v194, v194, v47 dst_sel:DWORD dst_unused:UNUSED_PAD src0_sel:WORD_0 src1_sel:DWORD
	v_ashrrev_i32_e32 v47, s16, v48
	v_dot4c_i32_i8 v214, v194, v36
	v_and_b32_e32 v48, 0x3030303, v47
	v_bfe_u32 v47, v47, 24, 2
	v_lshrrev_b16 v198, 8, v48
	v_lshrrev_b32_e32 v196, 16, v48
	v_sub_nc_u16 v48, v48, v195
	v_sub_nc_u16 v47, v47, v200
	;; [unrolled: 1-line block ×3, first 2 shown]
	v_add3_u32 v201, s19, v162, v123
	v_lshlrev_b16 v47, 8, v47
	v_lshlrev_b16 v195, 8, v195
	ds_read2_b32 v[202:203], v201 offset1:1
	v_or_b32_sdwa v48, v48, v195 dst_sel:DWORD dst_unused:UNUSED_PAD src0_sel:BYTE_0 src1_sel:DWORD
	v_sub_nc_u16 v195, v196, v199
	v_or_b32_sdwa v47, v195, v47 dst_sel:WORD_1 dst_unused:UNUSED_PAD src0_sel:BYTE_0 src1_sel:DWORD
	v_or_b32_sdwa v196, v48, v47 dst_sel:DWORD dst_unused:UNUSED_PAD src0_sel:WORD_0 src1_sel:DWORD
	v_add3_u32 v47, s18, v161, v122
	v_dot4c_i32_i8 v214, v196, v37
	ds_read_b32 v195, v47
	v_add_nc_u32_e32 v47, 0x3180, v197
	s_waitcnt lgkmcnt(1)
	v_ashrrev_i32_e32 v202, s14, v202
	ds_read2_b32 v[47:48], v47 offset1:1
	v_lshlrev_b32_e32 v202, 2, v202
	v_and_b32_e32 v202, 0x4040404, v202
	v_lshrrev_b32_e32 v205, 24, v202
	v_lshrrev_b16 v215, 8, v202
	v_lshrrev_b32_e32 v204, 16, v202
	s_waitcnt lgkmcnt(0)
	v_ashrrev_i32_e32 v198, s16, v47
	v_and_b32_e32 v199, 0x3030303, v198
	v_bfe_u32 v198, v198, 24, 2
	v_lshrrev_b16 v200, 8, v199
	v_lshrrev_b32_e32 v47, 16, v199
	v_sub_nc_u16 v198, v198, v205
	v_sub_nc_u16 v199, v199, v202
	;; [unrolled: 1-line block ×4, first 2 shown]
	v_lshlrev_b16 v198, 8, v198
	v_lshlrev_b16 v200, 8, v200
	v_or_b32_sdwa v47, v47, v198 dst_sel:WORD_1 dst_unused:UNUSED_PAD src0_sel:BYTE_0 src1_sel:DWORD
	v_or_b32_sdwa v199, v199, v200 dst_sel:DWORD dst_unused:UNUSED_PAD src0_sel:BYTE_0 src1_sel:DWORD
	v_ashrrev_i32_e32 v200, s14, v203
	v_or_b32_sdwa v202, v199, v47 dst_sel:DWORD dst_unused:UNUSED_PAD src0_sel:WORD_0 src1_sel:DWORD
	v_ashrrev_i32_e32 v47, s16, v48
	v_lshlrev_b32_e32 v200, 2, v200
	v_and_b32_e32 v48, 0x3030303, v47
	v_and_b32_e32 v200, 0x4040404, v200
	v_bfe_u32 v47, v47, 24, 2
	v_lshrrev_b16 v199, 8, v48
	v_lshrrev_b32_e32 v204, 24, v200
	v_lshrrev_b16 v205, 8, v200
	v_lshrrev_b32_e32 v198, 16, v48
	v_lshrrev_b32_e32 v203, 16, v200
	v_sub_nc_u16 v48, v48, v200
	v_sub_nc_u16 v47, v47, v204
	;; [unrolled: 1-line block ×4, first 2 shown]
	v_lshlrev_b16 v47, 8, v47
	v_lshlrev_b16 v199, 8, v199
	v_or_b32_sdwa v47, v198, v47 dst_sel:WORD_1 dst_unused:UNUSED_PAD src0_sel:BYTE_0 src1_sel:DWORD
	v_or_b32_sdwa v48, v48, v199 dst_sel:DWORD dst_unused:UNUSED_PAD src0_sel:BYTE_0 src1_sel:DWORD
	ds_read2_b32 v[198:199], v201 offset0:2 offset1:3
	v_or_b32_sdwa v203, v48, v47 dst_sel:DWORD dst_unused:UNUSED_PAD src0_sel:WORD_0 src1_sel:DWORD
	v_add_nc_u32_e32 v47, 0x3188, v197
	ds_read2_b32 v[47:48], v47 offset1:1
	s_waitcnt lgkmcnt(1)
	v_ashrrev_i32_e32 v198, s14, v198
	v_ashrrev_i32_e32 v199, s14, v199
	v_lshlrev_b32_e32 v198, 2, v198
	v_lshlrev_b32_e32 v199, 2, v199
	s_waitcnt lgkmcnt(0)
	v_ashrrev_i32_e32 v47, s16, v47
	v_and_b32_e32 v198, 0x4040404, v198
	v_and_b32_e32 v199, 0x4040404, v199
	;; [unrolled: 1-line block ×3, first 2 shown]
	v_lshrrev_b16 v217, 8, v198
	v_bfe_u32 v47, v47, 24, 2
	v_lshrrev_b32_e32 v215, 16, v198
	v_lshrrev_b32_e32 v216, 24, v198
	v_lshrrev_b16 v205, 8, v200
	v_lshrrev_b32_e32 v204, 16, v200
	v_sub_nc_u16 v198, v200, v198
	v_sub_nc_u16 v47, v47, v216
	;; [unrolled: 1-line block ×3, first 2 shown]
	v_lshrrev_b16 v216, 8, v199
	v_lshrrev_b32_e32 v205, 16, v199
	v_lshlrev_b16 v47, 8, v47
	v_lshlrev_b16 v200, 8, v200
	v_or_b32_sdwa v198, v198, v200 dst_sel:DWORD dst_unused:UNUSED_PAD src0_sel:BYTE_0 src1_sel:DWORD
	v_sub_nc_u16 v200, v204, v215
	v_lshrrev_b32_e32 v215, 24, v199
	v_or_b32_sdwa v47, v200, v47 dst_sel:WORD_1 dst_unused:UNUSED_PAD src0_sel:BYTE_0 src1_sel:DWORD
	v_or_b32_sdwa v204, v198, v47 dst_sel:DWORD dst_unused:UNUSED_PAD src0_sel:WORD_0 src1_sel:DWORD
	v_ashrrev_i32_e32 v47, s16, v48
	v_and_b32_e32 v48, 0x3030303, v47
	v_bfe_u32 v47, v47, 24, 2
	v_lshrrev_b16 v200, 8, v48
	v_lshrrev_b32_e32 v198, 16, v48
	v_sub_nc_u16 v48, v48, v199
	v_sub_nc_u16 v47, v47, v215
	v_sub_nc_u16 v199, v200, v216
	v_sub_nc_u16 v198, v198, v205
	v_lshlrev_b16 v47, 8, v47
	v_lshlrev_b16 v199, 8, v199
	v_or_b32_sdwa v47, v198, v47 dst_sel:WORD_1 dst_unused:UNUSED_PAD src0_sel:BYTE_0 src1_sel:DWORD
	v_or_b32_sdwa v48, v48, v199 dst_sel:DWORD dst_unused:UNUSED_PAD src0_sel:BYTE_0 src1_sel:DWORD
	ds_read2_b32 v[198:199], v201 offset0:4 offset1:5
	v_or_b32_sdwa v205, v48, v47 dst_sel:DWORD dst_unused:UNUSED_PAD src0_sel:WORD_0 src1_sel:DWORD
	v_add_nc_u32_e32 v47, 0x3190, v197
	ds_read2_b32 v[47:48], v47 offset1:1
	s_waitcnt lgkmcnt(1)
	v_ashrrev_i32_e32 v198, s14, v198
	v_ashrrev_i32_e32 v199, s14, v199
	v_lshlrev_b32_e32 v198, 2, v198
	v_lshlrev_b32_e32 v199, 2, v199
	s_waitcnt lgkmcnt(0)
	v_ashrrev_i32_e32 v47, s16, v47
	v_and_b32_e32 v198, 0x4040404, v198
	v_and_b32_e32 v199, 0x4040404, v199
	;; [unrolled: 1-line block ×3, first 2 shown]
	v_bfe_u32 v47, v47, 24, 2
	v_lshrrev_b16 v219, 8, v198
	v_lshrrev_b32_e32 v217, 16, v198
	v_lshrrev_b32_e32 v218, 24, v198
	v_lshrrev_b16 v216, 8, v200
	v_lshrrev_b32_e32 v215, 16, v200
	v_sub_nc_u16 v198, v200, v198
	v_sub_nc_u16 v47, v47, v218
	;; [unrolled: 1-line block ×3, first 2 shown]
	v_lshrrev_b16 v218, 8, v199
	v_lshrrev_b32_e32 v216, 16, v199
	v_lshlrev_b16 v47, 8, v47
	v_lshlrev_b16 v200, 8, v200
	v_or_b32_sdwa v198, v198, v200 dst_sel:DWORD dst_unused:UNUSED_PAD src0_sel:BYTE_0 src1_sel:DWORD
	v_sub_nc_u16 v200, v215, v217
	v_lshrrev_b32_e32 v217, 24, v199
	v_or_b32_sdwa v47, v200, v47 dst_sel:WORD_1 dst_unused:UNUSED_PAD src0_sel:BYTE_0 src1_sel:DWORD
	v_or_b32_sdwa v198, v198, v47 dst_sel:DWORD dst_unused:UNUSED_PAD src0_sel:WORD_0 src1_sel:DWORD
	v_ashrrev_i32_e32 v47, s16, v48
	v_and_b32_e32 v48, 0x3030303, v47
	v_bfe_u32 v47, v47, 24, 2
	v_lshrrev_b16 v215, 8, v48
	v_lshrrev_b32_e32 v200, 16, v48
	v_sub_nc_u16 v48, v48, v199
	v_sub_nc_u16 v47, v47, v217
	;; [unrolled: 1-line block ×3, first 2 shown]
	v_lshlrev_b16 v47, 8, v47
	v_lshlrev_b16 v199, 8, v199
	v_or_b32_sdwa v48, v48, v199 dst_sel:DWORD dst_unused:UNUSED_PAD src0_sel:BYTE_0 src1_sel:DWORD
	v_sub_nc_u16 v199, v200, v216
	ds_read2_b32 v[200:201], v201 offset0:6 offset1:7
	v_or_b32_sdwa v47, v199, v47 dst_sel:WORD_1 dst_unused:UNUSED_PAD src0_sel:BYTE_0 src1_sel:DWORD
	v_or_b32_sdwa v199, v48, v47 dst_sel:DWORD dst_unused:UNUSED_PAD src0_sel:WORD_0 src1_sel:DWORD
	v_add_nc_u32_e32 v47, 0x3198, v197
	ds_read2_b32 v[47:48], v47 offset1:1
	s_waitcnt lgkmcnt(1)
	v_ashrrev_i32_e32 v200, s14, v200
	v_ashrrev_i32_e32 v201, s14, v201
	s_add_i32 s14, s14, 1
	s_cmp_lt_u32 s15, 22
	v_lshlrev_b32_e32 v200, 2, v200
	v_lshlrev_b32_e32 v201, 2, v201
	v_and_b32_e32 v200, 0x4040404, v200
	v_and_b32_e32 v201, 0x4040404, v201
	s_waitcnt lgkmcnt(0)
	v_ashrrev_i32_e32 v47, s16, v47
	v_lshrrev_b16 v219, 8, v200
	v_lshrrev_b32_e32 v217, 16, v200
	v_lshrrev_b32_e32 v218, 24, v200
	v_and_b32_e32 v197, 0x3030303, v47
	v_bfe_u32 v47, v47, 24, 2
	v_lshrrev_b16 v216, 8, v197
	v_lshrrev_b32_e32 v215, 16, v197
	v_sub_nc_u16 v197, v197, v200
	v_sub_nc_u16 v47, v47, v218
	v_lshrrev_b16 v218, 8, v201
	v_sub_nc_u16 v200, v216, v219
	v_lshrrev_b32_e32 v216, 16, v201
	v_mov_b32_e32 v219, 0
	v_lshlrev_b16 v47, 8, v47
	v_lshlrev_b16 v200, 8, v200
	v_or_b32_sdwa v197, v197, v200 dst_sel:DWORD dst_unused:UNUSED_PAD src0_sel:BYTE_0 src1_sel:DWORD
	v_sub_nc_u16 v200, v215, v217
	v_lshrrev_b32_e32 v217, 24, v201
	v_or_b32_sdwa v47, v200, v47 dst_sel:WORD_1 dst_unused:UNUSED_PAD src0_sel:BYTE_0 src1_sel:DWORD
	v_or_b32_sdwa v200, v197, v47 dst_sel:DWORD dst_unused:UNUSED_PAD src0_sel:WORD_0 src1_sel:DWORD
	v_ashrrev_i32_e32 v47, s16, v48
	v_and_b32_e32 v48, 0x3030303, v47
	v_bfe_u32 v47, v47, 24, 2
	v_lshrrev_b32_e32 v197, 16, v48
	v_lshrrev_b16 v215, 8, v48
	v_sub_nc_u16 v48, v48, v201
	v_sub_nc_u16 v47, v47, v217
	v_add_nc_u32_e32 v217, s17, v131
	v_sub_nc_u16 v197, v197, v216
	v_sub_nc_u16 v201, v215, v218
	v_mov_b32_e32 v216, 0
	v_mov_b32_e32 v218, 0
	v_lshlrev_b16 v47, 8, v47
	s_mov_b32 s17, s15
	v_lshlrev_b16 v201, 8, v201
	v_dot4c_i32_i8 v216, v202, v38
	v_dot4c_i32_i8 v218, v198, v34
	v_or_b32_sdwa v47, v197, v47 dst_sel:WORD_1 dst_unused:UNUSED_PAD src0_sel:BYTE_0 src1_sel:DWORD
	v_or_b32_sdwa v48, v48, v201 dst_sel:DWORD dst_unused:UNUSED_PAD src0_sel:BYTE_0 src1_sel:DWORD
	v_dot4c_i32_i8 v216, v203, v39
	v_dot4c_i32_i8 v218, v199, v35
	v_or_b32_sdwa v201, v48, v47 dst_sel:DWORD dst_unused:UNUSED_PAD src0_sel:WORD_0 src1_sel:DWORD
	v_add3_u32 v47, s18, v163, v124
	v_dot4c_i32_i8 v216, v204, v40
	v_dot4c_i32_i8 v218, v200, v36
	ds_read_b32 v197, v47
	v_dot4c_i32_i8 v216, v205, v41
	v_dot4c_i32_i8 v218, v201, v37
	ds_read_b128 v[34:37], v168 offset:1024
	ds_read_b128 v[38:41], v168 offset:1040
	s_waitcnt lgkmcnt(1)
	v_dot4c_i32_i8 v231, v170, v34
	s_waitcnt lgkmcnt(0)
	v_dot4c_i32_i8 v237, v174, v38
	v_dot4c_i32_i8 v226, v181, v34
	;; [unrolled: 1-line block ×31, first 2 shown]
	ds_read2_b32 v[47:48], v169 offset0:64 offset1:96
	ds_read_b128 v[34:37], v168 offset:2048
	ds_read_b128 v[38:41], v168 offset:2064
	s_waitcnt lgkmcnt(1)
	v_dot4c_i32_i8 v234, v170, v34
	s_waitcnt lgkmcnt(0)
	v_dot4c_i32_i8 v233, v174, v38
	v_dot4c_i32_i8 v229, v181, v34
	v_dot4c_i32_i8 v230, v179, v38
	v_dot4c_i32_i8 v227, v188, v34
	v_dot4c_i32_i8 v228, v192, v38
	v_dot4c_i32_i8 v221, v202, v34
	v_dot4c_i32_i8 v222, v198, v38
	v_dot4c_i32_i8 v234, v171, v35
	v_dot4c_i32_i8 v233, v175, v39
	v_dot4c_i32_i8 v229, v182, v35
	v_dot4c_i32_i8 v230, v180, v39
	v_dot4c_i32_i8 v227, v189, v35
	v_dot4c_i32_i8 v228, v193, v39
	v_dot4c_i32_i8 v221, v203, v35
	v_dot4c_i32_i8 v222, v199, v39
	v_dot4c_i32_i8 v234, v172, v36
	v_dot4c_i32_i8 v233, v176, v40
	v_dot4c_i32_i8 v229, v185, v36
	v_dot4c_i32_i8 v230, v183, v40
	v_dot4c_i32_i8 v227, v190, v36
	v_dot4c_i32_i8 v228, v194, v40
	v_dot4c_i32_i8 v221, v204, v36
	v_dot4c_i32_i8 v222, v200, v40
	v_dot4c_i32_i8 v234, v173, v37
	v_dot4c_i32_i8 v233, v178, v41
	v_dot4c_i32_i8 v229, v187, v37
	v_dot4c_i32_i8 v230, v186, v41
	v_dot4c_i32_i8 v227, v191, v37
	v_dot4c_i32_i8 v228, v196, v41
	v_dot4c_i32_i8 v221, v205, v37
	v_dot4c_i32_i8 v222, v201, v41
	ds_read_b128 v[38:41], v168 offset:3072
	ds_read_b128 v[34:37], v168 offset:3088
	ds_read_u16 v215, v208 offset:33522
	s_waitcnt lgkmcnt(2)
	v_dot4c_i32_i8 v232, v170, v38
	s_waitcnt lgkmcnt(1)
	v_dot4c_i32_i8 v235, v174, v34
	s_waitcnt lgkmcnt(0)
	v_lshrrev_b16 v208, 8, v215
	v_bfe_i32 v215, v215, 0, 8
	v_dot4c_i32_i8 v232, v171, v39
	v_dot4c_i32_i8 v235, v175, v35
	v_bfe_i32 v208, v208, 0, 8
	v_mul_lo_u32 v231, v231, v215
	v_dot4c_i32_i8 v232, v172, v40
	v_dot4c_i32_i8 v235, v176, v36
	v_mul_lo_u32 v233, v233, v208
	v_mul_lo_u32 v209, v209, v208
	v_dot4c_i32_i8 v232, v173, v41
	v_dot4c_i32_i8 v235, v178, v37
	v_mul_lo_u32 v232, v232, v215
	v_mad_u64_u32 v[233:234], null, v234, v215, v[233:234]
	v_mad_u64_u32 v[234:235], null, v235, v208, v[232:233]
                                        ; kill: def $vgpr232 killed $sgpr0 killed $exec
	v_mad_u64_u32 v[235:236], null, v206, v215, v[209:210]
	v_mad_u64_u32 v[231:232], null, v237, v208, v[231:232]
	ds_read_u16 v210, v210 offset:34546
	v_mul_f32_e32 v206, v177, v46
	v_mul_f32_e32 v209, v177, v45
	;; [unrolled: 1-line block ×3, first 2 shown]
	v_cvt_f32_i32_e32 v235, v235
	v_mul_f32_e32 v232, v177, v48
	v_cvt_f32_i32_e32 v231, v231
	v_cvt_f32_i32_e32 v234, v234
	;; [unrolled: 1-line block ×3, first 2 shown]
	v_fma_f32 v19, v209, v235, v19
	v_mov_b32_e32 v235, 0
	v_fmac_f32_e32 v18, v206, v231
	v_mov_b32_e32 v206, 0
	v_mov_b32_e32 v231, 0
	v_fma_f32 v21, v236, v233, v21
	v_fma_f32 v20, v232, v234, v20
	v_mov_b32_e32 v232, 0
	v_dot4c_i32_i8 v206, v181, v38
	v_dot4c_i32_i8 v231, v179, v34
	v_mov_b32_e32 v233, 0
	s_waitcnt lgkmcnt(0)
	v_lshrrev_b16 v209, 8, v210
	v_bfe_i32 v210, v210, 0, 8
	v_dot4c_i32_i8 v206, v182, v39
	v_dot4c_i32_i8 v231, v180, v35
	v_mov_b32_e32 v234, 0
	v_bfe_i32 v209, v209, 0, 8
	v_mul_lo_u32 v226, v226, v210
	v_dot4c_i32_i8 v206, v185, v40
	v_dot4c_i32_i8 v231, v183, v36
	v_mov_b32_e32 v236, 0
	v_mul_lo_u32 v230, v230, v209
	v_mul_lo_u32 v211, v211, v209
	v_dot4c_i32_i8 v206, v187, v41
	v_dot4c_i32_i8 v231, v186, v37
	v_mad_u64_u32 v[225:226], null, v225, v209, v[226:227]
	v_mul_f32_e32 v226, v184, v48
	v_mul_lo_u32 v206, v206, v210
	v_mad_u64_u32 v[229:230], null, v229, v210, v[230:231]
	v_mov_b32_e32 v237, 0
	v_cvt_f32_i32_e32 v225, v225
	v_mad_u64_u32 v[230:231], null, v231, v209, v[206:207]
	v_mad_u64_u32 v[206:207], null, v207, v210, v[211:212]
	v_mul_f32_e32 v211, v184, v45
	v_mul_f32_e32 v207, v184, v46
	;; [unrolled: 1-line block ×3, first 2 shown]
	v_cvt_f32_i32_e32 v229, v229
	v_cvt_f32_i32_e32 v230, v230
	;; [unrolled: 1-line block ×3, first 2 shown]
	v_fmac_f32_e32 v30, v207, v225
	v_mov_b32_e32 v225, 0
	v_fma_f32 v32, v226, v230, v32
	v_mov_b32_e32 v226, 0
	v_fma_f32 v31, v211, v206, v31
	ds_read_u16 v206, v213 offset:35570
	v_dot4c_i32_i8 v225, v188, v38
	v_fma_f32 v33, v231, v229, v33
	v_dot4c_i32_i8 v226, v192, v34
	v_mov_b32_e32 v230, 0
	v_mov_b32_e32 v231, 0
	v_dot4c_i32_i8 v225, v189, v39
	v_dot4c_i32_i8 v226, v193, v35
	;; [unrolled: 1-line block ×6, first 2 shown]
	s_waitcnt lgkmcnt(0)
	v_lshrrev_b16 v207, 8, v206
	v_bfe_i32 v213, v206, 0, 8
	v_bfe_i32 v211, v207, 0, 8
	v_mul_lo_u32 v206, v224, v213
	v_mul_lo_u32 v224, v228, v211
	;; [unrolled: 1-line block ×4, first 2 shown]
                                        ; kill: def $vgpr225 killed $sgpr0 killed $exec
	v_mad_u64_u32 v[224:225], null, v227, v213, v[224:225]
	v_mad_u64_u32 v[225:226], null, v226, v211, v[214:215]
	;; [unrolled: 1-line block ×3, first 2 shown]
	v_mul_f32_e32 v212, v195, v45
                                        ; kill: def $vgpr207 killed $sgpr0 killed $exec
	v_mul_f32_e32 v214, v195, v48
	v_mad_u64_u32 v[206:207], null, v223, v211, v[206:207]
	v_mul_f32_e32 v207, v195, v46
	v_mul_f32_e32 v223, v195, v47
	v_cvt_f32_i32_e32 v226, v226
	v_cvt_f32_i32_e32 v225, v225
	;; [unrolled: 1-line block ×4, first 2 shown]
	v_fma_f32 v27, v212, v226, v27
	v_mov_b32_e32 v212, 0
	v_fma_f32 v28, v214, v225, v28
	v_mov_b32_e32 v225, 0
	v_fmac_f32_e32 v26, v207, v206
	v_fma_f32 v29, v223, v224, v29
	v_dot4c_i32_i8 v212, v202, v38
                                        ; kill: def $vgpr38 killed $sgpr0 killed $exec
	v_mov_b32_e32 v223, 0
	v_mov_b32_e32 v224, 0
	;; [unrolled: 1-line block ×3, first 2 shown]
	v_dot4c_i32_i8 v212, v203, v39
	v_mov_b32_e32 v39, 0
	v_dot4c_i32_i8 v212, v204, v40
	v_dot4c_i32_i8 v39, v198, v34
	ds_read_u16 v34, v217 offset:36594
	v_mov_b32_e32 v217, 0
	v_dot4c_i32_i8 v212, v205, v41
	v_dot4c_i32_i8 v39, v199, v35
	v_mul_f32_e32 v41, v197, v47
	v_mov_b32_e32 v47, 0
	v_dot4c_i32_i8 v39, v200, v36
	v_dot4c_i32_i8 v39, v201, v37
	s_waitcnt lgkmcnt(0)
	v_lshrrev_b16 v35, 8, v34
	v_bfe_i32 v207, v34, 0, 8
	v_bfe_i32 v206, v35, 0, 8
	v_mul_lo_u32 v36, v212, v207
	v_mul_lo_u32 v34, v220, v207
	v_mov_b32_e32 v212, 0
	v_mov_b32_e32 v220, 0
	v_mul_lo_u32 v37, v222, v206
	v_mul_lo_u32 v35, v218, v206
	v_mov_b32_e32 v218, 0
	v_mov_b32_e32 v222, 0
	v_mad_u64_u32 v[37:38], null, v221, v207, v[37:38]
	v_mov_b32_e32 v221, 0
	v_mad_u64_u32 v[38:39], null, v39, v206, v[36:37]
                                        ; kill: def $vgpr36 killed $sgpr0 killed $exec
	v_cvt_f32_i32_e32 v37, v37
	v_mad_u64_u32 v[35:36], null, v216, v207, v[35:36]
	v_mul_f32_e32 v36, v197, v45
	v_mov_b32_e32 v216, 0
	v_fma_f32 v25, v41, v37, v25
	v_cvt_f32_i32_e32 v38, v38
	v_mad_u64_u32 v[39:40], null, v219, v206, v[34:35]
	v_mul_f32_e32 v34, v197, v46
	v_mul_f32_e32 v40, v197, v48
	v_cvt_f32_i32_e32 v35, v35
	v_mov_b32_e32 v219, 0
	v_mov_b32_e32 v48, 0
	v_cvt_f32_i32_e32 v39, v39
	v_fma_f32 v24, v40, v38, v24
	v_fma_f32 v23, v36, v35, v23
	v_fmac_f32_e32 v22, v34, v39
	ds_read2_b32 v[45:46], v169 offset0:128 offset1:160
	ds_read_b128 v[38:41], v168 offset:4096
	ds_read_b128 v[34:37], v168 offset:4112
	s_waitcnt lgkmcnt(1)
	v_dot4c_i32_i8 v212, v170, v38
	v_dot4c_i32_i8 v218, v181, v38
	;; [unrolled: 1-line block ×4, first 2 shown]
	s_waitcnt lgkmcnt(0)
	v_dot4c_i32_i8 v225, v174, v34
	v_dot4c_i32_i8 v212, v171, v39
	;; [unrolled: 1-line block ×10, first 2 shown]
	v_mov_b32_e32 v40, 0
	v_dot4c_i32_i8 v219, v192, v34
	v_dot4c_i32_i8 v225, v175, v35
	;; [unrolled: 1-line block ×17, first 2 shown]
	v_mov_b32_e32 v41, 0
	v_dot4c_i32_i8 v40, v201, v37
	ds_read_b128 v[34:37], v168 offset:5120
	ds_read_b128 v[226:229], v168 offset:5136
	s_waitcnt lgkmcnt(1)
	v_dot4c_i32_i8 v230, v170, v34
	s_waitcnt lgkmcnt(0)
	v_dot4c_i32_i8 v231, v174, v226
	v_dot4c_i32_i8 v223, v181, v34
	;; [unrolled: 1-line block ×31, first 2 shown]
	ds_read2_b32 v[38:39], v169 offset0:192 offset1:224
	ds_read_b128 v[34:37], v168 offset:6144
	ds_read_b128 v[226:229], v168 offset:6160
	v_add_nc_u32_e32 v169, 4, v169
	v_mul_lo_u32 v41, v41, v207
	s_waitcnt lgkmcnt(1)
	v_dot4c_i32_i8 v232, v170, v34
	s_waitcnt lgkmcnt(0)
	v_dot4c_i32_i8 v233, v174, v226
	v_dot4c_i32_i8 v234, v181, v34
	;; [unrolled: 1-line block ×31, first 2 shown]
	ds_read_b128 v[226:229], v168 offset:7168
	ds_read_b128 v[34:37], v168 offset:7184
	v_add_nc_u32_e32 v168, 32, v168
	s_waitcnt lgkmcnt(1)
	v_dot4c_i32_i8 v238, v170, v226
	s_waitcnt lgkmcnt(0)
	v_dot4c_i32_i8 v239, v174, v34
                                        ; kill: def $vgpr174 killed $sgpr0 killed $exec
	v_mul_lo_u32 v170, v230, v215
	v_dot4c_i32_i8 v238, v171, v227
	v_dot4c_i32_i8 v239, v175, v35
	v_mul_lo_u32 v171, v225, v208
	v_dot4c_i32_i8 v238, v172, v228
	v_dot4c_i32_i8 v239, v176, v36
	;; [unrolled: 1-line block ×3, first 2 shown]
	v_mul_lo_u32 v173, v233, v208
	v_dot4c_i32_i8 v239, v178, v37
	v_mul_lo_u32 v172, v238, v215
	v_mad_u64_u32 v[173:174], null, v232, v215, v[173:174]
	v_mad_u64_u32 v[174:175], null, v239, v208, v[172:173]
                                        ; kill: def $vgpr172 killed $sgpr0 killed $exec
	v_cvt_f32_i32_e32 v173, v173
	v_mad_u64_u32 v[171:172], null, v212, v215, v[171:172]
	v_mul_f32_e32 v172, v177, v45
	v_cvt_f32_i32_e32 v174, v174
	v_mad_u64_u32 v[175:176], null, v231, v208, v[170:171]
	v_cvt_f32_i32_e32 v171, v171
	v_mul_f32_e32 v170, v177, v46
	v_mul_f32_e32 v176, v177, v39
	;; [unrolled: 1-line block ×3, first 2 shown]
	v_fma_f32 v15, v172, v171, v15
	v_mov_b32_e32 v172, 0
	v_cvt_f32_i32_e32 v175, v175
	v_fma_f32 v17, v177, v173, v17
	v_mul_lo_u32 v173, v235, v209
	v_fma_f32 v16, v176, v174, v16
	v_dot4c_i32_i8 v172, v181, v226
	v_fmac_f32_e32 v14, v170, v175
	v_mov_b32_e32 v175, 0
                                        ; kill: def $vgpr174 killed $sgpr0 killed $exec
	v_mul_lo_u32 v171, v220, v209
	v_mul_lo_u32 v170, v223, v210
	v_dot4c_i32_i8 v172, v182, v227
	v_mad_u64_u32 v[173:174], null, v234, v210, v[173:174]
	v_dot4c_i32_i8 v175, v179, v34
	v_mul_f32_e32 v177, v184, v38
	v_dot4c_i32_i8 v172, v185, v228
	v_dot4c_i32_i8 v175, v180, v35
	;; [unrolled: 1-line block ×4, first 2 shown]
	v_mul_lo_u32 v172, v172, v210
	v_dot4c_i32_i8 v175, v186, v37
	v_mad_u64_u32 v[174:175], null, v175, v209, v[172:173]
                                        ; kill: def $vgpr172 killed $sgpr0 killed $exec
	v_cvt_f32_i32_e32 v173, v173
	v_mad_u64_u32 v[171:172], null, v218, v210, v[171:172]
	v_mul_f32_e32 v172, v184, v45
	v_fma_f32 v13, v177, v173, v13
	v_mul_lo_u32 v173, v237, v211
	v_cvt_f32_i32_e32 v174, v174
	v_mul_f32_e32 v177, v195, v38
	v_mad_u64_u32 v[175:176], null, v224, v209, v[170:171]
	v_cvt_f32_i32_e32 v171, v171
	v_mul_f32_e32 v170, v184, v46
	v_mul_f32_e32 v176, v184, v39
	v_fma_f32 v11, v172, v171, v11
	v_mov_b32_e32 v172, 0
	v_cvt_f32_i32_e32 v175, v175
	v_fma_f32 v12, v176, v174, v12
                                        ; kill: def $vgpr174 killed $sgpr0 killed $exec
	v_mul_lo_u32 v171, v219, v211
	v_mad_u64_u32 v[173:174], null, v236, v213, v[173:174]
	v_dot4c_i32_i8 v172, v188, v226
	v_fmac_f32_e32 v10, v170, v175
	v_mov_b32_e32 v175, 0
	v_mul_lo_u32 v170, v222, v213
	v_dot4c_i32_i8 v172, v189, v227
	v_dot4c_i32_i8 v175, v192, v34
	v_dot4c_i32_i8 v172, v190, v228
	v_dot4c_i32_i8 v175, v193, v35
	v_dot4c_i32_i8 v172, v191, v229
	v_dot4c_i32_i8 v175, v194, v36
	v_mul_lo_u32 v172, v172, v213
	v_dot4c_i32_i8 v175, v196, v37
	v_mad_u64_u32 v[174:175], null, v175, v211, v[172:173]
                                        ; kill: def $vgpr172 killed $sgpr0 killed $exec
	v_cvt_f32_i32_e32 v173, v173
	v_mad_u64_u32 v[171:172], null, v217, v213, v[171:172]
	v_mul_f32_e32 v172, v195, v45
	v_fma_f32 v9, v177, v173, v9
	v_cvt_f32_i32_e32 v174, v174
	v_mad_u64_u32 v[175:176], null, v221, v211, v[170:171]
	v_mul_f32_e32 v170, v195, v46
	v_cvt_f32_i32_e32 v171, v171
	v_mul_f32_e32 v176, v195, v39
	v_mul_f32_e32 v39, v197, v39
	v_cvt_f32_i32_e32 v175, v175
	v_fma_f32 v7, v172, v171, v7
	v_mov_b32_e32 v171, 0
	v_fma_f32 v8, v176, v174, v8
	v_fmac_f32_e32 v6, v170, v175
	v_mov_b32_e32 v170, 0
	v_dot4c_i32_i8 v171, v198, v34
	v_mul_lo_u32 v34, v216, v206
	v_dot4c_i32_i8 v170, v202, v226
	v_dot4c_i32_i8 v171, v199, v35
                                        ; kill: def $vgpr35 killed $sgpr0 killed $exec
	v_dot4c_i32_i8 v170, v203, v227
	v_dot4c_i32_i8 v171, v200, v36
	v_mad_u64_u32 v[34:35], null, v214, v207, v[34:35]
	v_dot4c_i32_i8 v170, v204, v228
	v_dot4c_i32_i8 v171, v201, v37
	v_mul_lo_u32 v37, v40, v206
	v_mad_u64_u32 v[40:41], null, v48, v206, v[41:42]
	v_dot4c_i32_i8 v170, v205, v229
	v_mul_f32_e32 v41, v197, v45
	v_cvt_f32_i32_e32 v34, v34
	v_mul_lo_u32 v36, v170, v207
	v_cvt_f32_i32_e32 v40, v40
	v_mad_u64_u32 v[35:36], null, v171, v206, v[36:37]
	v_mad_u64_u32 v[36:37], null, v47, v207, v[37:38]
	v_mul_f32_e32 v37, v197, v46
	v_mul_f32_e32 v38, v197, v38
	v_cvt_f32_i32_e32 v35, v35
	v_fmac_f32_e32 v2, v37, v40
	v_cvt_f32_i32_e32 v36, v36
	v_fma_f32 v5, v38, v34, v5
	v_fma_f32 v4, v39, v35, v4
	;; [unrolled: 1-line block ×3, first 2 shown]
	s_cbranch_scc1 .LBB169_12
; %bb.13:                               ;   in Loop: Header=BB169_6 Depth=1
	v_add_nc_u32_e32 v168, s0, v127
	v_add_nc_u32_e32 v47, 12, v167
	s_barrier
	buffer_gl0_inv
	v_add_nc_u32_e32 v34, v168, v109
	v_add_nc_u32_e32 v36, v168, v110
	;; [unrolled: 1-line block ×5, first 2 shown]
	v_mad_u64_u32 v[47:48], null, v47, 36, s[2:3]
	v_mad_i64_i32 v[34:35], null, v34, 36, v[43:44]
	v_add_nc_u32_e32 v167, v168, v114
	v_mad_i64_i32 v[36:37], null, v36, 36, v[43:44]
	v_add_nc_u32_e32 v169, v168, v115
	;; [unrolled: 2-line block ×3, first 2 shown]
	v_mad_i64_i32 v[40:41], null, v40, 36, v[43:44]
	v_mad_i64_i32 v[45:46], null, v45, 36, v[43:44]
	;; [unrolled: 1-line block ×5, first 2 shown]
	s_clause 0x8
	global_load_dword v47, v[47:48], off
	global_load_dword v34, v[34:35], off offset:4
	global_load_dword v35, v[36:37], off offset:4
	;; [unrolled: 1-line block ×8, first 2 shown]
	v_mov_b32_e32 v167, v137
	v_mov_b32_e32 v168, v136
	s_mov_b32 s0, 24
	s_mov_b32 s16, 22
	;; [unrolled: 1-line block ×3, first 2 shown]
	s_waitcnt vmcnt(8)
	v_cvt_f32_f16_e32 v45, v47
	s_waitcnt vmcnt(7)
	ds_write_b32 v150, v34
	s_waitcnt vmcnt(6)
	ds_write_b32 v151, v35
	s_waitcnt vmcnt(5)
	ds_write_b32 v152, v36
	s_waitcnt vmcnt(4)
	ds_write_b32 v153, v37
	s_waitcnt vmcnt(3)
	ds_write_b32 v154, v38
	s_waitcnt vmcnt(2)
	ds_write_b32 v155, v39
	s_waitcnt vmcnt(1)
	ds_write_b32 v156, v40
	s_waitcnt vmcnt(0)
	ds_write_b32 v157, v41
	ds_write_b32 v108, v45
	s_waitcnt lgkmcnt(0)
	s_barrier
	buffer_gl0_inv
.LBB169_14:                             ;   Parent Loop BB169_6 Depth=1
                                        ; =>  This Inner Loop Header: Depth=2
	s_add_i32 s14, s16, 2
	ds_read2_b32 v[45:46], v168 offset1:32
	ds_read_b128 v[38:41], v167
	ds_read_b128 v[34:37], v167 offset:16
	s_lshr_b32 s17, s14, 4
	s_and_b32 s18, s14, 0x3ffffff8
	s_sub_i32 s15, s16, 22
	v_lshl_add_u32 v196, s18, 2, v117
	s_lshl_b32 s18, s17, 5
	s_lshl_b32 s17, s17, 2
	s_addk_i32 s18, 0x4200
	s_add_i32 s17, s17, 0x9380
	v_add3_u32 v175, s18, v164, v118
	ds_read2_b32 v[47:48], v196 offset1:1
	v_add3_u32 v183, s18, v158, v119
	v_add3_u32 v193, s18, v160, v121
	v_mov_b32_e32 v205, 0
	ds_read2_b32 v[169:170], v175 offset1:1
	v_mov_b32_e32 v208, 0
	v_mov_b32_e32 v206, 0
	;; [unrolled: 1-line block ×15, first 2 shown]
	s_waitcnt lgkmcnt(1)
	v_ashrrev_i32_e32 v47, s15, v47
	v_mov_b32_e32 v229, 0
	v_mov_b32_e32 v226, 0
	v_mov_b32_e32 v227, 0
	s_waitcnt lgkmcnt(0)
	v_ashrrev_i32_e32 v169, s1, v169
	v_and_b32_e32 v171, 0x3030303, v47
	v_bfe_u32 v47, v47, 24, 2
	v_ashrrev_i32_e32 v170, s1, v170
	v_mov_b32_e32 v220, 0
	v_lshlrev_b32_e32 v169, 2, v169
	v_lshrrev_b16 v173, 8, v171
	v_lshrrev_b32_e32 v172, 16, v171
	v_lshlrev_b32_e32 v170, 2, v170
	v_mov_b32_e32 v221, 0
	v_and_b32_e32 v169, 0x4040404, v169
	s_and_b32 s19, s0, -16
	v_mov_b32_e32 v231, 0
	v_and_b32_e32 v170, 0x4040404, v170
	s_add_i32 s16, s16, s19
	v_lshrrev_b16 v177, 8, v169
	v_lshrrev_b32_e32 v174, 16, v169
	v_lshrrev_b32_e32 v176, 24, v169
	v_sub_nc_u16 v169, v171, v169
	v_add_nc_u32_e32 v207, s16, v128
	v_sub_nc_u16 v171, v173, v177
	v_lshrrev_b32_e32 v173, 16, v170
	v_sub_nc_u16 v47, v47, v176
	v_lshrrev_b16 v176, 8, v170
	v_mov_b32_e32 v234, 0
	v_lshlrev_b16 v171, 8, v171
	v_add_nc_u32_e32 v209, s16, v129
	v_lshlrev_b16 v47, 8, v47
	v_add_nc_u32_e32 v212, s16, v130
	v_mov_b32_e32 v237, 0
	v_or_b32_sdwa v169, v169, v171 dst_sel:DWORD dst_unused:UNUSED_PAD src0_sel:BYTE_0 src1_sel:DWORD
	v_sub_nc_u16 v171, v172, v174
	v_lshrrev_b32_e32 v174, 24, v170
	v_mov_b32_e32 v238, 0
	v_or_b32_sdwa v47, v171, v47 dst_sel:WORD_1 dst_unused:UNUSED_PAD src0_sel:BYTE_0 src1_sel:DWORD
	v_or_b32_sdwa v169, v169, v47 dst_sel:DWORD dst_unused:UNUSED_PAD src0_sel:WORD_0 src1_sel:DWORD
	v_ashrrev_i32_e32 v47, s15, v48
	v_dot4c_i32_i8 v205, v169, v38
	v_and_b32_e32 v48, 0x3030303, v47
	v_bfe_u32 v47, v47, 24, 2
	v_lshrrev_b16 v172, 8, v48
	v_lshrrev_b32_e32 v171, 16, v48
	v_sub_nc_u16 v48, v48, v170
	v_sub_nc_u16 v47, v47, v174
	v_sub_nc_u16 v170, v172, v176
	v_lshlrev_b16 v47, 8, v47
	v_lshlrev_b16 v170, 8, v170
	v_or_b32_sdwa v48, v48, v170 dst_sel:DWORD dst_unused:UNUSED_PAD src0_sel:BYTE_0 src1_sel:DWORD
	v_sub_nc_u16 v170, v171, v173
	ds_read2_b32 v[171:172], v175 offset0:2 offset1:3
	v_or_b32_sdwa v47, v170, v47 dst_sel:WORD_1 dst_unused:UNUSED_PAD src0_sel:BYTE_0 src1_sel:DWORD
	v_or_b32_sdwa v170, v48, v47 dst_sel:DWORD dst_unused:UNUSED_PAD src0_sel:WORD_0 src1_sel:DWORD
	ds_read2_b32 v[47:48], v196 offset0:2 offset1:3
	v_dot4c_i32_i8 v205, v170, v39
	s_waitcnt lgkmcnt(1)
	v_ashrrev_i32_e32 v171, s1, v171
	v_ashrrev_i32_e32 v172, s1, v172
	v_lshlrev_b32_e32 v171, 2, v171
	v_lshlrev_b32_e32 v172, 2, v172
	s_waitcnt lgkmcnt(0)
	v_ashrrev_i32_e32 v47, s15, v47
	v_and_b32_e32 v171, 0x4040404, v171
	v_and_b32_e32 v172, 0x4040404, v172
	v_and_b32_e32 v173, 0x3030303, v47
	v_bfe_u32 v47, v47, 24, 2
	v_lshrrev_b16 v179, 8, v171
	v_lshrrev_b32_e32 v177, 16, v171
	v_lshrrev_b32_e32 v178, 24, v171
	v_lshrrev_b16 v176, 8, v173
	v_lshrrev_b32_e32 v174, 16, v173
	v_sub_nc_u16 v171, v173, v171
	v_sub_nc_u16 v47, v47, v178
	v_sub_nc_u16 v173, v176, v179
	v_lshrrev_b16 v178, 8, v172
	v_lshrrev_b32_e32 v176, 16, v172
	v_lshlrev_b16 v47, 8, v47
	v_lshlrev_b16 v173, 8, v173
	v_or_b32_sdwa v171, v171, v173 dst_sel:DWORD dst_unused:UNUSED_PAD src0_sel:BYTE_0 src1_sel:DWORD
	v_sub_nc_u16 v173, v174, v177
	v_lshrrev_b32_e32 v177, 24, v172
	v_or_b32_sdwa v47, v173, v47 dst_sel:WORD_1 dst_unused:UNUSED_PAD src0_sel:BYTE_0 src1_sel:DWORD
	v_or_b32_sdwa v171, v171, v47 dst_sel:DWORD dst_unused:UNUSED_PAD src0_sel:WORD_0 src1_sel:DWORD
	v_ashrrev_i32_e32 v47, s15, v48
	v_dot4c_i32_i8 v205, v171, v40
	v_and_b32_e32 v48, 0x3030303, v47
	v_bfe_u32 v47, v47, 24, 2
	v_lshrrev_b16 v174, 8, v48
	v_lshrrev_b32_e32 v173, 16, v48
	v_sub_nc_u16 v48, v48, v172
	v_sub_nc_u16 v47, v47, v177
	v_sub_nc_u16 v172, v174, v178
	v_lshlrev_b16 v47, 8, v47
	v_lshlrev_b16 v172, 8, v172
	v_or_b32_sdwa v48, v48, v172 dst_sel:DWORD dst_unused:UNUSED_PAD src0_sel:BYTE_0 src1_sel:DWORD
	v_sub_nc_u16 v172, v173, v176
	ds_read2_b32 v[173:174], v175 offset0:4 offset1:5
	v_or_b32_sdwa v47, v172, v47 dst_sel:WORD_1 dst_unused:UNUSED_PAD src0_sel:BYTE_0 src1_sel:DWORD
	v_or_b32_sdwa v172, v48, v47 dst_sel:DWORD dst_unused:UNUSED_PAD src0_sel:WORD_0 src1_sel:DWORD
	ds_read2_b32 v[47:48], v196 offset0:4 offset1:5
	v_dot4c_i32_i8 v205, v172, v41
	s_waitcnt lgkmcnt(1)
	v_ashrrev_i32_e32 v173, s1, v173
	v_ashrrev_i32_e32 v174, s1, v174
	v_lshlrev_b32_e32 v173, 2, v173
	v_lshlrev_b32_e32 v174, 2, v174
	s_waitcnt lgkmcnt(0)
	v_ashrrev_i32_e32 v47, s15, v47
	v_and_b32_e32 v173, 0x4040404, v173
	v_and_b32_e32 v174, 0x4040404, v174
	v_and_b32_e32 v176, 0x3030303, v47
	v_bfe_u32 v47, v47, 24, 2
	v_lshrrev_b16 v181, 8, v173
	v_lshrrev_b32_e32 v179, 16, v173
	v_lshrrev_b32_e32 v180, 24, v173
	v_lshrrev_b16 v178, 8, v176
	v_lshrrev_b32_e32 v177, 16, v176
	v_sub_nc_u16 v173, v176, v173
	v_sub_nc_u16 v47, v47, v180
	v_sub_nc_u16 v176, v178, v181
	v_lshrrev_b16 v180, 8, v174
	v_lshrrev_b32_e32 v178, 16, v174
	v_lshlrev_b16 v47, 8, v47
	v_lshlrev_b16 v176, 8, v176
	v_or_b32_sdwa v173, v173, v176 dst_sel:DWORD dst_unused:UNUSED_PAD src0_sel:BYTE_0 src1_sel:DWORD
	v_sub_nc_u16 v176, v177, v179
	v_lshrrev_b32_e32 v179, 24, v174
	;; [unrolled: 46-line block ×3, first 2 shown]
	v_or_b32_sdwa v47, v177, v47 dst_sel:WORD_1 dst_unused:UNUSED_PAD src0_sel:BYTE_0 src1_sel:DWORD
	v_or_b32_sdwa v175, v175, v47 dst_sel:DWORD dst_unused:UNUSED_PAD src0_sel:WORD_0 src1_sel:DWORD
	v_ashrrev_i32_e32 v47, s15, v48
	v_dot4c_i32_i8 v208, v175, v36
	v_and_b32_e32 v48, 0x3030303, v47
	v_bfe_u32 v47, v47, 24, 2
	v_lshrrev_b16 v178, 8, v48
	v_lshrrev_b32_e32 v177, 16, v48
	v_sub_nc_u16 v48, v48, v176
	v_sub_nc_u16 v47, v47, v180
	;; [unrolled: 1-line block ×3, first 2 shown]
	v_lshlrev_b16 v47, 8, v47
	v_lshlrev_b16 v176, 8, v176
	v_or_b32_sdwa v48, v48, v176 dst_sel:DWORD dst_unused:UNUSED_PAD src0_sel:BYTE_0 src1_sel:DWORD
	v_sub_nc_u16 v176, v177, v179
	ds_read2_b32 v[178:179], v183 offset1:1
	v_or_b32_sdwa v47, v176, v47 dst_sel:WORD_1 dst_unused:UNUSED_PAD src0_sel:BYTE_0 src1_sel:DWORD
	v_or_b32_sdwa v177, v48, v47 dst_sel:DWORD dst_unused:UNUSED_PAD src0_sel:WORD_0 src1_sel:DWORD
	v_add3_u32 v47, s17, v165, v166
	v_dot4c_i32_i8 v208, v177, v37
	ds_read_b32 v176, v47
	v_add_nc_u32_e32 v47, 0x1080, v196
	s_waitcnt lgkmcnt(1)
	v_ashrrev_i32_e32 v178, s1, v178
	ds_read2_b32 v[47:48], v47 offset1:1
	v_ashrrev_i32_e32 v179, s1, v179
	v_lshlrev_b32_e32 v178, 2, v178
	v_lshlrev_b32_e32 v179, 2, v179
	v_and_b32_e32 v178, 0x4040404, v178
	v_and_b32_e32 v179, 0x4040404, v179
	v_lshrrev_b16 v186, 8, v178
	v_lshrrev_b32_e32 v184, 16, v178
	v_lshrrev_b32_e32 v185, 24, v178
	s_waitcnt lgkmcnt(0)
	v_ashrrev_i32_e32 v47, s15, v47
	v_and_b32_e32 v180, 0x3030303, v47
	v_bfe_u32 v47, v47, 24, 2
	v_lshrrev_b16 v182, 8, v180
	v_lshrrev_b32_e32 v181, 16, v180
	v_sub_nc_u16 v178, v180, v178
	v_sub_nc_u16 v47, v47, v185
	v_lshrrev_b16 v185, 8, v179
	v_sub_nc_u16 v180, v182, v186
	v_lshrrev_b32_e32 v182, 16, v179
	v_lshlrev_b16 v47, 8, v47
	v_lshlrev_b16 v180, 8, v180
	v_or_b32_sdwa v178, v178, v180 dst_sel:DWORD dst_unused:UNUSED_PAD src0_sel:BYTE_0 src1_sel:DWORD
	v_sub_nc_u16 v180, v181, v184
	v_lshrrev_b32_e32 v184, 24, v179
	v_or_b32_sdwa v47, v180, v47 dst_sel:WORD_1 dst_unused:UNUSED_PAD src0_sel:BYTE_0 src1_sel:DWORD
	v_or_b32_sdwa v180, v178, v47 dst_sel:DWORD dst_unused:UNUSED_PAD src0_sel:WORD_0 src1_sel:DWORD
	v_ashrrev_i32_e32 v47, s15, v48
	v_dot4c_i32_i8 v206, v180, v38
	v_and_b32_e32 v48, 0x3030303, v47
	v_bfe_u32 v47, v47, 24, 2
	v_lshrrev_b16 v181, 8, v48
	v_lshrrev_b32_e32 v178, 16, v48
	v_sub_nc_u16 v48, v48, v179
	v_sub_nc_u16 v47, v47, v184
	;; [unrolled: 1-line block ×4, first 2 shown]
	v_lshlrev_b16 v47, 8, v47
	v_lshlrev_b16 v179, 8, v179
	v_or_b32_sdwa v47, v178, v47 dst_sel:WORD_1 dst_unused:UNUSED_PAD src0_sel:BYTE_0 src1_sel:DWORD
	v_or_b32_sdwa v48, v48, v179 dst_sel:DWORD dst_unused:UNUSED_PAD src0_sel:BYTE_0 src1_sel:DWORD
	ds_read2_b32 v[178:179], v183 offset0:2 offset1:3
	v_or_b32_sdwa v181, v48, v47 dst_sel:DWORD dst_unused:UNUSED_PAD src0_sel:WORD_0 src1_sel:DWORD
	v_add_nc_u32_e32 v47, 0x1088, v196
	v_dot4c_i32_i8 v206, v181, v39
	ds_read2_b32 v[47:48], v47 offset1:1
	s_waitcnt lgkmcnt(1)
	v_ashrrev_i32_e32 v178, s1, v178
	v_ashrrev_i32_e32 v179, s1, v179
	v_lshlrev_b32_e32 v178, 2, v178
	v_lshlrev_b32_e32 v179, 2, v179
	s_waitcnt lgkmcnt(0)
	v_ashrrev_i32_e32 v47, s15, v47
	v_and_b32_e32 v178, 0x4040404, v178
	v_and_b32_e32 v179, 0x4040404, v179
	;; [unrolled: 1-line block ×3, first 2 shown]
	v_bfe_u32 v47, v47, 24, 2
	v_lshrrev_b16 v188, 8, v178
	v_lshrrev_b32_e32 v186, 16, v178
	v_lshrrev_b32_e32 v187, 24, v178
	v_lshrrev_b16 v185, 8, v182
	v_lshrrev_b32_e32 v184, 16, v182
	v_sub_nc_u16 v178, v182, v178
	v_sub_nc_u16 v47, v47, v187
	;; [unrolled: 1-line block ×3, first 2 shown]
	v_lshrrev_b16 v187, 8, v179
	v_lshrrev_b32_e32 v185, 16, v179
	v_lshlrev_b16 v47, 8, v47
	v_lshlrev_b16 v182, 8, v182
	v_or_b32_sdwa v178, v178, v182 dst_sel:DWORD dst_unused:UNUSED_PAD src0_sel:BYTE_0 src1_sel:DWORD
	v_sub_nc_u16 v182, v184, v186
	v_lshrrev_b32_e32 v186, 24, v179
	v_or_b32_sdwa v47, v182, v47 dst_sel:WORD_1 dst_unused:UNUSED_PAD src0_sel:BYTE_0 src1_sel:DWORD
	v_or_b32_sdwa v184, v178, v47 dst_sel:DWORD dst_unused:UNUSED_PAD src0_sel:WORD_0 src1_sel:DWORD
	v_ashrrev_i32_e32 v47, s15, v48
	v_dot4c_i32_i8 v206, v184, v40
	v_and_b32_e32 v48, 0x3030303, v47
	v_bfe_u32 v47, v47, 24, 2
	v_lshrrev_b16 v182, 8, v48
	v_lshrrev_b32_e32 v178, 16, v48
	v_sub_nc_u16 v48, v48, v179
	v_sub_nc_u16 v47, v47, v186
	;; [unrolled: 1-line block ×4, first 2 shown]
	v_lshlrev_b16 v47, 8, v47
	v_lshlrev_b16 v179, 8, v179
	v_or_b32_sdwa v47, v178, v47 dst_sel:WORD_1 dst_unused:UNUSED_PAD src0_sel:BYTE_0 src1_sel:DWORD
	v_or_b32_sdwa v48, v48, v179 dst_sel:DWORD dst_unused:UNUSED_PAD src0_sel:BYTE_0 src1_sel:DWORD
	ds_read2_b32 v[178:179], v183 offset0:4 offset1:5
	v_or_b32_sdwa v186, v48, v47 dst_sel:DWORD dst_unused:UNUSED_PAD src0_sel:WORD_0 src1_sel:DWORD
	v_add_nc_u32_e32 v47, 0x1090, v196
	v_dot4c_i32_i8 v206, v186, v41
	ds_read2_b32 v[47:48], v47 offset1:1
	s_waitcnt lgkmcnt(1)
	v_ashrrev_i32_e32 v178, s1, v178
	v_ashrrev_i32_e32 v179, s1, v179
	v_lshlrev_b32_e32 v178, 2, v178
	v_lshlrev_b32_e32 v179, 2, v179
	s_waitcnt lgkmcnt(0)
	v_ashrrev_i32_e32 v47, s15, v47
	v_and_b32_e32 v178, 0x4040404, v178
	v_and_b32_e32 v179, 0x4040404, v179
	;; [unrolled: 1-line block ×3, first 2 shown]
	v_bfe_u32 v47, v47, 24, 2
	v_lshrrev_b16 v190, 8, v178
	v_lshrrev_b32_e32 v188, 16, v178
	v_lshrrev_b32_e32 v189, 24, v178
	v_lshrrev_b16 v187, 8, v182
	v_lshrrev_b32_e32 v185, 16, v182
	v_sub_nc_u16 v178, v182, v178
	v_sub_nc_u16 v47, v47, v189
	;; [unrolled: 1-line block ×3, first 2 shown]
	v_lshrrev_b16 v189, 8, v179
	v_lshrrev_b32_e32 v187, 16, v179
	v_lshlrev_b16 v47, 8, v47
	v_lshlrev_b16 v182, 8, v182
	v_or_b32_sdwa v178, v178, v182 dst_sel:DWORD dst_unused:UNUSED_PAD src0_sel:BYTE_0 src1_sel:DWORD
	v_sub_nc_u16 v182, v185, v188
	v_lshrrev_b32_e32 v188, 24, v179
	v_or_b32_sdwa v47, v182, v47 dst_sel:WORD_1 dst_unused:UNUSED_PAD src0_sel:BYTE_0 src1_sel:DWORD
	v_or_b32_sdwa v178, v178, v47 dst_sel:DWORD dst_unused:UNUSED_PAD src0_sel:WORD_0 src1_sel:DWORD
	v_ashrrev_i32_e32 v47, s15, v48
	v_dot4c_i32_i8 v210, v178, v34
	v_and_b32_e32 v48, 0x3030303, v47
	v_bfe_u32 v47, v47, 24, 2
	v_lshrrev_b16 v185, 8, v48
	v_lshrrev_b32_e32 v182, 16, v48
	v_sub_nc_u16 v48, v48, v179
	v_sub_nc_u16 v47, v47, v188
	;; [unrolled: 1-line block ×3, first 2 shown]
	v_lshlrev_b16 v47, 8, v47
	v_lshlrev_b16 v179, 8, v179
	v_or_b32_sdwa v48, v48, v179 dst_sel:DWORD dst_unused:UNUSED_PAD src0_sel:BYTE_0 src1_sel:DWORD
	v_sub_nc_u16 v179, v182, v187
	ds_read2_b32 v[182:183], v183 offset0:6 offset1:7
	v_or_b32_sdwa v47, v179, v47 dst_sel:WORD_1 dst_unused:UNUSED_PAD src0_sel:BYTE_0 src1_sel:DWORD
	v_or_b32_sdwa v179, v48, v47 dst_sel:DWORD dst_unused:UNUSED_PAD src0_sel:WORD_0 src1_sel:DWORD
	v_add_nc_u32_e32 v47, 0x1098, v196
	v_dot4c_i32_i8 v210, v179, v35
	ds_read2_b32 v[47:48], v47 offset1:1
	s_waitcnt lgkmcnt(1)
	v_ashrrev_i32_e32 v182, s1, v182
	v_ashrrev_i32_e32 v183, s1, v183
	v_lshlrev_b32_e32 v182, 2, v182
	v_lshlrev_b32_e32 v183, 2, v183
	v_and_b32_e32 v182, 0x4040404, v182
	v_and_b32_e32 v183, 0x4040404, v183
	s_waitcnt lgkmcnt(0)
	v_ashrrev_i32_e32 v47, s15, v47
	v_lshrrev_b16 v191, 8, v182
	v_lshrrev_b32_e32 v189, 16, v182
	v_lshrrev_b32_e32 v190, 24, v182
	v_and_b32_e32 v185, 0x3030303, v47
	v_bfe_u32 v47, v47, 24, 2
	v_lshrrev_b16 v188, 8, v185
	v_lshrrev_b32_e32 v187, 16, v185
	v_sub_nc_u16 v182, v185, v182
	v_sub_nc_u16 v47, v47, v190
	v_lshrrev_b16 v190, 8, v183
	v_sub_nc_u16 v185, v188, v191
	v_lshrrev_b32_e32 v188, 16, v183
	v_lshlrev_b16 v47, 8, v47
	v_lshlrev_b16 v185, 8, v185
	v_or_b32_sdwa v182, v182, v185 dst_sel:DWORD dst_unused:UNUSED_PAD src0_sel:BYTE_0 src1_sel:DWORD
	v_sub_nc_u16 v185, v187, v189
	v_lshrrev_b32_e32 v189, 24, v183
	v_or_b32_sdwa v47, v185, v47 dst_sel:WORD_1 dst_unused:UNUSED_PAD src0_sel:BYTE_0 src1_sel:DWORD
	v_or_b32_sdwa v182, v182, v47 dst_sel:DWORD dst_unused:UNUSED_PAD src0_sel:WORD_0 src1_sel:DWORD
	v_ashrrev_i32_e32 v47, s15, v48
	v_dot4c_i32_i8 v210, v182, v36
	v_and_b32_e32 v48, 0x3030303, v47
	v_bfe_u32 v47, v47, 24, 2
	v_lshrrev_b16 v187, 8, v48
	v_lshrrev_b32_e32 v185, 16, v48
	v_sub_nc_u16 v48, v48, v183
	v_sub_nc_u16 v47, v47, v189
	;; [unrolled: 1-line block ×3, first 2 shown]
	v_lshlrev_b16 v47, 8, v47
	v_lshlrev_b16 v183, 8, v183
	v_or_b32_sdwa v48, v48, v183 dst_sel:DWORD dst_unused:UNUSED_PAD src0_sel:BYTE_0 src1_sel:DWORD
	v_sub_nc_u16 v183, v185, v188
	ds_read2_b32 v[187:188], v193 offset1:1
	v_or_b32_sdwa v47, v183, v47 dst_sel:WORD_1 dst_unused:UNUSED_PAD src0_sel:BYTE_0 src1_sel:DWORD
	v_or_b32_sdwa v185, v48, v47 dst_sel:DWORD dst_unused:UNUSED_PAD src0_sel:WORD_0 src1_sel:DWORD
	v_add3_u32 v47, s17, v159, v120
	v_dot4c_i32_i8 v210, v185, v37
	ds_read_b32 v183, v47
	v_add_nc_u32_e32 v47, 0x2100, v196
	s_waitcnt lgkmcnt(1)
	v_ashrrev_i32_e32 v187, s1, v187
	ds_read2_b32 v[47:48], v47 offset1:1
	v_ashrrev_i32_e32 v188, s1, v188
	v_lshlrev_b32_e32 v187, 2, v187
	v_lshlrev_b32_e32 v188, 2, v188
	v_and_b32_e32 v187, 0x4040404, v187
	v_and_b32_e32 v188, 0x4040404, v188
	v_lshrrev_b16 v195, 8, v187
	v_lshrrev_b32_e32 v192, 16, v187
	v_lshrrev_b32_e32 v194, 24, v187
	s_waitcnt lgkmcnt(0)
	v_ashrrev_i32_e32 v47, s15, v47
	v_and_b32_e32 v189, 0x3030303, v47
	v_bfe_u32 v47, v47, 24, 2
	v_lshrrev_b16 v191, 8, v189
	v_lshrrev_b32_e32 v190, 16, v189
	v_sub_nc_u16 v187, v189, v187
	v_sub_nc_u16 v47, v47, v194
	v_lshrrev_b16 v194, 8, v188
	v_sub_nc_u16 v189, v191, v195
	v_lshrrev_b32_e32 v191, 16, v188
	v_lshlrev_b16 v47, 8, v47
	v_lshlrev_b16 v189, 8, v189
	v_or_b32_sdwa v187, v187, v189 dst_sel:DWORD dst_unused:UNUSED_PAD src0_sel:BYTE_0 src1_sel:DWORD
	v_sub_nc_u16 v189, v190, v192
	v_lshrrev_b32_e32 v192, 24, v188
	v_or_b32_sdwa v47, v189, v47 dst_sel:WORD_1 dst_unused:UNUSED_PAD src0_sel:BYTE_0 src1_sel:DWORD
	v_or_b32_sdwa v187, v187, v47 dst_sel:DWORD dst_unused:UNUSED_PAD src0_sel:WORD_0 src1_sel:DWORD
	v_ashrrev_i32_e32 v47, s15, v48
	v_dot4c_i32_i8 v211, v187, v38
	v_and_b32_e32 v48, 0x3030303, v47
	v_bfe_u32 v47, v47, 24, 2
	v_lshrrev_b16 v190, 8, v48
	v_lshrrev_b32_e32 v189, 16, v48
	v_sub_nc_u16 v48, v48, v188
	v_sub_nc_u16 v47, v47, v192
	v_sub_nc_u16 v188, v190, v194
	v_lshlrev_b16 v47, 8, v47
	v_lshlrev_b16 v188, 8, v188
	v_or_b32_sdwa v48, v48, v188 dst_sel:DWORD dst_unused:UNUSED_PAD src0_sel:BYTE_0 src1_sel:DWORD
	v_sub_nc_u16 v188, v189, v191
	ds_read2_b32 v[189:190], v193 offset0:2 offset1:3
	v_or_b32_sdwa v47, v188, v47 dst_sel:WORD_1 dst_unused:UNUSED_PAD src0_sel:BYTE_0 src1_sel:DWORD
	v_or_b32_sdwa v188, v48, v47 dst_sel:DWORD dst_unused:UNUSED_PAD src0_sel:WORD_0 src1_sel:DWORD
	v_add_nc_u32_e32 v47, 0x2108, v196
	v_dot4c_i32_i8 v211, v188, v39
	ds_read2_b32 v[47:48], v47 offset1:1
	s_waitcnt lgkmcnt(1)
	v_ashrrev_i32_e32 v189, s1, v189
	v_ashrrev_i32_e32 v190, s1, v190
	v_lshlrev_b32_e32 v189, 2, v189
	v_lshlrev_b32_e32 v190, 2, v190
	v_and_b32_e32 v189, 0x4040404, v189
	v_and_b32_e32 v190, 0x4040404, v190
	s_waitcnt lgkmcnt(0)
	v_ashrrev_i32_e32 v47, s15, v47
	v_lshrrev_b16 v198, 8, v189
	v_lshrrev_b32_e32 v195, 16, v189
	v_lshrrev_b32_e32 v197, 24, v189
	v_and_b32_e32 v191, 0x3030303, v47
	v_bfe_u32 v47, v47, 24, 2
	v_lshrrev_b16 v194, 8, v191
	v_lshrrev_b32_e32 v192, 16, v191
	v_sub_nc_u16 v189, v191, v189
	v_sub_nc_u16 v47, v47, v197
	v_lshrrev_b16 v197, 8, v190
	v_sub_nc_u16 v191, v194, v198
	v_lshrrev_b32_e32 v194, 16, v190
	v_lshlrev_b16 v47, 8, v47
	v_lshlrev_b16 v191, 8, v191
	v_or_b32_sdwa v189, v189, v191 dst_sel:DWORD dst_unused:UNUSED_PAD src0_sel:BYTE_0 src1_sel:DWORD
	v_sub_nc_u16 v191, v192, v195
	v_lshrrev_b32_e32 v195, 24, v190
	v_or_b32_sdwa v47, v191, v47 dst_sel:WORD_1 dst_unused:UNUSED_PAD src0_sel:BYTE_0 src1_sel:DWORD
	v_or_b32_sdwa v189, v189, v47 dst_sel:DWORD dst_unused:UNUSED_PAD src0_sel:WORD_0 src1_sel:DWORD
	v_ashrrev_i32_e32 v47, s15, v48
	v_dot4c_i32_i8 v211, v189, v40
	v_and_b32_e32 v48, 0x3030303, v47
	v_bfe_u32 v47, v47, 24, 2
	v_lshrrev_b16 v192, 8, v48
	v_lshrrev_b32_e32 v191, 16, v48
	v_sub_nc_u16 v48, v48, v190
	v_sub_nc_u16 v47, v47, v195
	v_sub_nc_u16 v190, v192, v197
	v_lshlrev_b16 v47, 8, v47
	v_lshlrev_b16 v190, 8, v190
	v_or_b32_sdwa v48, v48, v190 dst_sel:DWORD dst_unused:UNUSED_PAD src0_sel:BYTE_0 src1_sel:DWORD
	v_sub_nc_u16 v190, v191, v194
	ds_read2_b32 v[191:192], v193 offset0:4 offset1:5
	v_or_b32_sdwa v47, v190, v47 dst_sel:WORD_1 dst_unused:UNUSED_PAD src0_sel:BYTE_0 src1_sel:DWORD
	v_or_b32_sdwa v190, v48, v47 dst_sel:DWORD dst_unused:UNUSED_PAD src0_sel:WORD_0 src1_sel:DWORD
	v_add_nc_u32_e32 v47, 0x2110, v196
	v_dot4c_i32_i8 v211, v190, v41
	ds_read2_b32 v[47:48], v47 offset1:1
	s_waitcnt lgkmcnt(1)
	v_ashrrev_i32_e32 v191, s1, v191
	v_ashrrev_i32_e32 v192, s1, v192
	v_lshlrev_b32_e32 v191, 2, v191
	v_lshlrev_b32_e32 v192, 2, v192
	v_and_b32_e32 v191, 0x4040404, v191
	v_and_b32_e32 v192, 0x4040404, v192
	s_waitcnt lgkmcnt(0)
	v_ashrrev_i32_e32 v47, s15, v47
	v_lshrrev_b16 v200, 8, v191
	v_lshrrev_b32_e32 v198, 16, v191
	v_lshrrev_b32_e32 v199, 24, v191
	;; [unrolled: 47-line block ×3, first 2 shown]
	v_and_b32_e32 v195, 0x3030303, v47
	v_bfe_u32 v47, v47, 24, 2
	v_lshrrev_b16 v198, 8, v195
	v_lshrrev_b32_e32 v197, 16, v195
	v_sub_nc_u16 v193, v195, v193
	v_sub_nc_u16 v47, v47, v200
	v_lshrrev_b16 v200, 8, v194
	v_sub_nc_u16 v195, v198, v201
	v_lshrrev_b32_e32 v198, 16, v194
	v_lshlrev_b16 v47, 8, v47
	v_lshlrev_b16 v195, 8, v195
	v_or_b32_sdwa v193, v193, v195 dst_sel:DWORD dst_unused:UNUSED_PAD src0_sel:BYTE_0 src1_sel:DWORD
	v_sub_nc_u16 v195, v197, v199
	v_lshrrev_b32_e32 v199, 24, v194
	v_or_b32_sdwa v47, v195, v47 dst_sel:WORD_1 dst_unused:UNUSED_PAD src0_sel:BYTE_0 src1_sel:DWORD
	v_or_b32_sdwa v193, v193, v47 dst_sel:DWORD dst_unused:UNUSED_PAD src0_sel:WORD_0 src1_sel:DWORD
	v_ashrrev_i32_e32 v47, s15, v48
	v_dot4c_i32_i8 v213, v193, v36
	v_and_b32_e32 v48, 0x3030303, v47
	v_bfe_u32 v47, v47, 24, 2
	v_lshrrev_b16 v197, 8, v48
	v_lshrrev_b32_e32 v195, 16, v48
	v_sub_nc_u16 v48, v48, v194
	v_sub_nc_u16 v47, v47, v199
	;; [unrolled: 1-line block ×3, first 2 shown]
	v_add3_u32 v200, s18, v162, v123
	v_lshlrev_b16 v47, 8, v47
	v_lshlrev_b16 v194, 8, v194
	ds_read2_b32 v[201:202], v200 offset1:1
	v_or_b32_sdwa v48, v48, v194 dst_sel:DWORD dst_unused:UNUSED_PAD src0_sel:BYTE_0 src1_sel:DWORD
	v_sub_nc_u16 v194, v195, v198
	v_or_b32_sdwa v47, v194, v47 dst_sel:WORD_1 dst_unused:UNUSED_PAD src0_sel:BYTE_0 src1_sel:DWORD
	v_or_b32_sdwa v195, v48, v47 dst_sel:DWORD dst_unused:UNUSED_PAD src0_sel:WORD_0 src1_sel:DWORD
	v_add3_u32 v47, s17, v161, v122
	v_dot4c_i32_i8 v213, v195, v37
	ds_read_b32 v194, v47
	v_add_nc_u32_e32 v47, 0x3180, v196
	s_waitcnt lgkmcnt(1)
	v_ashrrev_i32_e32 v201, s1, v201
	ds_read2_b32 v[47:48], v47 offset1:1
	v_lshlrev_b32_e32 v201, 2, v201
	v_and_b32_e32 v201, 0x4040404, v201
	v_lshrrev_b32_e32 v204, 24, v201
	v_lshrrev_b16 v214, 8, v201
	v_lshrrev_b32_e32 v203, 16, v201
	s_waitcnt lgkmcnt(0)
	v_ashrrev_i32_e32 v197, s15, v47
	v_and_b32_e32 v198, 0x3030303, v197
	v_bfe_u32 v197, v197, 24, 2
	v_lshrrev_b16 v199, 8, v198
	v_lshrrev_b32_e32 v47, 16, v198
	v_sub_nc_u16 v197, v197, v204
	v_sub_nc_u16 v198, v198, v201
	;; [unrolled: 1-line block ×4, first 2 shown]
	v_lshlrev_b16 v197, 8, v197
	v_lshlrev_b16 v199, 8, v199
	v_or_b32_sdwa v47, v47, v197 dst_sel:WORD_1 dst_unused:UNUSED_PAD src0_sel:BYTE_0 src1_sel:DWORD
	v_or_b32_sdwa v198, v198, v199 dst_sel:DWORD dst_unused:UNUSED_PAD src0_sel:BYTE_0 src1_sel:DWORD
	v_ashrrev_i32_e32 v199, s1, v202
	v_or_b32_sdwa v201, v198, v47 dst_sel:DWORD dst_unused:UNUSED_PAD src0_sel:WORD_0 src1_sel:DWORD
	v_ashrrev_i32_e32 v47, s15, v48
	v_lshlrev_b32_e32 v199, 2, v199
	v_and_b32_e32 v48, 0x3030303, v47
	v_and_b32_e32 v199, 0x4040404, v199
	v_bfe_u32 v47, v47, 24, 2
	v_lshrrev_b16 v198, 8, v48
	v_lshrrev_b32_e32 v203, 24, v199
	v_lshrrev_b16 v204, 8, v199
	v_lshrrev_b32_e32 v197, 16, v48
	v_lshrrev_b32_e32 v202, 16, v199
	v_sub_nc_u16 v48, v48, v199
	v_sub_nc_u16 v47, v47, v203
	;; [unrolled: 1-line block ×4, first 2 shown]
	v_lshlrev_b16 v47, 8, v47
	v_lshlrev_b16 v198, 8, v198
	v_or_b32_sdwa v47, v197, v47 dst_sel:WORD_1 dst_unused:UNUSED_PAD src0_sel:BYTE_0 src1_sel:DWORD
	v_or_b32_sdwa v48, v48, v198 dst_sel:DWORD dst_unused:UNUSED_PAD src0_sel:BYTE_0 src1_sel:DWORD
	ds_read2_b32 v[197:198], v200 offset0:2 offset1:3
	v_or_b32_sdwa v202, v48, v47 dst_sel:DWORD dst_unused:UNUSED_PAD src0_sel:WORD_0 src1_sel:DWORD
	v_add_nc_u32_e32 v47, 0x3188, v196
	ds_read2_b32 v[47:48], v47 offset1:1
	s_waitcnt lgkmcnt(1)
	v_ashrrev_i32_e32 v197, s1, v197
	v_ashrrev_i32_e32 v198, s1, v198
	v_lshlrev_b32_e32 v197, 2, v197
	v_lshlrev_b32_e32 v198, 2, v198
	s_waitcnt lgkmcnt(0)
	v_ashrrev_i32_e32 v47, s15, v47
	v_and_b32_e32 v197, 0x4040404, v197
	v_and_b32_e32 v198, 0x4040404, v198
	;; [unrolled: 1-line block ×3, first 2 shown]
	v_lshrrev_b16 v216, 8, v197
	v_bfe_u32 v47, v47, 24, 2
	v_lshrrev_b32_e32 v214, 16, v197
	v_lshrrev_b32_e32 v215, 24, v197
	v_lshrrev_b16 v204, 8, v199
	v_lshrrev_b32_e32 v203, 16, v199
	v_sub_nc_u16 v197, v199, v197
	v_sub_nc_u16 v47, v47, v215
	;; [unrolled: 1-line block ×3, first 2 shown]
	v_lshrrev_b16 v215, 8, v198
	v_lshrrev_b32_e32 v204, 16, v198
	v_lshlrev_b16 v47, 8, v47
	v_lshlrev_b16 v199, 8, v199
	v_or_b32_sdwa v197, v197, v199 dst_sel:DWORD dst_unused:UNUSED_PAD src0_sel:BYTE_0 src1_sel:DWORD
	v_sub_nc_u16 v199, v203, v214
	v_lshrrev_b32_e32 v214, 24, v198
	v_or_b32_sdwa v47, v199, v47 dst_sel:WORD_1 dst_unused:UNUSED_PAD src0_sel:BYTE_0 src1_sel:DWORD
	v_or_b32_sdwa v203, v197, v47 dst_sel:DWORD dst_unused:UNUSED_PAD src0_sel:WORD_0 src1_sel:DWORD
	v_ashrrev_i32_e32 v47, s15, v48
	v_and_b32_e32 v48, 0x3030303, v47
	v_bfe_u32 v47, v47, 24, 2
	v_lshrrev_b16 v199, 8, v48
	v_lshrrev_b32_e32 v197, 16, v48
	v_sub_nc_u16 v48, v48, v198
	v_sub_nc_u16 v47, v47, v214
	;; [unrolled: 1-line block ×4, first 2 shown]
	v_lshlrev_b16 v47, 8, v47
	v_lshlrev_b16 v198, 8, v198
	v_or_b32_sdwa v47, v197, v47 dst_sel:WORD_1 dst_unused:UNUSED_PAD src0_sel:BYTE_0 src1_sel:DWORD
	v_or_b32_sdwa v48, v48, v198 dst_sel:DWORD dst_unused:UNUSED_PAD src0_sel:BYTE_0 src1_sel:DWORD
	ds_read2_b32 v[197:198], v200 offset0:4 offset1:5
	v_or_b32_sdwa v204, v48, v47 dst_sel:DWORD dst_unused:UNUSED_PAD src0_sel:WORD_0 src1_sel:DWORD
	v_add_nc_u32_e32 v47, 0x3190, v196
	ds_read2_b32 v[47:48], v47 offset1:1
	s_waitcnt lgkmcnt(1)
	v_ashrrev_i32_e32 v197, s1, v197
	v_ashrrev_i32_e32 v198, s1, v198
	v_lshlrev_b32_e32 v197, 2, v197
	v_lshlrev_b32_e32 v198, 2, v198
	s_waitcnt lgkmcnt(0)
	v_ashrrev_i32_e32 v47, s15, v47
	v_and_b32_e32 v197, 0x4040404, v197
	v_and_b32_e32 v198, 0x4040404, v198
	v_and_b32_e32 v199, 0x3030303, v47
	v_bfe_u32 v47, v47, 24, 2
	v_lshrrev_b16 v218, 8, v197
	v_lshrrev_b32_e32 v216, 16, v197
	v_lshrrev_b32_e32 v217, 24, v197
	v_lshrrev_b16 v215, 8, v199
	v_lshrrev_b32_e32 v214, 16, v199
	v_sub_nc_u16 v197, v199, v197
	v_sub_nc_u16 v47, v47, v217
	;; [unrolled: 1-line block ×3, first 2 shown]
	v_lshrrev_b16 v217, 8, v198
	v_lshrrev_b32_e32 v215, 16, v198
	v_lshlrev_b16 v47, 8, v47
	v_lshlrev_b16 v199, 8, v199
	v_or_b32_sdwa v197, v197, v199 dst_sel:DWORD dst_unused:UNUSED_PAD src0_sel:BYTE_0 src1_sel:DWORD
	v_sub_nc_u16 v199, v214, v216
	v_lshrrev_b32_e32 v216, 24, v198
	v_or_b32_sdwa v47, v199, v47 dst_sel:WORD_1 dst_unused:UNUSED_PAD src0_sel:BYTE_0 src1_sel:DWORD
	v_or_b32_sdwa v197, v197, v47 dst_sel:DWORD dst_unused:UNUSED_PAD src0_sel:WORD_0 src1_sel:DWORD
	v_ashrrev_i32_e32 v47, s15, v48
	v_and_b32_e32 v48, 0x3030303, v47
	v_bfe_u32 v47, v47, 24, 2
	v_lshrrev_b16 v214, 8, v48
	v_lshrrev_b32_e32 v199, 16, v48
	v_sub_nc_u16 v48, v48, v198
	v_sub_nc_u16 v47, v47, v216
	;; [unrolled: 1-line block ×3, first 2 shown]
	v_lshlrev_b16 v47, 8, v47
	v_lshlrev_b16 v198, 8, v198
	v_or_b32_sdwa v48, v48, v198 dst_sel:DWORD dst_unused:UNUSED_PAD src0_sel:BYTE_0 src1_sel:DWORD
	v_sub_nc_u16 v198, v199, v215
	ds_read2_b32 v[199:200], v200 offset0:6 offset1:7
	v_or_b32_sdwa v47, v198, v47 dst_sel:WORD_1 dst_unused:UNUSED_PAD src0_sel:BYTE_0 src1_sel:DWORD
	v_or_b32_sdwa v198, v48, v47 dst_sel:DWORD dst_unused:UNUSED_PAD src0_sel:WORD_0 src1_sel:DWORD
	v_add_nc_u32_e32 v47, 0x3198, v196
	ds_read2_b32 v[47:48], v47 offset1:1
	s_waitcnt lgkmcnt(1)
	v_ashrrev_i32_e32 v199, s1, v199
	v_ashrrev_i32_e32 v200, s1, v200
	s_add_i32 s1, s1, 1
	v_lshlrev_b32_e32 v199, 2, v199
	v_lshlrev_b32_e32 v200, 2, v200
	v_and_b32_e32 v199, 0x4040404, v199
	v_and_b32_e32 v200, 0x4040404, v200
	s_waitcnt lgkmcnt(0)
	v_ashrrev_i32_e32 v47, s15, v47
	v_lshrrev_b16 v218, 8, v199
	v_lshrrev_b32_e32 v216, 16, v199
	v_lshrrev_b32_e32 v217, 24, v199
	v_and_b32_e32 v196, 0x3030303, v47
	v_bfe_u32 v47, v47, 24, 2
	v_lshrrev_b16 v215, 8, v196
	v_lshrrev_b32_e32 v214, 16, v196
	v_sub_nc_u16 v196, v196, v199
	v_sub_nc_u16 v47, v47, v217
	v_lshrrev_b16 v217, 8, v200
	v_sub_nc_u16 v199, v215, v218
	v_lshrrev_b32_e32 v215, 16, v200
	v_mov_b32_e32 v218, 0
	v_lshlrev_b16 v47, 8, v47
	v_lshlrev_b16 v199, 8, v199
	v_or_b32_sdwa v196, v196, v199 dst_sel:DWORD dst_unused:UNUSED_PAD src0_sel:BYTE_0 src1_sel:DWORD
	v_sub_nc_u16 v199, v214, v216
	v_lshrrev_b32_e32 v216, 24, v200
	v_or_b32_sdwa v47, v199, v47 dst_sel:WORD_1 dst_unused:UNUSED_PAD src0_sel:BYTE_0 src1_sel:DWORD
	v_or_b32_sdwa v199, v196, v47 dst_sel:DWORD dst_unused:UNUSED_PAD src0_sel:WORD_0 src1_sel:DWORD
	v_ashrrev_i32_e32 v47, s15, v48
	v_and_b32_e32 v48, 0x3030303, v47
	v_bfe_u32 v47, v47, 24, 2
	v_lshrrev_b32_e32 v196, 16, v48
	v_lshrrev_b16 v214, 8, v48
	v_sub_nc_u16 v48, v48, v200
	v_sub_nc_u16 v47, v47, v216
	v_add_nc_u32_e32 v216, s16, v131
	v_sub_nc_u16 v196, v196, v215
	v_sub_nc_u16 v200, v214, v217
	v_mov_b32_e32 v215, 0
	v_mov_b32_e32 v217, 0
	v_lshlrev_b16 v47, 8, v47
	s_mov_b32 s16, s14
	v_lshlrev_b16 v200, 8, v200
	v_dot4c_i32_i8 v215, v201, v38
	v_dot4c_i32_i8 v217, v197, v34
	v_or_b32_sdwa v47, v196, v47 dst_sel:WORD_1 dst_unused:UNUSED_PAD src0_sel:BYTE_0 src1_sel:DWORD
	v_or_b32_sdwa v48, v48, v200 dst_sel:DWORD dst_unused:UNUSED_PAD src0_sel:BYTE_0 src1_sel:DWORD
	v_dot4c_i32_i8 v215, v202, v39
	v_dot4c_i32_i8 v217, v198, v35
	v_or_b32_sdwa v200, v48, v47 dst_sel:DWORD dst_unused:UNUSED_PAD src0_sel:WORD_0 src1_sel:DWORD
	v_add3_u32 v47, s17, v163, v124
	v_dot4c_i32_i8 v215, v203, v40
	v_dot4c_i32_i8 v217, v199, v36
	ds_read_b32 v196, v47
	v_dot4c_i32_i8 v215, v204, v41
	v_dot4c_i32_i8 v217, v200, v37
	ds_read_b128 v[34:37], v167 offset:1024
	ds_read_b128 v[38:41], v167 offset:1040
	s_waitcnt lgkmcnt(1)
	v_dot4c_i32_i8 v230, v169, v34
	s_waitcnt lgkmcnt(0)
	v_dot4c_i32_i8 v236, v173, v38
	v_dot4c_i32_i8 v225, v180, v34
	;; [unrolled: 1-line block ×31, first 2 shown]
	ds_read2_b32 v[47:48], v168 offset0:64 offset1:96
	ds_read_b128 v[34:37], v167 offset:2048
	ds_read_b128 v[38:41], v167 offset:2064
	s_waitcnt lgkmcnt(1)
	v_dot4c_i32_i8 v233, v169, v34
	s_waitcnt lgkmcnt(0)
	v_dot4c_i32_i8 v232, v173, v38
	v_dot4c_i32_i8 v228, v180, v34
	;; [unrolled: 1-line block ×31, first 2 shown]
	ds_read_b128 v[38:41], v167 offset:3072
	ds_read_b128 v[34:37], v167 offset:3088
	ds_read_u16 v214, v207 offset:33522
	s_waitcnt lgkmcnt(2)
	v_dot4c_i32_i8 v231, v169, v38
	s_waitcnt lgkmcnt(1)
	v_dot4c_i32_i8 v234, v173, v34
	s_waitcnt lgkmcnt(0)
	v_lshrrev_b16 v207, 8, v214
	v_bfe_i32 v214, v214, 0, 8
	v_dot4c_i32_i8 v231, v170, v39
	v_dot4c_i32_i8 v234, v174, v35
	v_bfe_i32 v207, v207, 0, 8
	v_mul_lo_u32 v230, v230, v214
	v_dot4c_i32_i8 v231, v171, v40
	v_dot4c_i32_i8 v234, v175, v36
	v_mul_lo_u32 v232, v232, v207
	v_mul_lo_u32 v208, v208, v207
	v_dot4c_i32_i8 v231, v172, v41
	v_dot4c_i32_i8 v234, v177, v37
	v_mul_lo_u32 v231, v231, v214
	v_mad_u64_u32 v[232:233], null, v233, v214, v[232:233]
	v_mad_u64_u32 v[233:234], null, v234, v207, v[231:232]
                                        ; kill: def $vgpr231 killed $sgpr0 killed $exec
	v_mad_u64_u32 v[234:235], null, v205, v214, v[208:209]
	v_mad_u64_u32 v[230:231], null, v236, v207, v[230:231]
	ds_read_u16 v209, v209 offset:34546
	v_mul_f32_e32 v205, v176, v46
	v_mul_f32_e32 v208, v176, v45
	;; [unrolled: 1-line block ×3, first 2 shown]
	v_cvt_f32_i32_e32 v234, v234
	v_mul_f32_e32 v231, v176, v48
	v_cvt_f32_i32_e32 v230, v230
	v_cvt_f32_i32_e32 v233, v233
	;; [unrolled: 1-line block ×3, first 2 shown]
	v_fma_f32 v19, v208, v234, v19
	v_mov_b32_e32 v234, 0
	v_fmac_f32_e32 v18, v205, v230
	v_mov_b32_e32 v205, 0
	v_mov_b32_e32 v230, 0
	v_fma_f32 v21, v235, v232, v21
	v_fma_f32 v20, v231, v233, v20
	v_mov_b32_e32 v231, 0
	v_dot4c_i32_i8 v205, v180, v38
	v_dot4c_i32_i8 v230, v178, v34
	v_mov_b32_e32 v232, 0
	s_waitcnt lgkmcnt(0)
	v_lshrrev_b16 v208, 8, v209
	v_bfe_i32 v209, v209, 0, 8
	v_dot4c_i32_i8 v205, v181, v39
	v_dot4c_i32_i8 v230, v179, v35
	v_mov_b32_e32 v233, 0
	v_bfe_i32 v208, v208, 0, 8
	v_mul_lo_u32 v225, v225, v209
	v_dot4c_i32_i8 v205, v184, v40
	v_dot4c_i32_i8 v230, v182, v36
	v_mov_b32_e32 v235, 0
	v_mul_lo_u32 v229, v229, v208
	v_mul_lo_u32 v210, v210, v208
	v_dot4c_i32_i8 v205, v186, v41
	v_dot4c_i32_i8 v230, v185, v37
	v_mad_u64_u32 v[224:225], null, v224, v208, v[225:226]
	v_mul_f32_e32 v225, v183, v48
	v_mul_lo_u32 v205, v205, v209
	v_mad_u64_u32 v[228:229], null, v228, v209, v[229:230]
	v_mov_b32_e32 v236, 0
	v_cvt_f32_i32_e32 v224, v224
	v_mad_u64_u32 v[229:230], null, v230, v208, v[205:206]
	v_mad_u64_u32 v[205:206], null, v206, v209, v[210:211]
	v_mul_f32_e32 v210, v183, v45
	v_mul_f32_e32 v206, v183, v46
	;; [unrolled: 1-line block ×3, first 2 shown]
	v_cvt_f32_i32_e32 v228, v228
	v_cvt_f32_i32_e32 v229, v229
	;; [unrolled: 1-line block ×3, first 2 shown]
	v_fmac_f32_e32 v30, v206, v224
	v_mov_b32_e32 v224, 0
	v_fma_f32 v32, v225, v229, v32
	v_mov_b32_e32 v225, 0
	v_fma_f32 v31, v210, v205, v31
	ds_read_u16 v205, v212 offset:35570
	v_dot4c_i32_i8 v224, v187, v38
	v_fma_f32 v33, v230, v228, v33
	v_dot4c_i32_i8 v225, v191, v34
	v_mov_b32_e32 v229, 0
	v_mov_b32_e32 v230, 0
	v_dot4c_i32_i8 v224, v188, v39
	v_dot4c_i32_i8 v225, v192, v35
	;; [unrolled: 1-line block ×6, first 2 shown]
	s_waitcnt lgkmcnt(0)
	v_lshrrev_b16 v206, 8, v205
	v_bfe_i32 v212, v205, 0, 8
	v_bfe_i32 v210, v206, 0, 8
	v_mul_lo_u32 v205, v223, v212
	v_mul_lo_u32 v223, v227, v210
	v_mul_lo_u32 v206, v213, v210
	v_mul_lo_u32 v213, v224, v212
                                        ; kill: def $vgpr224 killed $sgpr0 killed $exec
	v_mad_u64_u32 v[223:224], null, v226, v212, v[223:224]
	v_mad_u64_u32 v[224:225], null, v225, v210, v[213:214]
	;; [unrolled: 1-line block ×3, first 2 shown]
	v_mul_f32_e32 v211, v194, v45
                                        ; kill: def $vgpr206 killed $sgpr0 killed $exec
	v_mul_f32_e32 v213, v194, v48
	v_mad_u64_u32 v[205:206], null, v222, v210, v[205:206]
	v_mul_f32_e32 v206, v194, v46
	v_mul_f32_e32 v222, v194, v47
	v_cvt_f32_i32_e32 v225, v225
	v_cvt_f32_i32_e32 v224, v224
	v_cvt_f32_i32_e32 v223, v223
	v_cvt_f32_i32_e32 v205, v205
	v_fma_f32 v27, v211, v225, v27
	v_mov_b32_e32 v211, 0
	v_fma_f32 v28, v213, v224, v28
	v_mov_b32_e32 v224, 0
	v_fmac_f32_e32 v26, v206, v205
	v_fma_f32 v29, v222, v223, v29
	v_dot4c_i32_i8 v211, v201, v38
                                        ; kill: def $vgpr38 killed $sgpr0 killed $exec
	v_mov_b32_e32 v222, 0
	v_mov_b32_e32 v223, 0
	;; [unrolled: 1-line block ×3, first 2 shown]
	v_dot4c_i32_i8 v211, v202, v39
	v_mov_b32_e32 v39, 0
	v_dot4c_i32_i8 v211, v203, v40
	v_dot4c_i32_i8 v39, v197, v34
	ds_read_u16 v34, v216 offset:36594
	v_mov_b32_e32 v216, 0
	v_dot4c_i32_i8 v211, v204, v41
	v_dot4c_i32_i8 v39, v198, v35
	v_mul_f32_e32 v41, v196, v47
	v_mov_b32_e32 v47, 0
	v_dot4c_i32_i8 v39, v199, v36
	v_dot4c_i32_i8 v39, v200, v37
	s_waitcnt lgkmcnt(0)
	v_lshrrev_b16 v35, 8, v34
	v_bfe_i32 v206, v34, 0, 8
	v_bfe_i32 v205, v35, 0, 8
	v_mul_lo_u32 v36, v211, v206
	v_mul_lo_u32 v34, v219, v206
	v_mov_b32_e32 v211, 0
	v_mov_b32_e32 v219, 0
	v_mul_lo_u32 v37, v221, v205
	v_mul_lo_u32 v35, v217, v205
	v_mov_b32_e32 v217, 0
	v_mov_b32_e32 v221, 0
	v_mad_u64_u32 v[37:38], null, v220, v206, v[37:38]
	v_mov_b32_e32 v220, 0
	v_mad_u64_u32 v[38:39], null, v39, v205, v[36:37]
                                        ; kill: def $vgpr36 killed $sgpr0 killed $exec
	v_cvt_f32_i32_e32 v37, v37
	v_mad_u64_u32 v[35:36], null, v215, v206, v[35:36]
	v_mul_f32_e32 v36, v196, v45
	v_mov_b32_e32 v215, 0
	v_fma_f32 v25, v41, v37, v25
	v_cvt_f32_i32_e32 v38, v38
	v_mad_u64_u32 v[39:40], null, v218, v205, v[34:35]
	v_mul_f32_e32 v34, v196, v46
	v_mul_f32_e32 v40, v196, v48
	v_cvt_f32_i32_e32 v35, v35
	v_mov_b32_e32 v218, 0
	v_mov_b32_e32 v48, 0
	v_cvt_f32_i32_e32 v39, v39
	v_fma_f32 v24, v40, v38, v24
	v_fma_f32 v23, v36, v35, v23
	v_fmac_f32_e32 v22, v34, v39
	ds_read2_b32 v[45:46], v168 offset0:128 offset1:160
	ds_read_b128 v[38:41], v167 offset:4096
	ds_read_b128 v[34:37], v167 offset:4112
	s_waitcnt lgkmcnt(1)
	v_dot4c_i32_i8 v211, v169, v38
	v_dot4c_i32_i8 v217, v180, v38
	;; [unrolled: 1-line block ×4, first 2 shown]
	s_waitcnt lgkmcnt(0)
	v_dot4c_i32_i8 v224, v173, v34
	v_dot4c_i32_i8 v211, v170, v39
	v_dot4c_i32_i8 v217, v181, v39
	v_dot4c_i32_i8 v216, v188, v39
	v_dot4c_i32_i8 v47, v202, v39
	v_dot4c_i32_i8 v219, v178, v34
	v_dot4c_i32_i8 v211, v171, v40
	v_dot4c_i32_i8 v217, v184, v40
	v_dot4c_i32_i8 v216, v189, v40
	v_dot4c_i32_i8 v47, v203, v40
	v_mov_b32_e32 v40, 0
	v_dot4c_i32_i8 v218, v191, v34
	v_dot4c_i32_i8 v224, v174, v35
	;; [unrolled: 1-line block ×17, first 2 shown]
	v_mov_b32_e32 v41, 0
	v_dot4c_i32_i8 v40, v200, v37
	ds_read_b128 v[34:37], v167 offset:5120
	ds_read_b128 v[225:228], v167 offset:5136
	s_waitcnt lgkmcnt(1)
	v_dot4c_i32_i8 v229, v169, v34
	s_waitcnt lgkmcnt(0)
	v_dot4c_i32_i8 v230, v173, v225
	v_dot4c_i32_i8 v222, v180, v34
	v_dot4c_i32_i8 v223, v178, v225
	v_dot4c_i32_i8 v221, v187, v34
	v_dot4c_i32_i8 v220, v191, v225
	v_dot4c_i32_i8 v41, v201, v34
	v_dot4c_i32_i8 v48, v197, v225
	v_dot4c_i32_i8 v229, v170, v35
	v_dot4c_i32_i8 v230, v174, v226
	v_dot4c_i32_i8 v222, v181, v35
	v_dot4c_i32_i8 v223, v179, v226
	v_dot4c_i32_i8 v221, v188, v35
	v_dot4c_i32_i8 v220, v192, v226
	v_dot4c_i32_i8 v41, v202, v35
	v_dot4c_i32_i8 v48, v198, v226
	v_dot4c_i32_i8 v229, v171, v36
	v_dot4c_i32_i8 v230, v175, v227
	v_dot4c_i32_i8 v222, v184, v36
	v_dot4c_i32_i8 v223, v182, v227
	v_dot4c_i32_i8 v221, v189, v36
	v_dot4c_i32_i8 v220, v193, v227
	v_dot4c_i32_i8 v41, v203, v36
	v_dot4c_i32_i8 v48, v199, v227
	v_dot4c_i32_i8 v229, v172, v37
	v_dot4c_i32_i8 v230, v177, v228
	v_dot4c_i32_i8 v222, v186, v37
	v_dot4c_i32_i8 v223, v185, v228
	v_dot4c_i32_i8 v221, v190, v37
	v_dot4c_i32_i8 v220, v195, v228
	v_dot4c_i32_i8 v41, v204, v37
	v_dot4c_i32_i8 v48, v200, v228
	ds_read2_b32 v[38:39], v168 offset0:192 offset1:224
	ds_read_b128 v[34:37], v167 offset:6144
	ds_read_b128 v[225:228], v167 offset:6160
	v_add_nc_u32_e32 v168, 4, v168
	v_mul_lo_u32 v41, v41, v206
	s_waitcnt lgkmcnt(1)
	v_dot4c_i32_i8 v231, v169, v34
	s_waitcnt lgkmcnt(0)
	v_dot4c_i32_i8 v232, v173, v225
	v_dot4c_i32_i8 v233, v180, v34
	;; [unrolled: 1-line block ×31, first 2 shown]
	ds_read_b128 v[225:228], v167 offset:7168
	ds_read_b128 v[34:37], v167 offset:7184
	v_add_nc_u32_e32 v167, 32, v167
	s_waitcnt lgkmcnt(1)
	v_dot4c_i32_i8 v237, v169, v225
	s_waitcnt lgkmcnt(0)
	v_dot4c_i32_i8 v238, v173, v34
                                        ; kill: def $vgpr173 killed $sgpr0 killed $exec
	v_mul_lo_u32 v169, v229, v214
	v_dot4c_i32_i8 v237, v170, v226
	v_dot4c_i32_i8 v238, v174, v35
	v_mul_lo_u32 v170, v224, v207
	v_dot4c_i32_i8 v237, v171, v227
	v_dot4c_i32_i8 v238, v175, v36
	;; [unrolled: 1-line block ×3, first 2 shown]
	v_mul_lo_u32 v172, v232, v207
	v_dot4c_i32_i8 v238, v177, v37
	v_mul_lo_u32 v171, v237, v214
	v_mad_u64_u32 v[172:173], null, v231, v214, v[172:173]
	v_mad_u64_u32 v[173:174], null, v238, v207, v[171:172]
                                        ; kill: def $vgpr171 killed $sgpr0 killed $exec
	v_cvt_f32_i32_e32 v172, v172
	v_mad_u64_u32 v[170:171], null, v211, v214, v[170:171]
	v_mul_f32_e32 v171, v176, v45
	v_cvt_f32_i32_e32 v173, v173
	v_mad_u64_u32 v[174:175], null, v230, v207, v[169:170]
	v_cvt_f32_i32_e32 v170, v170
	v_mul_f32_e32 v169, v176, v46
	v_mul_f32_e32 v175, v176, v39
	v_mul_f32_e32 v176, v176, v38
	v_fma_f32 v15, v171, v170, v15
	v_mov_b32_e32 v171, 0
	v_cvt_f32_i32_e32 v174, v174
	v_fma_f32 v17, v176, v172, v17
	v_mul_lo_u32 v172, v234, v208
	v_fma_f32 v16, v175, v173, v16
	v_dot4c_i32_i8 v171, v180, v225
	v_fmac_f32_e32 v14, v169, v174
	v_mov_b32_e32 v174, 0
                                        ; kill: def $vgpr173 killed $sgpr0 killed $exec
	v_mul_lo_u32 v170, v219, v208
	v_mul_lo_u32 v169, v222, v209
	v_dot4c_i32_i8 v171, v181, v226
	v_mad_u64_u32 v[172:173], null, v233, v209, v[172:173]
	v_dot4c_i32_i8 v174, v178, v34
	v_mul_f32_e32 v176, v183, v38
	v_dot4c_i32_i8 v171, v184, v227
	v_dot4c_i32_i8 v174, v179, v35
	;; [unrolled: 1-line block ×4, first 2 shown]
	v_mul_lo_u32 v171, v171, v209
	v_dot4c_i32_i8 v174, v185, v37
	v_mad_u64_u32 v[173:174], null, v174, v208, v[171:172]
                                        ; kill: def $vgpr171 killed $sgpr0 killed $exec
	v_cvt_f32_i32_e32 v172, v172
	v_mad_u64_u32 v[170:171], null, v217, v209, v[170:171]
	v_mul_f32_e32 v171, v183, v45
	v_fma_f32 v13, v176, v172, v13
	v_mul_lo_u32 v172, v236, v210
	v_cvt_f32_i32_e32 v173, v173
	v_mul_f32_e32 v176, v194, v38
	v_mad_u64_u32 v[174:175], null, v223, v208, v[169:170]
	v_cvt_f32_i32_e32 v170, v170
	v_mul_f32_e32 v169, v183, v46
	v_mul_f32_e32 v175, v183, v39
	v_fma_f32 v11, v171, v170, v11
	v_mov_b32_e32 v171, 0
	v_cvt_f32_i32_e32 v174, v174
	v_fma_f32 v12, v175, v173, v12
                                        ; kill: def $vgpr173 killed $sgpr0 killed $exec
	v_mul_lo_u32 v170, v218, v210
	v_mad_u64_u32 v[172:173], null, v235, v212, v[172:173]
	v_dot4c_i32_i8 v171, v187, v225
	v_fmac_f32_e32 v10, v169, v174
	v_mov_b32_e32 v174, 0
	v_mul_lo_u32 v169, v221, v212
	v_dot4c_i32_i8 v171, v188, v226
	v_dot4c_i32_i8 v174, v191, v34
	;; [unrolled: 1-line block ×6, first 2 shown]
	v_mul_lo_u32 v171, v171, v212
	v_dot4c_i32_i8 v174, v195, v37
	v_mad_u64_u32 v[173:174], null, v174, v210, v[171:172]
                                        ; kill: def $vgpr171 killed $sgpr0 killed $exec
	v_cvt_f32_i32_e32 v172, v172
	v_mad_u64_u32 v[170:171], null, v216, v212, v[170:171]
	v_mul_f32_e32 v171, v194, v45
	v_fma_f32 v9, v176, v172, v9
	v_cvt_f32_i32_e32 v173, v173
	v_mad_u64_u32 v[174:175], null, v220, v210, v[169:170]
	v_mul_f32_e32 v169, v194, v46
	v_cvt_f32_i32_e32 v170, v170
	v_mul_f32_e32 v175, v194, v39
	v_mul_f32_e32 v39, v196, v39
	v_cvt_f32_i32_e32 v174, v174
	v_fma_f32 v7, v171, v170, v7
	v_mov_b32_e32 v170, 0
	v_fma_f32 v8, v175, v173, v8
	v_fmac_f32_e32 v6, v169, v174
	v_mov_b32_e32 v169, 0
	v_dot4c_i32_i8 v170, v197, v34
	v_mul_lo_u32 v34, v215, v205
	v_dot4c_i32_i8 v169, v201, v225
	v_dot4c_i32_i8 v170, v198, v35
                                        ; kill: def $vgpr35 killed $sgpr0 killed $exec
	s_add_i32 s0, s0, 2
	s_cmp_lt_u32 s14, 30
	v_dot4c_i32_i8 v169, v202, v226
	v_dot4c_i32_i8 v170, v199, v36
	v_mad_u64_u32 v[34:35], null, v213, v206, v[34:35]
	v_dot4c_i32_i8 v169, v203, v227
	v_dot4c_i32_i8 v170, v200, v37
	v_mul_lo_u32 v37, v40, v205
	v_mad_u64_u32 v[40:41], null, v48, v205, v[41:42]
	v_dot4c_i32_i8 v169, v204, v228
	v_mul_f32_e32 v41, v196, v45
	v_cvt_f32_i32_e32 v34, v34
	v_mul_lo_u32 v36, v169, v206
	v_cvt_f32_i32_e32 v40, v40
	v_mad_u64_u32 v[35:36], null, v170, v205, v[36:37]
	v_mad_u64_u32 v[36:37], null, v47, v206, v[37:38]
	v_mul_f32_e32 v37, v196, v46
	v_mul_f32_e32 v38, v196, v38
	v_cvt_f32_i32_e32 v35, v35
	v_fmac_f32_e32 v2, v37, v40
	v_cvt_f32_i32_e32 v36, v36
	v_fma_f32 v5, v38, v34, v5
	v_fma_f32 v4, v39, v35, v4
	;; [unrolled: 1-line block ×3, first 2 shown]
	s_cbranch_scc1 .LBB169_14
; %bb.15:                               ;   in Loop: Header=BB169_6 Depth=1
	s_barrier
	buffer_gl0_inv
	s_branch .LBB169_5
.LBB169_16:
	v_mov_b32_e32 v34, v49
.LBB169_17:
	s_mov_b32 s0, exec_lo
	v_cmpx_gt_u32_e64 s8, v34
	s_cbranch_execz .LBB169_68
; %bb.18:
	v_add_nc_u32_e32 v0, s6, v0
	v_mul_lo_u32 v34, v34, s10
	v_cmp_gt_u32_e64 s0, s10, v0
	s_and_saveexec_b32 s1, s0
	s_cbranch_execz .LBB169_20
; %bb.19:
	v_add_nc_u32_e32 v35, v0, v34
	v_mov_b32_e32 v36, 0
	v_bfe_u32 v37, v19, 16, 1
	v_cmp_o_f32_e32 vcc_lo, v19, v19
	v_mov_b32_e32 v38, 0x7fc0
	v_lshlrev_b64 v[35:36], 1, v[35:36]
	v_add3_u32 v19, v19, v37, 0x7fff
	v_cndmask_b32_sdwa v19, v38, v19, vcc_lo dst_sel:DWORD dst_unused:UNUSED_PAD src0_sel:DWORD src1_sel:WORD_1
	s_waitcnt lgkmcnt(0)
	v_add_co_u32 v35, vcc_lo, s12, v35
	v_add_co_ci_u32_e64 v36, null, s13, v36, vcc_lo
	global_store_short v[35:36], v19, off
.LBB169_20:
	s_or_b32 exec_lo, exec_lo, s1
	v_add_nc_u32_e32 v19, 32, v0
	v_cmp_gt_u32_e64 s1, s10, v19
	s_and_saveexec_b32 s2, s1
	s_cbranch_execz .LBB169_22
; %bb.21:
	v_add_nc_u32_e32 v35, v19, v34
	v_mov_b32_e32 v36, 0
	v_bfe_u32 v37, v31, 16, 1
	v_cmp_o_f32_e32 vcc_lo, v31, v31
	v_mov_b32_e32 v38, 0x7fc0
	v_lshlrev_b64 v[35:36], 1, v[35:36]
	v_add3_u32 v31, v31, v37, 0x7fff
	v_cndmask_b32_sdwa v31, v38, v31, vcc_lo dst_sel:DWORD dst_unused:UNUSED_PAD src0_sel:DWORD src1_sel:WORD_1
	s_waitcnt lgkmcnt(0)
	v_add_co_u32 v35, vcc_lo, s12, v35
	v_add_co_ci_u32_e64 v36, null, s13, v36, vcc_lo
	global_store_short v[35:36], v31, off
.LBB169_22:
	s_or_b32 exec_lo, exec_lo, s2
	v_add_nc_u32_e32 v31, 64, v0
	v_cmp_gt_u32_e64 s2, s10, v31
	s_and_saveexec_b32 s3, s2
	s_cbranch_execz .LBB169_24
; %bb.23:
	v_add_nc_u32_e32 v35, v31, v34
	v_mov_b32_e32 v36, 0
	v_bfe_u32 v37, v27, 16, 1
	v_cmp_o_f32_e32 vcc_lo, v27, v27
	v_mov_b32_e32 v38, 0x7fc0
	v_lshlrev_b64 v[35:36], 1, v[35:36]
	v_add3_u32 v27, v27, v37, 0x7fff
	v_cndmask_b32_sdwa v27, v38, v27, vcc_lo dst_sel:DWORD dst_unused:UNUSED_PAD src0_sel:DWORD src1_sel:WORD_1
	s_waitcnt lgkmcnt(0)
	v_add_co_u32 v35, vcc_lo, s12, v35
	v_add_co_ci_u32_e64 v36, null, s13, v36, vcc_lo
	global_store_short v[35:36], v27, off
.LBB169_24:
	s_or_b32 exec_lo, exec_lo, s3
	v_add_nc_u32_e32 v27, 0x60, v0
	v_cmp_gt_u32_e64 s3, s10, v27
	s_and_saveexec_b32 s4, s3
	s_cbranch_execz .LBB169_26
; %bb.25:
	v_add_nc_u32_e32 v34, v27, v34
	v_mov_b32_e32 v35, 0
	v_bfe_u32 v36, v23, 16, 1
	v_cmp_o_f32_e32 vcc_lo, v23, v23
	v_mov_b32_e32 v37, 0x7fc0
	v_lshlrev_b64 v[34:35], 1, v[34:35]
	v_add3_u32 v23, v23, v36, 0x7fff
	v_cndmask_b32_sdwa v23, v37, v23, vcc_lo dst_sel:DWORD dst_unused:UNUSED_PAD src0_sel:DWORD src1_sel:WORD_1
	s_waitcnt lgkmcnt(0)
	v_add_co_u32 v34, vcc_lo, s12, v34
	v_add_co_ci_u32_e64 v35, null, s13, v35, vcc_lo
	global_store_short v[34:35], v23, off
.LBB169_26:
	s_or_b32 exec_lo, exec_lo, s4
	v_add3_u32 v23, v1, s7, 8
	v_cmp_gt_u32_e32 vcc_lo, s8, v23
	s_and_b32 exec_lo, exec_lo, vcc_lo
	s_cbranch_execz .LBB169_68
; %bb.27:
	v_mul_lo_u32 v23, v23, s10
	s_and_saveexec_b32 s4, s0
	s_cbranch_execnz .LBB169_69
; %bb.28:
	s_or_b32 exec_lo, exec_lo, s4
	s_and_saveexec_b32 s4, s1
	s_cbranch_execnz .LBB169_70
.LBB169_29:
	s_or_b32 exec_lo, exec_lo, s4
	s_and_saveexec_b32 s4, s2
	s_cbranch_execnz .LBB169_71
.LBB169_30:
	s_or_b32 exec_lo, exec_lo, s4
	s_and_saveexec_b32 s4, s3
	s_cbranch_execz .LBB169_32
.LBB169_31:
	v_bfe_u32 v18, v22, 16, 1
	v_add_nc_u32_e32 v34, v23, v27
	v_mov_b32_e32 v35, 0
	v_cmp_o_f32_e32 vcc_lo, v22, v22
	v_mov_b32_e32 v26, 0x7fc0
	v_add3_u32 v18, v22, v18, 0x7fff
	v_lshlrev_b64 v[22:23], 1, v[34:35]
	v_cndmask_b32_sdwa v18, v26, v18, vcc_lo dst_sel:DWORD dst_unused:UNUSED_PAD src0_sel:DWORD src1_sel:WORD_1
	s_waitcnt lgkmcnt(0)
	v_add_co_u32 v22, vcc_lo, s12, v22
	v_add_co_ci_u32_e64 v23, null, s13, v23, vcc_lo
	global_store_short v[22:23], v18, off
.LBB169_32:
	s_or_b32 exec_lo, exec_lo, s4
	v_add3_u32 v18, v1, s7, 16
	v_cmp_gt_u32_e32 vcc_lo, s8, v18
	s_and_b32 exec_lo, exec_lo, vcc_lo
	s_cbranch_execz .LBB169_68
; %bb.33:
	v_mul_lo_u32 v18, v18, s10
	s_and_saveexec_b32 s4, s0
	s_cbranch_execnz .LBB169_72
; %bb.34:
	s_or_b32 exec_lo, exec_lo, s4
	s_and_saveexec_b32 s4, s1
	s_cbranch_execnz .LBB169_73
.LBB169_35:
	s_or_b32 exec_lo, exec_lo, s4
	s_and_saveexec_b32 s4, s2
	s_cbranch_execnz .LBB169_74
.LBB169_36:
	s_or_b32 exec_lo, exec_lo, s4
	s_and_saveexec_b32 s4, s3
	s_cbranch_execz .LBB169_38
.LBB169_37:
	v_add_nc_u32_e32 v21, v18, v27
	v_mov_b32_e32 v22, 0
	v_bfe_u32 v23, v25, 16, 1
	v_cmp_o_f32_e32 vcc_lo, v25, v25
	v_mov_b32_e32 v18, 0x7fc0
	v_lshlrev_b64 v[21:22], 1, v[21:22]
	v_add3_u32 v23, v25, v23, 0x7fff
	v_cndmask_b32_sdwa v18, v18, v23, vcc_lo dst_sel:DWORD dst_unused:UNUSED_PAD src0_sel:DWORD src1_sel:WORD_1
	s_waitcnt lgkmcnt(0)
	v_add_co_u32 v21, vcc_lo, s12, v21
	v_add_co_ci_u32_e64 v22, null, s13, v22, vcc_lo
	global_store_short v[21:22], v18, off
.LBB169_38:
	s_or_b32 exec_lo, exec_lo, s4
	v_add3_u32 v18, v1, s7, 24
	v_cmp_gt_u32_e32 vcc_lo, s8, v18
	s_and_b32 exec_lo, exec_lo, vcc_lo
	s_cbranch_execz .LBB169_68
; %bb.39:
	v_mul_lo_u32 v18, v18, s10
	s_and_saveexec_b32 s4, s0
	s_cbranch_execnz .LBB169_75
; %bb.40:
	s_or_b32 exec_lo, exec_lo, s4
	s_and_saveexec_b32 s4, s1
	s_cbranch_execnz .LBB169_76
.LBB169_41:
	s_or_b32 exec_lo, exec_lo, s4
	s_and_saveexec_b32 s4, s2
	s_cbranch_execnz .LBB169_77
.LBB169_42:
	s_or_b32 exec_lo, exec_lo, s4
	s_and_saveexec_b32 s4, s3
	s_cbranch_execz .LBB169_44
.LBB169_43:
	v_add_nc_u32_e32 v20, v18, v27
	v_mov_b32_e32 v21, 0
	v_bfe_u32 v22, v24, 16, 1
	v_cmp_o_f32_e32 vcc_lo, v24, v24
	v_mov_b32_e32 v18, 0x7fc0
	v_lshlrev_b64 v[20:21], 1, v[20:21]
	v_add3_u32 v22, v24, v22, 0x7fff
	v_cndmask_b32_sdwa v18, v18, v22, vcc_lo dst_sel:DWORD dst_unused:UNUSED_PAD src0_sel:DWORD src1_sel:WORD_1
	s_waitcnt lgkmcnt(0)
	v_add_co_u32 v20, vcc_lo, s12, v20
	v_add_co_ci_u32_e64 v21, null, s13, v21, vcc_lo
	global_store_short v[20:21], v18, off
.LBB169_44:
	s_or_b32 exec_lo, exec_lo, s4
	v_add3_u32 v18, v1, s7, 32
	v_cmp_gt_u32_e32 vcc_lo, s8, v18
	s_and_b32 exec_lo, exec_lo, vcc_lo
	s_cbranch_execz .LBB169_68
; %bb.45:
	v_mul_lo_u32 v18, v18, s10
	s_and_saveexec_b32 s4, s0
	s_cbranch_execnz .LBB169_78
; %bb.46:
	s_or_b32 exec_lo, exec_lo, s4
	s_and_saveexec_b32 s4, s1
	s_cbranch_execnz .LBB169_79
.LBB169_47:
	s_or_b32 exec_lo, exec_lo, s4
	s_and_saveexec_b32 s4, s2
	s_cbranch_execnz .LBB169_80
.LBB169_48:
	s_or_b32 exec_lo, exec_lo, s4
	s_and_saveexec_b32 s4, s3
	s_cbranch_execz .LBB169_50
.LBB169_49:
	v_add_nc_u32_e32 v20, v18, v27
	v_mov_b32_e32 v21, 0
	v_bfe_u32 v7, v3, 16, 1
	v_cmp_o_f32_e32 vcc_lo, v3, v3
	v_mov_b32_e32 v11, 0x7fc0
	v_lshlrev_b64 v[20:21], 1, v[20:21]
	v_add3_u32 v3, v3, v7, 0x7fff
	v_cndmask_b32_sdwa v3, v11, v3, vcc_lo dst_sel:DWORD dst_unused:UNUSED_PAD src0_sel:DWORD src1_sel:WORD_1
	s_waitcnt lgkmcnt(0)
	v_add_co_u32 v20, vcc_lo, s12, v20
	v_add_co_ci_u32_e64 v21, null, s13, v21, vcc_lo
	global_store_short v[20:21], v3, off
.LBB169_50:
	s_or_b32 exec_lo, exec_lo, s4
	v_add3_u32 v3, v1, s7, 40
	v_cmp_gt_u32_e32 vcc_lo, s8, v3
	s_and_b32 exec_lo, exec_lo, vcc_lo
	s_cbranch_execz .LBB169_68
; %bb.51:
	v_mul_lo_u32 v3, v3, s10
	s_and_saveexec_b32 s4, s0
	s_cbranch_execnz .LBB169_81
; %bb.52:
	s_or_b32 exec_lo, exec_lo, s4
	s_and_saveexec_b32 s4, s1
	s_cbranch_execnz .LBB169_82
.LBB169_53:
	s_or_b32 exec_lo, exec_lo, s4
	s_and_saveexec_b32 s4, s2
	s_cbranch_execnz .LBB169_83
.LBB169_54:
	s_or_b32 exec_lo, exec_lo, s4
	s_and_saveexec_b32 s4, s3
	s_cbranch_execz .LBB169_56
.LBB169_55:
	v_bfe_u32 v10, v2, 16, 1
	v_add_nc_u32_e32 v6, v3, v27
	v_mov_b32_e32 v7, 0
	v_cmp_o_f32_e32 vcc_lo, v2, v2
	v_mov_b32_e32 v11, 0x7fc0
	v_add3_u32 v10, v2, v10, 0x7fff
	v_lshlrev_b64 v[2:3], 1, v[6:7]
	v_cndmask_b32_sdwa v6, v11, v10, vcc_lo dst_sel:DWORD dst_unused:UNUSED_PAD src0_sel:DWORD src1_sel:WORD_1
	s_waitcnt lgkmcnt(0)
	v_add_co_u32 v2, vcc_lo, s12, v2
	v_add_co_ci_u32_e64 v3, null, s13, v3, vcc_lo
	global_store_short v[2:3], v6, off
.LBB169_56:
	s_or_b32 exec_lo, exec_lo, s4
	v_add3_u32 v2, v1, s7, 48
	v_cmp_gt_u32_e32 vcc_lo, s8, v2
	s_and_b32 exec_lo, exec_lo, vcc_lo
	s_cbranch_execz .LBB169_68
; %bb.57:
	v_mul_lo_u32 v2, v2, s10
	s_and_saveexec_b32 s4, s0
	s_cbranch_execnz .LBB169_84
; %bb.58:
	s_or_b32 exec_lo, exec_lo, s4
	s_and_saveexec_b32 s4, s1
	s_cbranch_execnz .LBB169_85
.LBB169_59:
	s_or_b32 exec_lo, exec_lo, s4
	s_and_saveexec_b32 s4, s2
	s_cbranch_execnz .LBB169_86
.LBB169_60:
	s_or_b32 exec_lo, exec_lo, s4
	s_and_saveexec_b32 s4, s3
	s_cbranch_execz .LBB169_62
.LBB169_61:
	v_add_nc_u32_e32 v2, v2, v27
	v_mov_b32_e32 v3, 0
	v_bfe_u32 v6, v5, 16, 1
	v_cmp_o_f32_e32 vcc_lo, v5, v5
	v_mov_b32_e32 v7, 0x7fc0
	v_lshlrev_b64 v[2:3], 1, v[2:3]
	v_add3_u32 v5, v5, v6, 0x7fff
	v_cndmask_b32_sdwa v5, v7, v5, vcc_lo dst_sel:DWORD dst_unused:UNUSED_PAD src0_sel:DWORD src1_sel:WORD_1
	s_waitcnt lgkmcnt(0)
	v_add_co_u32 v2, vcc_lo, s12, v2
	v_add_co_ci_u32_e64 v3, null, s13, v3, vcc_lo
	global_store_short v[2:3], v5, off
.LBB169_62:
	s_or_b32 exec_lo, exec_lo, s4
	v_add3_u32 v1, v1, s7, 56
	v_cmp_gt_u32_e32 vcc_lo, s8, v1
	s_and_b32 exec_lo, exec_lo, vcc_lo
	s_cbranch_execz .LBB169_68
; %bb.63:
	v_mul_lo_u32 v1, v1, s10
	s_and_saveexec_b32 s4, s0
	s_cbranch_execnz .LBB169_87
; %bb.64:
	s_or_b32 exec_lo, exec_lo, s4
	s_and_saveexec_b32 s0, s1
	s_cbranch_execnz .LBB169_88
.LBB169_65:
	s_or_b32 exec_lo, exec_lo, s0
	s_and_saveexec_b32 s0, s2
	s_cbranch_execnz .LBB169_89
.LBB169_66:
	s_or_b32 exec_lo, exec_lo, s0
	s_and_b32 exec_lo, exec_lo, s3
	s_cbranch_execz .LBB169_68
.LBB169_67:
	v_add_nc_u32_e32 v0, v1, v27
	v_mov_b32_e32 v1, 0
	v_bfe_u32 v2, v4, 16, 1
	v_cmp_o_f32_e32 vcc_lo, v4, v4
	v_mov_b32_e32 v3, 0x7fc0
	v_lshlrev_b64 v[0:1], 1, v[0:1]
	v_add3_u32 v2, v4, v2, 0x7fff
	v_cndmask_b32_sdwa v2, v3, v2, vcc_lo dst_sel:DWORD dst_unused:UNUSED_PAD src0_sel:DWORD src1_sel:WORD_1
	s_waitcnt lgkmcnt(0)
	v_add_co_u32 v0, vcc_lo, s12, v0
	v_add_co_ci_u32_e64 v1, null, s13, v1, vcc_lo
	global_store_short v[0:1], v2, off
.LBB169_68:
	s_endpgm
.LBB169_69:
	v_add_nc_u32_e32 v34, v23, v0
	v_mov_b32_e32 v35, 0
	v_bfe_u32 v36, v18, 16, 1
	v_cmp_o_f32_e32 vcc_lo, v18, v18
	v_mov_b32_e32 v37, 0x7fc0
	v_lshlrev_b64 v[34:35], 1, v[34:35]
	v_add3_u32 v18, v18, v36, 0x7fff
	v_cndmask_b32_sdwa v18, v37, v18, vcc_lo dst_sel:DWORD dst_unused:UNUSED_PAD src0_sel:DWORD src1_sel:WORD_1
	s_waitcnt lgkmcnt(0)
	v_add_co_u32 v34, vcc_lo, s12, v34
	v_add_co_ci_u32_e64 v35, null, s13, v35, vcc_lo
	global_store_short v[34:35], v18, off
	s_or_b32 exec_lo, exec_lo, s4
	s_and_saveexec_b32 s4, s1
	s_cbranch_execz .LBB169_29
.LBB169_70:
	v_add_nc_u32_e32 v34, v23, v19
	v_mov_b32_e32 v35, 0
	v_bfe_u32 v18, v30, 16, 1
	v_cmp_o_f32_e32 vcc_lo, v30, v30
	v_mov_b32_e32 v36, 0x7fc0
	v_lshlrev_b64 v[34:35], 1, v[34:35]
	v_add3_u32 v18, v30, v18, 0x7fff
	v_cndmask_b32_sdwa v18, v36, v18, vcc_lo dst_sel:DWORD dst_unused:UNUSED_PAD src0_sel:DWORD src1_sel:WORD_1
	s_waitcnt lgkmcnt(0)
	v_add_co_u32 v34, vcc_lo, s12, v34
	v_add_co_ci_u32_e64 v35, null, s13, v35, vcc_lo
	global_store_short v[34:35], v18, off
	s_or_b32 exec_lo, exec_lo, s4
	s_and_saveexec_b32 s4, s2
	s_cbranch_execz .LBB169_30
.LBB169_71:
	v_add_nc_u32_e32 v34, v23, v31
	v_mov_b32_e32 v35, 0
	v_bfe_u32 v18, v26, 16, 1
	v_cmp_o_f32_e32 vcc_lo, v26, v26
	v_mov_b32_e32 v30, 0x7fc0
	v_lshlrev_b64 v[34:35], 1, v[34:35]
	v_add3_u32 v18, v26, v18, 0x7fff
	v_cndmask_b32_sdwa v18, v30, v18, vcc_lo dst_sel:DWORD dst_unused:UNUSED_PAD src0_sel:DWORD src1_sel:WORD_1
	s_waitcnt lgkmcnt(0)
	v_add_co_u32 v34, vcc_lo, s12, v34
	v_add_co_ci_u32_e64 v35, null, s13, v35, vcc_lo
	global_store_short v[34:35], v18, off
	s_or_b32 exec_lo, exec_lo, s4
	s_and_saveexec_b32 s4, s3
	s_cbranch_execnz .LBB169_31
	s_branch .LBB169_32
.LBB169_72:
	v_bfe_u32 v26, v21, 16, 1
	v_add_nc_u32_e32 v22, v18, v0
	v_mov_b32_e32 v23, 0
	v_cmp_o_f32_e32 vcc_lo, v21, v21
	v_mov_b32_e32 v30, 0x7fc0
	v_add3_u32 v26, v21, v26, 0x7fff
	v_lshlrev_b64 v[21:22], 1, v[22:23]
	v_cndmask_b32_sdwa v23, v30, v26, vcc_lo dst_sel:DWORD dst_unused:UNUSED_PAD src0_sel:DWORD src1_sel:WORD_1
	s_waitcnt lgkmcnt(0)
	v_add_co_u32 v21, vcc_lo, s12, v21
	v_add_co_ci_u32_e64 v22, null, s13, v22, vcc_lo
	global_store_short v[21:22], v23, off
	s_or_b32 exec_lo, exec_lo, s4
	s_and_saveexec_b32 s4, s1
	s_cbranch_execz .LBB169_35
.LBB169_73:
	v_add_nc_u32_e32 v21, v18, v19
	v_mov_b32_e32 v22, 0
	v_bfe_u32 v23, v33, 16, 1
	v_cmp_o_f32_e32 vcc_lo, v33, v33
	v_mov_b32_e32 v26, 0x7fc0
	v_lshlrev_b64 v[21:22], 1, v[21:22]
	v_add3_u32 v23, v33, v23, 0x7fff
	v_cndmask_b32_sdwa v23, v26, v23, vcc_lo dst_sel:DWORD dst_unused:UNUSED_PAD src0_sel:DWORD src1_sel:WORD_1
	s_waitcnt lgkmcnt(0)
	v_add_co_u32 v21, vcc_lo, s12, v21
	v_add_co_ci_u32_e64 v22, null, s13, v22, vcc_lo
	global_store_short v[21:22], v23, off
	s_or_b32 exec_lo, exec_lo, s4
	s_and_saveexec_b32 s4, s2
	s_cbranch_execz .LBB169_36
.LBB169_74:
	v_add_nc_u32_e32 v21, v18, v31
	v_mov_b32_e32 v22, 0
	v_bfe_u32 v23, v29, 16, 1
	v_cmp_o_f32_e32 vcc_lo, v29, v29
	v_mov_b32_e32 v26, 0x7fc0
	v_lshlrev_b64 v[21:22], 1, v[21:22]
	v_add3_u32 v23, v29, v23, 0x7fff
	v_cndmask_b32_sdwa v23, v26, v23, vcc_lo dst_sel:DWORD dst_unused:UNUSED_PAD src0_sel:DWORD src1_sel:WORD_1
	s_waitcnt lgkmcnt(0)
	v_add_co_u32 v21, vcc_lo, s12, v21
	v_add_co_ci_u32_e64 v22, null, s13, v22, vcc_lo
	global_store_short v[21:22], v23, off
	s_or_b32 exec_lo, exec_lo, s4
	s_and_saveexec_b32 s4, s3
	s_cbranch_execnz .LBB169_37
	s_branch .LBB169_38
.LBB169_75:
	v_bfe_u32 v23, v20, 16, 1
	v_add_nc_u32_e32 v21, v18, v0
	v_mov_b32_e32 v22, 0
	v_cmp_o_f32_e32 vcc_lo, v20, v20
	v_mov_b32_e32 v25, 0x7fc0
	v_add3_u32 v23, v20, v23, 0x7fff
	v_lshlrev_b64 v[20:21], 1, v[21:22]
	v_cndmask_b32_sdwa v22, v25, v23, vcc_lo dst_sel:DWORD dst_unused:UNUSED_PAD src0_sel:DWORD src1_sel:WORD_1
	s_waitcnt lgkmcnt(0)
	v_add_co_u32 v20, vcc_lo, s12, v20
	v_add_co_ci_u32_e64 v21, null, s13, v21, vcc_lo
	global_store_short v[20:21], v22, off
	s_or_b32 exec_lo, exec_lo, s4
	s_and_saveexec_b32 s4, s1
	s_cbranch_execz .LBB169_41
.LBB169_76:
	v_add_nc_u32_e32 v20, v18, v19
	v_mov_b32_e32 v21, 0
	v_bfe_u32 v22, v32, 16, 1
	v_cmp_o_f32_e32 vcc_lo, v32, v32
	v_mov_b32_e32 v23, 0x7fc0
	v_lshlrev_b64 v[20:21], 1, v[20:21]
	v_add3_u32 v22, v32, v22, 0x7fff
	v_cndmask_b32_sdwa v22, v23, v22, vcc_lo dst_sel:DWORD dst_unused:UNUSED_PAD src0_sel:DWORD src1_sel:WORD_1
	s_waitcnt lgkmcnt(0)
	v_add_co_u32 v20, vcc_lo, s12, v20
	v_add_co_ci_u32_e64 v21, null, s13, v21, vcc_lo
	global_store_short v[20:21], v22, off
	s_or_b32 exec_lo, exec_lo, s4
	s_and_saveexec_b32 s4, s2
	s_cbranch_execz .LBB169_42
.LBB169_77:
	v_add_nc_u32_e32 v20, v18, v31
	v_mov_b32_e32 v21, 0
	v_bfe_u32 v22, v28, 16, 1
	v_cmp_o_f32_e32 vcc_lo, v28, v28
	v_mov_b32_e32 v23, 0x7fc0
	v_lshlrev_b64 v[20:21], 1, v[20:21]
	v_add3_u32 v22, v28, v22, 0x7fff
	v_cndmask_b32_sdwa v22, v23, v22, vcc_lo dst_sel:DWORD dst_unused:UNUSED_PAD src0_sel:DWORD src1_sel:WORD_1
	s_waitcnt lgkmcnt(0)
	v_add_co_u32 v20, vcc_lo, s12, v20
	v_add_co_ci_u32_e64 v21, null, s13, v21, vcc_lo
	global_store_short v[20:21], v22, off
	s_or_b32 exec_lo, exec_lo, s4
	s_and_saveexec_b32 s4, s3
	s_cbranch_execnz .LBB169_43
	s_branch .LBB169_44
.LBB169_78:
	v_add_nc_u32_e32 v20, v18, v0
	v_mov_b32_e32 v21, 0
	v_bfe_u32 v22, v15, 16, 1
	v_cmp_o_f32_e32 vcc_lo, v15, v15
	v_mov_b32_e32 v23, 0x7fc0
	v_lshlrev_b64 v[20:21], 1, v[20:21]
	v_add3_u32 v15, v15, v22, 0x7fff
	v_cndmask_b32_sdwa v15, v23, v15, vcc_lo dst_sel:DWORD dst_unused:UNUSED_PAD src0_sel:DWORD src1_sel:WORD_1
	s_waitcnt lgkmcnt(0)
	v_add_co_u32 v20, vcc_lo, s12, v20
	v_add_co_ci_u32_e64 v21, null, s13, v21, vcc_lo
	global_store_short v[20:21], v15, off
	s_or_b32 exec_lo, exec_lo, s4
	s_and_saveexec_b32 s4, s1
	s_cbranch_execz .LBB169_47
.LBB169_79:
	v_add_nc_u32_e32 v20, v18, v19
	v_mov_b32_e32 v21, 0
	v_bfe_u32 v15, v11, 16, 1
	v_cmp_o_f32_e32 vcc_lo, v11, v11
	v_mov_b32_e32 v22, 0x7fc0
	v_lshlrev_b64 v[20:21], 1, v[20:21]
	v_add3_u32 v11, v11, v15, 0x7fff
	v_cndmask_b32_sdwa v11, v22, v11, vcc_lo dst_sel:DWORD dst_unused:UNUSED_PAD src0_sel:DWORD src1_sel:WORD_1
	s_waitcnt lgkmcnt(0)
	v_add_co_u32 v20, vcc_lo, s12, v20
	v_add_co_ci_u32_e64 v21, null, s13, v21, vcc_lo
	global_store_short v[20:21], v11, off
	s_or_b32 exec_lo, exec_lo, s4
	s_and_saveexec_b32 s4, s2
	s_cbranch_execz .LBB169_48
.LBB169_80:
	v_add_nc_u32_e32 v20, v18, v31
	v_mov_b32_e32 v21, 0
	v_bfe_u32 v11, v7, 16, 1
	v_cmp_o_f32_e32 vcc_lo, v7, v7
	v_mov_b32_e32 v15, 0x7fc0
	v_lshlrev_b64 v[20:21], 1, v[20:21]
	v_add3_u32 v7, v7, v11, 0x7fff
	v_cndmask_b32_sdwa v7, v15, v7, vcc_lo dst_sel:DWORD dst_unused:UNUSED_PAD src0_sel:DWORD src1_sel:WORD_1
	s_waitcnt lgkmcnt(0)
	v_add_co_u32 v20, vcc_lo, s12, v20
	v_add_co_ci_u32_e64 v21, null, s13, v21, vcc_lo
	global_store_short v[20:21], v7, off
	s_or_b32 exec_lo, exec_lo, s4
	s_and_saveexec_b32 s4, s3
	s_cbranch_execnz .LBB169_49
	s_branch .LBB169_50
.LBB169_81:
	v_bfe_u32 v7, v14, 16, 1
	v_add_nc_u32_e32 v20, v3, v0
	v_mov_b32_e32 v21, 0
	v_cmp_o_f32_e32 vcc_lo, v14, v14
	v_mov_b32_e32 v11, 0x7fc0
	v_add3_u32 v7, v14, v7, 0x7fff
	v_lshlrev_b64 v[14:15], 1, v[20:21]
	v_cndmask_b32_sdwa v7, v11, v7, vcc_lo dst_sel:DWORD dst_unused:UNUSED_PAD src0_sel:DWORD src1_sel:WORD_1
	s_waitcnt lgkmcnt(0)
	v_add_co_u32 v14, vcc_lo, s12, v14
	v_add_co_ci_u32_e64 v15, null, s13, v15, vcc_lo
	global_store_short v[14:15], v7, off
	s_or_b32 exec_lo, exec_lo, s4
	s_and_saveexec_b32 s4, s1
	s_cbranch_execz .LBB169_53
.LBB169_82:
	v_bfe_u32 v7, v10, 16, 1
	v_add_nc_u32_e32 v14, v3, v19
	v_mov_b32_e32 v15, 0
	v_cmp_o_f32_e32 vcc_lo, v10, v10
	v_mov_b32_e32 v18, 0x7fc0
	v_add3_u32 v7, v10, v7, 0x7fff
	v_lshlrev_b64 v[10:11], 1, v[14:15]
	v_cndmask_b32_sdwa v7, v18, v7, vcc_lo dst_sel:DWORD dst_unused:UNUSED_PAD src0_sel:DWORD src1_sel:WORD_1
	s_waitcnt lgkmcnt(0)
	v_add_co_u32 v10, vcc_lo, s12, v10
	v_add_co_ci_u32_e64 v11, null, s13, v11, vcc_lo
	global_store_short v[10:11], v7, off
	s_or_b32 exec_lo, exec_lo, s4
	s_and_saveexec_b32 s4, s2
	s_cbranch_execz .LBB169_54
.LBB169_83:
	v_bfe_u32 v7, v6, 16, 1
	v_add_nc_u32_e32 v10, v3, v31
	v_mov_b32_e32 v11, 0
	v_cmp_o_f32_e32 vcc_lo, v6, v6
	v_mov_b32_e32 v14, 0x7fc0
	v_add3_u32 v15, v6, v7, 0x7fff
	v_lshlrev_b64 v[6:7], 1, v[10:11]
	v_cndmask_b32_sdwa v10, v14, v15, vcc_lo dst_sel:DWORD dst_unused:UNUSED_PAD src0_sel:DWORD src1_sel:WORD_1
	s_waitcnt lgkmcnt(0)
	v_add_co_u32 v6, vcc_lo, s12, v6
	v_add_co_ci_u32_e64 v7, null, s13, v7, vcc_lo
	global_store_short v[6:7], v10, off
	s_or_b32 exec_lo, exec_lo, s4
	s_and_saveexec_b32 s4, s3
	s_cbranch_execnz .LBB169_55
	s_branch .LBB169_56
.LBB169_84:
	v_add_nc_u32_e32 v6, v2, v0
	v_mov_b32_e32 v7, 0
	v_bfe_u32 v3, v17, 16, 1
	v_cmp_o_f32_e32 vcc_lo, v17, v17
	v_mov_b32_e32 v10, 0x7fc0
	v_lshlrev_b64 v[6:7], 1, v[6:7]
	v_add3_u32 v3, v17, v3, 0x7fff
	v_cndmask_b32_sdwa v3, v10, v3, vcc_lo dst_sel:DWORD dst_unused:UNUSED_PAD src0_sel:DWORD src1_sel:WORD_1
	s_waitcnt lgkmcnt(0)
	v_add_co_u32 v6, vcc_lo, s12, v6
	v_add_co_ci_u32_e64 v7, null, s13, v7, vcc_lo
	global_store_short v[6:7], v3, off
	s_or_b32 exec_lo, exec_lo, s4
	s_and_saveexec_b32 s4, s1
	s_cbranch_execz .LBB169_59
.LBB169_85:
	v_add_nc_u32_e32 v6, v2, v19
	v_mov_b32_e32 v7, 0
	v_bfe_u32 v3, v13, 16, 1
	v_cmp_o_f32_e32 vcc_lo, v13, v13
	v_mov_b32_e32 v10, 0x7fc0
	v_lshlrev_b64 v[6:7], 1, v[6:7]
	v_add3_u32 v3, v13, v3, 0x7fff
	v_cndmask_b32_sdwa v3, v10, v3, vcc_lo dst_sel:DWORD dst_unused:UNUSED_PAD src0_sel:DWORD src1_sel:WORD_1
	s_waitcnt lgkmcnt(0)
	v_add_co_u32 v6, vcc_lo, s12, v6
	v_add_co_ci_u32_e64 v7, null, s13, v7, vcc_lo
	global_store_short v[6:7], v3, off
	s_or_b32 exec_lo, exec_lo, s4
	s_and_saveexec_b32 s4, s2
	s_cbranch_execz .LBB169_60
.LBB169_86:
	v_add_nc_u32_e32 v6, v2, v31
	v_mov_b32_e32 v7, 0
	v_bfe_u32 v3, v9, 16, 1
	v_cmp_o_f32_e32 vcc_lo, v9, v9
	v_mov_b32_e32 v10, 0x7fc0
	v_lshlrev_b64 v[6:7], 1, v[6:7]
	v_add3_u32 v3, v9, v3, 0x7fff
	v_cndmask_b32_sdwa v3, v10, v3, vcc_lo dst_sel:DWORD dst_unused:UNUSED_PAD src0_sel:DWORD src1_sel:WORD_1
	s_waitcnt lgkmcnt(0)
	v_add_co_u32 v6, vcc_lo, s12, v6
	v_add_co_ci_u32_e64 v7, null, s13, v7, vcc_lo
	global_store_short v[6:7], v3, off
	s_or_b32 exec_lo, exec_lo, s4
	s_and_saveexec_b32 s4, s3
	s_cbranch_execnz .LBB169_61
	s_branch .LBB169_62
.LBB169_87:
	v_add_nc_u32_e32 v2, v1, v0
	v_mov_b32_e32 v3, 0
	v_bfe_u32 v5, v16, 16, 1
	v_cmp_o_f32_e32 vcc_lo, v16, v16
	v_mov_b32_e32 v0, 0x7fc0
	v_lshlrev_b64 v[2:3], 1, v[2:3]
	v_add3_u32 v5, v16, v5, 0x7fff
	v_cndmask_b32_sdwa v0, v0, v5, vcc_lo dst_sel:DWORD dst_unused:UNUSED_PAD src0_sel:DWORD src1_sel:WORD_1
	s_waitcnt lgkmcnt(0)
	v_add_co_u32 v2, vcc_lo, s12, v2
	v_add_co_ci_u32_e64 v3, null, s13, v3, vcc_lo
	global_store_short v[2:3], v0, off
	s_or_b32 exec_lo, exec_lo, s4
	s_and_saveexec_b32 s0, s1
	s_cbranch_execz .LBB169_65
.LBB169_88:
	v_add_nc_u32_e32 v2, v1, v19
	v_mov_b32_e32 v3, 0
	v_bfe_u32 v0, v12, 16, 1
	v_cmp_o_f32_e32 vcc_lo, v12, v12
	v_mov_b32_e32 v5, 0x7fc0
	v_lshlrev_b64 v[2:3], 1, v[2:3]
	v_add3_u32 v0, v12, v0, 0x7fff
	v_cndmask_b32_sdwa v0, v5, v0, vcc_lo dst_sel:DWORD dst_unused:UNUSED_PAD src0_sel:DWORD src1_sel:WORD_1
	s_waitcnt lgkmcnt(0)
	v_add_co_u32 v2, vcc_lo, s12, v2
	v_add_co_ci_u32_e64 v3, null, s13, v3, vcc_lo
	global_store_short v[2:3], v0, off
	s_or_b32 exec_lo, exec_lo, s0
	s_and_saveexec_b32 s0, s2
	s_cbranch_execz .LBB169_66
.LBB169_89:
	v_add_nc_u32_e32 v2, v1, v31
	v_mov_b32_e32 v3, 0
	v_bfe_u32 v0, v8, 16, 1
	v_cmp_o_f32_e32 vcc_lo, v8, v8
	v_mov_b32_e32 v5, 0x7fc0
	v_lshlrev_b64 v[2:3], 1, v[2:3]
	v_add3_u32 v0, v8, v0, 0x7fff
	v_cndmask_b32_sdwa v0, v5, v0, vcc_lo dst_sel:DWORD dst_unused:UNUSED_PAD src0_sel:DWORD src1_sel:WORD_1
	s_waitcnt lgkmcnt(0)
	v_add_co_u32 v2, vcc_lo, s12, v2
	v_add_co_ci_u32_e64 v3, null, s13, v3, vcc_lo
	global_store_short v[2:3], v0, off
	s_or_b32 exec_lo, exec_lo, s0
	s_and_b32 exec_lo, exec_lo, s3
	s_cbranch_execnz .LBB169_67
	s_branch .LBB169_68
	.section	.rodata,"a",@progbits
	.p2align	6, 0x0
	.amdhsa_kernel _ZL12mul_mat_q3_KIN3c108BFloat16ELb0EEvPKvS3_PT_iiiii
		.amdhsa_group_segment_fixed_size 39840
		.amdhsa_private_segment_fixed_size 0
		.amdhsa_kernarg_size 44
		.amdhsa_user_sgpr_count 6
		.amdhsa_user_sgpr_private_segment_buffer 1
		.amdhsa_user_sgpr_dispatch_ptr 0
		.amdhsa_user_sgpr_queue_ptr 0
		.amdhsa_user_sgpr_kernarg_segment_ptr 1
		.amdhsa_user_sgpr_dispatch_id 0
		.amdhsa_user_sgpr_flat_scratch_init 0
		.amdhsa_user_sgpr_private_segment_size 0
		.amdhsa_wavefront_size32 1
		.amdhsa_uses_dynamic_stack 0
		.amdhsa_system_sgpr_private_segment_wavefront_offset 0
		.amdhsa_system_sgpr_workgroup_id_x 1
		.amdhsa_system_sgpr_workgroup_id_y 1
		.amdhsa_system_sgpr_workgroup_id_z 0
		.amdhsa_system_sgpr_workgroup_info 0
		.amdhsa_system_vgpr_workitem_id 1
		.amdhsa_next_free_vgpr 240
		.amdhsa_next_free_sgpr 21
		.amdhsa_reserve_vcc 1
		.amdhsa_reserve_flat_scratch 0
		.amdhsa_float_round_mode_32 0
		.amdhsa_float_round_mode_16_64 0
		.amdhsa_float_denorm_mode_32 3
		.amdhsa_float_denorm_mode_16_64 3
		.amdhsa_dx10_clamp 1
		.amdhsa_ieee_mode 1
		.amdhsa_fp16_overflow 0
		.amdhsa_workgroup_processor_mode 1
		.amdhsa_memory_ordered 1
		.amdhsa_forward_progress 1
		.amdhsa_shared_vgpr_count 0
		.amdhsa_exception_fp_ieee_invalid_op 0
		.amdhsa_exception_fp_denorm_src 0
		.amdhsa_exception_fp_ieee_div_zero 0
		.amdhsa_exception_fp_ieee_overflow 0
		.amdhsa_exception_fp_ieee_underflow 0
		.amdhsa_exception_fp_ieee_inexact 0
		.amdhsa_exception_int_div_zero 0
	.end_amdhsa_kernel
	.section	.text._ZL12mul_mat_q3_KIN3c108BFloat16ELb0EEvPKvS3_PT_iiiii,"axG",@progbits,_ZL12mul_mat_q3_KIN3c108BFloat16ELb0EEvPKvS3_PT_iiiii,comdat
.Lfunc_end169:
	.size	_ZL12mul_mat_q3_KIN3c108BFloat16ELb0EEvPKvS3_PT_iiiii, .Lfunc_end169-_ZL12mul_mat_q3_KIN3c108BFloat16ELb0EEvPKvS3_PT_iiiii
                                        ; -- End function
	.set _ZL12mul_mat_q3_KIN3c108BFloat16ELb0EEvPKvS3_PT_iiiii.num_vgpr, 240
	.set _ZL12mul_mat_q3_KIN3c108BFloat16ELb0EEvPKvS3_PT_iiiii.num_agpr, 0
	.set _ZL12mul_mat_q3_KIN3c108BFloat16ELb0EEvPKvS3_PT_iiiii.numbered_sgpr, 21
	.set _ZL12mul_mat_q3_KIN3c108BFloat16ELb0EEvPKvS3_PT_iiiii.num_named_barrier, 0
	.set _ZL12mul_mat_q3_KIN3c108BFloat16ELb0EEvPKvS3_PT_iiiii.private_seg_size, 0
	.set _ZL12mul_mat_q3_KIN3c108BFloat16ELb0EEvPKvS3_PT_iiiii.uses_vcc, 1
	.set _ZL12mul_mat_q3_KIN3c108BFloat16ELb0EEvPKvS3_PT_iiiii.uses_flat_scratch, 0
	.set _ZL12mul_mat_q3_KIN3c108BFloat16ELb0EEvPKvS3_PT_iiiii.has_dyn_sized_stack, 0
	.set _ZL12mul_mat_q3_KIN3c108BFloat16ELb0EEvPKvS3_PT_iiiii.has_recursion, 0
	.set _ZL12mul_mat_q3_KIN3c108BFloat16ELb0EEvPKvS3_PT_iiiii.has_indirect_call, 0
	.section	.AMDGPU.csdata,"",@progbits
; Kernel info:
; codeLenInByte = 39624
; TotalNumSgprs: 23
; NumVgprs: 240
; ScratchSize: 0
; MemoryBound: 0
; FloatMode: 240
; IeeeMode: 1
; LDSByteSize: 39840 bytes/workgroup (compile time only)
; SGPRBlocks: 0
; VGPRBlocks: 29
; NumSGPRsForWavesPerEU: 23
; NumVGPRsForWavesPerEU: 240
; Occupancy: 4
; WaveLimiterHint : 0
; COMPUTE_PGM_RSRC2:SCRATCH_EN: 0
; COMPUTE_PGM_RSRC2:USER_SGPR: 6
; COMPUTE_PGM_RSRC2:TRAP_HANDLER: 0
; COMPUTE_PGM_RSRC2:TGID_X_EN: 1
; COMPUTE_PGM_RSRC2:TGID_Y_EN: 1
; COMPUTE_PGM_RSRC2:TGID_Z_EN: 0
; COMPUTE_PGM_RSRC2:TIDIG_COMP_CNT: 1
	.section	.text._ZL12mul_mat_q3_KIN3c108BFloat16ELb1EEvPKvS3_PT_iiiii,"axG",@progbits,_ZL12mul_mat_q3_KIN3c108BFloat16ELb1EEvPKvS3_PT_iiiii,comdat
	.globl	_ZL12mul_mat_q3_KIN3c108BFloat16ELb1EEvPKvS3_PT_iiiii ; -- Begin function _ZL12mul_mat_q3_KIN3c108BFloat16ELb1EEvPKvS3_PT_iiiii
	.p2align	8
	.type	_ZL12mul_mat_q3_KIN3c108BFloat16ELb1EEvPKvS3_PT_iiiii,@function
_ZL12mul_mat_q3_KIN3c108BFloat16ELb1EEvPKvS3_PT_iiiii: ; @_ZL12mul_mat_q3_KIN3c108BFloat16ELb1EEvPKvS3_PT_iiiii
; %bb.0:
	s_clause 0x1
	s_load_dwordx4 s[8:11], s[4:5], 0x18
	s_load_dword s14, s[4:5], 0x28
	s_lshl_b32 s7, s7, 6
	v_add_nc_u32_e32 v65, s7, v1
	s_waitcnt lgkmcnt(0)
	s_cmpk_gt_i32 s8, 0xff
	s_cbranch_scc1 .LBB170_2
; %bb.1:
	v_add_nc_u32_e32 v34, s7, v1
	s_mov_b32 s0, 0
	s_branch .LBB170_3
.LBB170_2:
	s_mov_b32 s0, -1
                                        ; implicit-def: $vgpr34
.LBB170_3:
	s_load_dwordx2 s[12:13], s[4:5], 0x10
	v_mov_b32_e32 v4, 0
	v_mov_b32_e32 v5, 0
	;; [unrolled: 1-line block ×32, first 2 shown]
	s_andn2_b32 vcc_lo, exec_lo, s0
	s_lshl_b32 s6, s6, 7
	s_cbranch_vccnz .LBB170_17
; %bb.4:
	s_load_dwordx4 s[0:3], s[4:5], 0x0
	s_ashr_i32 s4, s8, 31
	s_ashr_i32 s5, s11, 31
	s_lshr_b32 s4, s4, 24
	s_lshr_b32 s5, s5, 27
	s_add_i32 s4, s8, s4
	s_add_i32 s5, s11, s5
	s_ashr_i32 s4, s4, 8
	s_ashr_i32 s11, s5, 5
	s_mul_i32 s8, s4, s6
	v_add_nc_u32_e32 v23, 8, v1
	s_mul_i32 s5, s8, 0x6e
	s_mul_hi_i32 s8, s8, 0x6e
	v_add_nc_u32_e32 v24, 16, v1
	v_and_b32_e32 v3, 15, v0
	v_lshlrev_b32_e32 v2, 2, v0
	v_add_nc_u32_e32 v25, 24, v1
	v_add_nc_u32_e32 v26, 32, v1
	;; [unrolled: 1-line block ×4, first 2 shown]
	s_waitcnt lgkmcnt(0)
	s_add_u32 s5, s0, s5
	s_addc_u32 s8, s1, s8
	s_not_b32 s0, s6
	v_add_nc_u32_e32 v29, 56, v1
	s_add_i32 s0, s9, s0
	v_lshlrev_b32_e32 v30, 4, v1
	v_min_i32_e32 v4, s0, v1
	v_min_i32_e32 v5, s0, v23
	;; [unrolled: 1-line block ×3, first 2 shown]
	v_lshrrev_b32_e32 v76, 1, v0
	v_lshrrev_b32_e32 v66, 4, v0
	v_mul_lo_u32 v68, v4, s4
	v_mad_u64_u32 v[42:43], null, 0x84, v4, v[2:3]
	v_min_i32_e32 v4, s0, v25
	v_mul_lo_u32 v69, v5, s4
	v_mad_u64_u32 v[43:44], null, 0x84, v5, v[2:3]
	v_min_i32_e32 v5, s0, v26
	v_mad_u64_u32 v[44:45], null, 0x84, v7, v[2:3]
	v_mul_lo_u32 v71, v4, s4
	v_mad_u64_u32 v[45:46], null, 0x84, v4, v[2:3]
	v_min_i32_e32 v4, s0, v27
	v_mul_lo_u32 v70, v7, s4
	v_mul_lo_u32 v72, v5, s4
	v_mad_u64_u32 v[46:47], null, 0x84, v5, v[2:3]
	v_min_i32_e32 v5, s0, v28
	v_add_nc_u32_e32 v7, 64, v1
	v_mad_u64_u32 v[47:48], null, 0x84, v4, v[2:3]
	v_mul_lo_u32 v73, v4, s4
	v_min_i32_e32 v4, s0, v29
	v_mul_lo_u32 v74, v5, s4
	v_mad_u64_u32 v[48:49], null, 0x84, v5, v[2:3]
	v_min_i32_e32 v5, s0, v7
	v_add_nc_u32_e32 v7, 0x48, v1
	v_mul_lo_u32 v75, v4, s4
	v_mad_u64_u32 v[49:50], null, 0x84, v4, v[2:3]
	v_add_nc_u32_e32 v8, v76, v30
	v_min_i32_e32 v4, s0, v7
	v_add_nc_u32_e32 v7, 0x50, v1
	v_mul_lo_u32 v77, v5, s4
	v_mad_u64_u32 v[50:51], null, 0x84, v5, v[2:3]
	v_and_b32_e32 v8, 0x7f, v8
	v_min_i32_e32 v5, s0, v7
	v_add_nc_u32_e32 v7, 0x58, v1
	v_mul_lo_u32 v78, v4, s4
	v_mad_u64_u32 v[51:52], null, 0x84, v4, v[2:3]
	v_min_i32_e32 v8, s0, v8
	v_min_i32_e32 v4, s0, v7
	v_add_nc_u32_e32 v7, 0x60, v1
	v_mul_lo_u32 v79, v5, s4
	v_mad_u64_u32 v[52:53], null, 0x84, v5, v[2:3]
	v_ashrrev_i32_e32 v9, 31, v8
	v_min_i32_e32 v5, s0, v7
	v_add_nc_u32_e32 v7, 0x68, v1
	v_mul_lo_u32 v80, v4, s4
	v_mad_u64_u32 v[53:54], null, 0x84, v4, v[2:3]
	v_lshrrev_b32_e32 v9, 28, v9
	v_min_i32_e32 v4, s0, v7
	v_add_nc_u32_e32 v7, 0x70, v1
	v_mul_lo_u32 v81, v5, s4
	v_mad_u64_u32 v[54:55], null, 0x84, v5, v[2:3]
	v_add_nc_u32_e32 v9, v8, v9
	v_min_i32_e32 v5, s0, v7
	v_add_nc_u32_e32 v7, 0x78, v1
	v_mul_lo_u32 v82, v4, s4
	v_mad_u64_u32 v[55:56], null, 0x84, v4, v[2:3]
	v_mad_u64_u32 v[56:57], null, 0x84, v5, v[2:3]
	v_min_i32_e32 v4, s0, v7
	v_ashrrev_i32_e32 v7, 4, v9
	v_lshl_add_u32 v9, v1, 1, v66
	v_and_b32_e32 v84, 1, v0
	v_mul_lo_u32 v83, v5, s4
	v_mul_lo_u32 v85, v4, s4
	v_mad_u64_u32 v[57:58], null, 0x84, v4, v[2:3]
	v_min_i32_e32 v10, s0, v9
	v_add_nc_u32_e32 v4, 16, v9
	v_lshlrev_b32_e32 v5, 2, v7
	v_lshlrev_b32_e32 v7, 2, v84
	v_mul_lo_u32 v86, v8, s4
	v_lshrrev_b32_e32 v11, 31, v10
	v_lshlrev_b32_e32 v32, 3, v8
	v_min_i32_e32 v4, s0, v4
	v_add_nc_u32_e32 v8, 32, v9
	v_lshlrev_b32_e32 v67, 2, v3
	v_add3_u32 v31, v5, v7, 0x9380
	v_add_lshl_u32 v7, v10, v11, 1
	v_cmp_lt_u32_e32 vcc_lo, 7, v3
	v_lshrrev_b32_e32 v3, 31, v4
	v_min_i32_e32 v8, s0, v8
	v_add_nc_u32_e32 v11, 48, v9
	v_and_b32_e32 v7, -4, v7
	v_mul_lo_u32 v89, v10, s4
	v_add_lshl_u32 v3, v4, v3, 1
	v_lshrrev_b32_e32 v12, 31, v8
	v_lshlrev_b32_e32 v34, 6, v10
	v_add3_u32 v33, v7, v67, 0x4200
	v_min_i32_e32 v7, s0, v11
	v_and_b32_e32 v3, -4, v3
	v_add_lshl_u32 v10, v8, v12, 1
	v_add_nc_u32_e32 v11, 64, v9
	v_mul_lo_u32 v90, v4, s4
	v_lshlrev_b32_e32 v36, 6, v4
	v_add3_u32 v35, v3, v67, 0x4200
	v_lshrrev_b32_e32 v3, 31, v7
	v_and_b32_e32 v10, -4, v10
	v_min_i32_e32 v4, s0, v11
	v_mul_lo_u32 v91, v8, s4
	v_lshlrev_b32_e32 v38, 6, v8
	v_add_lshl_u32 v3, v7, v3, 1
	v_add3_u32 v37, v10, v67, 0x4200
	v_add_nc_u32_e32 v10, 0x50, v9
	v_lshrrev_b32_e32 v11, 31, v4
	v_mul_lo_u32 v92, v7, s4
	v_and_b32_e32 v3, -4, v3
	v_lshlrev_b32_e32 v40, 6, v7
	v_min_i32_e32 v8, s0, v10
	v_add_lshl_u32 v10, v4, v11, 1
	v_add_nc_u32_e32 v11, 0x60, v9
	v_add3_u32 v39, v3, v67, 0x4200
	v_add_nc_u32_e32 v9, 0x70, v9
	v_lshrrev_b32_e32 v3, 31, v8
	v_and_b32_e32 v7, -4, v10
	v_min_i32_e32 v10, s0, v11
	v_lshrrev_b32_e32 v94, 3, v0
	v_min_i32_e32 v9, s0, v9
	v_add_lshl_u32 v3, v8, v3, 1
	v_add3_u32 v41, v7, v67, 0x4200
	v_lshrrev_b32_e32 v7, 31, v10
	v_mul_lo_u32 v93, v4, s4
	v_lshlrev_b32_e32 v61, 6, v4
	v_and_b32_e32 v3, -4, v3
	v_lshl_add_u32 v21, v1, 2, v94
	v_add_lshl_u32 v4, v10, v7, 1
	v_lshrrev_b32_e32 v7, 31, v9
	v_cndmask_b32_e64 v87, 0, 1, vcc_lo
	v_add3_u32 v62, v3, v67, 0x4200
	v_min_i32_e32 v58, s0, v21
	v_and_b32_e32 v3, -4, v4
	v_add_lshl_u32 v4, v9, v7, 1
	v_mul_lo_u32 v95, v8, s4
	v_lshlrev_b32_e32 v63, 6, v8
	v_ashrrev_i32_e32 v7, 31, v58
	v_add3_u32 v64, v3, v67, 0x4200
	v_and_b32_e32 v4, -4, v4
	v_and_b32_e32 v3, 3, v0
	v_add_nc_u32_e32 v8, 32, v21
	v_lshrrev_b32_e32 v7, 30, v7
	v_and_b32_e32 v5, 7, v0
	v_add3_u32 v147, v4, v67, 0x4200
	v_add_nc_u16 v4, v3, -2
	v_cmp_gt_u32_e32 vcc_lo, 2, v3
	v_mul_lo_u32 v97, v9, s4
	v_lshlrev_b32_e32 v148, 6, v9
	v_mov_b32_e32 v9, 2
	v_add_nc_u32_e32 v7, v58, v7
	v_cndmask_b32_e32 v4, v4, v3, vcc_lo
	v_min_i32_e32 v59, s0, v8
	v_lshlrev_b32_e32 v88, 2, v5
	v_cmp_lt_u32_e32 vcc_lo, 3, v5
	v_and_b32_e32 v5, -4, v7
	v_lshlrev_b32_sdwa v101, v9, v4 dst_sel:DWORD dst_unused:UNUSED_PAD src0_sel:DWORD src1_sel:BYTE_0
	v_ashrrev_i32_e32 v7, 31, v59
	v_add_nc_u32_e32 v19, 64, v21
	v_add_nc_u32_e32 v9, 8, v65
	;; [unrolled: 1-line block ×8, first 2 shown]
	s_add_i32 s1, s10, -1
	v_mul_lo_u32 v96, v10, s4
	v_lshlrev_b32_e32 v146, 6, v10
	v_add3_u32 v149, v5, v88, 0x8300
	v_lshrrev_b32_e32 v60, 30, v7
	v_cvt_f64_i32_e32 v[4:5], s1
	v_cvt_f64_u32_e32 v[7:8], v65
	v_cvt_f64_u32_e32 v[9:10], v9
	;; [unrolled: 1-line block ×6, first 2 shown]
	v_min_i32_e32 v106, s0, v19
	v_cvt_f64_u32_e32 v[19:20], v20
	v_add_nc_u32_e32 v104, 0x60, v21
	v_cvt_f64_u32_e32 v[21:22], v22
	v_mul_lo_u32 v103, v58, s4
	v_add_nc_u32_e32 v60, v59, v60
	v_ashrrev_i32_e32 v105, 31, v106
	v_lshlrev_b32_e32 v150, 5, v58
	v_min_i32_e32 v58, s0, v104
	v_mul_lo_u32 v104, v59, s4
	v_and_b32_e32 v60, -4, v60
	v_lshrrev_b32_e32 v105, 30, v105
	v_lshlrev_b32_e32 v152, 5, v59
	v_ashrrev_i32_e32 v107, 31, v58
	v_lshlrev_b32_e32 v153, 5, v106
	v_add3_u32 v151, v60, v88, 0x8300
	v_min_f64 v[7:8], v[7:8], v[4:5]
	v_min_f64 v[9:10], v[9:10], v[4:5]
	;; [unrolled: 1-line block ×6, first 2 shown]
	v_add_nc_u32_e32 v60, v106, v105
	v_min_f64 v[19:20], v[19:20], v[4:5]
	v_lshrrev_b32_e32 v105, 30, v107
	v_min_f64 v[4:5], v[21:22], v[4:5]
	v_lshrrev_b32_e32 v21, 2, v0
	v_and_b32_e32 v59, -4, v60
	v_mov_b32_e32 v6, 0
	v_add_nc_u32_e32 v60, v58, v105
	v_mul_lo_u32 v105, v106, s4
	v_lshl_add_u32 v21, v1, 3, v21
	v_add3_u32 v22, v59, v88, 0x8300
	v_mul_lo_u32 v106, v58, s4
	v_and_b32_e32 v59, -4, v60
	v_lshlrev_b32_e32 v102, 1, v3
	v_and_b32_e32 v2, 28, v2
	v_lshlrev_b32_e32 v98, 1, v0
	v_cvt_i32_f64_e32 v7, v[7:8]
	v_cvt_i32_f64_e32 v8, v[9:10]
	;; [unrolled: 1-line block ×6, first 2 shown]
	v_and_b32_e32 v9, 63, v21
	v_cvt_i32_f64_e32 v18, v[19:20]
	v_lshlrev_b32_e32 v17, 2, v3
	v_cvt_i32_f64_e32 v4, v[4:5]
	v_add3_u32 v154, v59, v88, 0x8300
	v_or_b32_e32 v15, s7, v9
	v_lshlrev_b32_e32 v11, 5, v58
	v_lshl_or_b32 v9, v9, 4, v17
	v_and_b32_e32 v13, 31, v0
	v_lshlrev_b32_e32 v110, 7, v1
	v_min_i32_e32 v5, s1, v15
	v_lshlrev_b32_e32 v15, 7, v29
	v_add_nc_u32_e32 v108, 0x97a0, v9
	v_add_nc_u32_e32 v9, 0x60, v0
	v_lshl_or_b32 v107, v13, 2, 0x6300
	v_lshlrev_b32_e32 v13, 7, v27
	v_mul_lo_u32 v109, s11, v7
	v_add_nc_u32_e32 v7, 64, v0
	v_mul_lo_u32 v111, s11, v8
	v_lshlrev_b32_e32 v8, 5, v0
	v_mul_lo_u32 v112, s11, v10
	v_mul_lo_u32 v115, s11, v16
	v_lshrrev_b32_e32 v19, 4, v7
	v_mul_lo_u32 v116, s11, v18
	v_lshrrev_b32_e32 v18, 1, v7
	v_mad_u64_u32 v[58:59], null, v5, s11, v[3:4]
	v_mul_lo_u32 v117, s11, v4
	v_add_nc_u32_e32 v4, 32, v0
	v_lshlrev_b32_e32 v3, 7, v23
	v_lshlrev_b32_e32 v5, 7, v24
	;; [unrolled: 1-line block ×4, first 2 shown]
	v_lshrrev_b32_e32 v16, 1, v4
	v_lshrrev_b32_e32 v17, 4, v4
	v_lshlrev_b32_e32 v120, 6, v4
	v_lshlrev_b32_e32 v121, 3, v4
	v_lshrrev_b32_e32 v126, 3, v4
	v_lshrrev_b32_e32 v127, 3, v7
	v_and_b32_e32 v23, 0xfc, v0
	v_and_b32_e32 v4, 0x1fc, v4
	;; [unrolled: 1-line block ×4, first 2 shown]
	v_mul_lo_u32 v113, s11, v12
	v_lshlrev_b32_e32 v10, 7, v25
	v_mul_lo_u32 v114, s11, v14
	v_lshlrev_b32_e32 v12, 7, v26
	v_lshlrev_b32_e32 v14, 7, v28
	v_lshrrev_b32_e32 v20, 1, v9
	v_lshrrev_b32_e32 v21, 4, v9
	v_lshlrev_b32_e32 v124, 6, v9
	v_lshlrev_b32_e32 v125, 3, v9
	v_lshrrev_b32_e32 v128, 3, v9
	v_mov_b32_e32 v9, v6
	v_add_nc_u32_e32 v129, v8, v23
	v_add_nc_u32_e32 v130, v8, v4
	v_add_nc_u32_e32 v131, v8, v7
	v_add_nc_u32_e32 v132, v8, v24
	v_mov_b32_e32 v7, v6
	v_mov_b32_e32 v8, v6
	v_add_co_u32 v59, s0, s2, v2
	v_add_nc_u32_e32 v137, 0x97a0, v30
	v_add_nc_u32_e32 v139, v31, v32
	;; [unrolled: 1-line block ×15, first 2 shown]
	v_lshlrev_b32_e32 v159, 2, v16
	v_lshlrev_b32_e32 v160, 2, v17
	;; [unrolled: 1-line block ×6, first 2 shown]
	v_mov_b32_e32 v21, v9
	v_mov_b32_e32 v33, v9
	;; [unrolled: 1-line block ×7, first 2 shown]
	v_cndmask_b32_e64 v99, 0, 1, vcc_lo
	v_and_b32_e32 v100, 4, v98
	v_mul_u32_u24_e32 v118, 0x84, v0
	v_lshlrev_b32_e32 v119, 6, v0
	v_add_co_ci_u32_e64 v60, null, s3, 0, s0
	v_add_nc_u32_e32 v133, 0x8300, v129
	v_add_nc_u32_e32 v134, 0x8700, v130
	;; [unrolled: 1-line block ×11, first 2 shown]
	v_mov_b32_e32 v20, v8
	v_mov_b32_e32 v19, v7
	;; [unrolled: 1-line block ×21, first 2 shown]
	s_mov_b32 s9, 0
	s_branch .LBB170_6
.LBB170_5:                              ;   in Loop: Header=BB170_6 Depth=1
	s_add_i32 s9, s9, 2
	s_cmp_ge_i32 s9, s4
	s_cbranch_scc1 .LBB170_16
.LBB170_6:                              ; =>This Loop Header: Depth=1
                                        ;     Child Loop BB170_7 Depth 2
                                        ;     Child Loop BB170_9 Depth 2
	;; [unrolled: 1-line block ×4, first 2 shown]
	s_mul_i32 s0, s9, 0x6e
	s_mul_hi_u32 s1, s9, 0x6e
	s_add_u32 s0, s5, s0
	s_addc_u32 s1, s8, s1
	s_lshl_b32 s11, s9, 3
	v_mad_u64_u32 v[61:62], null, 0x6e, v66, s[0:1]
	v_mad_u64_u32 v[177:178], null, 0x6e, v87, s[0:1]
	v_mad_i64_i32 v[179:180], null, 0x6e, v86, s[0:1]
	v_add_nc_u32_e32 v183, s11, v94
	s_mov_b32 s16, -2
	v_mad_i64_i32 v[34:35], null, 0x6e, v68, v[61:62]
	v_mad_i64_i32 v[36:37], null, 0x6e, v69, v[61:62]
	;; [unrolled: 1-line block ×4, first 2 shown]
	v_add_co_u32 v34, vcc_lo, v34, v67
	v_mad_i64_i32 v[63:64], null, 0x6e, v72, v[61:62]
	v_add_co_ci_u32_e64 v35, null, 0, v35, vcc_lo
	v_add_co_u32 v36, vcc_lo, v36, v67
	v_mad_i64_i32 v[165:166], null, 0x6e, v73, v[61:62]
	v_add_co_ci_u32_e64 v37, null, 0, v37, vcc_lo
	;; [unrolled: 3-line block ×4, first 2 shown]
	v_add_co_u32 v63, vcc_lo, v63, v67
	v_add_co_ci_u32_e64 v64, null, 0, v64, vcc_lo
	v_add_co_u32 v165, vcc_lo, v165, v67
	v_add_co_ci_u32_e64 v166, null, 0, v166, vcc_lo
	v_add_co_u32 v167, vcc_lo, v167, v67
	v_mad_i64_i32 v[171:172], null, 0x6e, v77, v[61:62]
	v_add_co_ci_u32_e64 v168, null, 0, v168, vcc_lo
	v_add_co_u32 v169, vcc_lo, v169, v67
	v_add_co_ci_u32_e64 v170, null, 0, v170, vcc_lo
	s_clause 0x7
	global_load_dword v34, v[34:35], off offset:32
	global_load_dword v35, v[36:37], off offset:32
	;; [unrolled: 1-line block ×8, first 2 shown]
	v_mad_i64_i32 v[63:64], null, 0x6e, v78, v[61:62]
	v_mad_i64_i32 v[167:168], null, 0x6e, v79, v[61:62]
	v_add_co_u32 v165, vcc_lo, v171, v67
	v_mad_i64_i32 v[169:170], null, 0x6e, v80, v[61:62]
	v_add_co_ci_u32_e64 v166, null, 0, v172, vcc_lo
	v_mad_i64_i32 v[171:172], null, 0x6e, v81, v[61:62]
	v_add_co_u32 v63, vcc_lo, v63, v67
	v_mad_i64_i32 v[173:174], null, 0x6e, v82, v[61:62]
	v_add_co_ci_u32_e64 v64, null, 0, v64, vcc_lo
	v_add_co_u32 v167, vcc_lo, v167, v67
	v_mad_i64_i32 v[175:176], null, 0x6e, v83, v[61:62]
	v_add_co_ci_u32_e64 v168, null, 0, v168, vcc_lo
	;; [unrolled: 3-line block ×3, first 2 shown]
	v_add_co_u32 v171, vcc_lo, v171, v67
	v_add_co_ci_u32_e64 v172, null, 0, v172, vcc_lo
	v_add_co_u32 v173, vcc_lo, v173, v67
	v_add_co_ci_u32_e64 v174, null, 0, v174, vcc_lo
	;; [unrolled: 2-line block ×5, first 2 shown]
	s_clause 0x7
	global_load_dword v185, v[165:166], off offset:32
	global_load_dword v186, v[63:64], off offset:32
	;; [unrolled: 1-line block ×8, first 2 shown]
	v_mad_u64_u32 v[61:62], null, 0x6e, v84, v[179:180]
	v_mad_i64_i32 v[63:64], null, 0x6e, v89, v[177:178]
	v_mad_i64_i32 v[165:166], null, 0x6e, v90, v[177:178]
	;; [unrolled: 1-line block ×7, first 2 shown]
	s_clause 0x7
	global_load_ushort v193, v[61:62], off offset:108
	global_load_dword v194, v[63:64], off
	global_load_dword v195, v[165:166], off
	;; [unrolled: 1-line block ×7, first 2 shown]
	v_add_nc_u32_e32 v168, s11, v58
	v_add_nc_u32_e32 v165, v183, v109
	;; [unrolled: 1-line block ×4, first 2 shown]
	v_mad_u64_u32 v[179:180], null, 0x6e, v99, s[0:1]
	v_add_nc_u32_e32 v173, v183, v113
	v_mad_i64_i32 v[61:62], null, 0x6e, v97, v[177:178]
	v_add_nc_u32_e32 v177, v183, v114
	v_mad_u64_u32 v[175:176], null, v168, 36, s[2:3]
	v_mad_i64_i32 v[165:166], null, v165, 36, v[59:60]
	v_add_nc_u32_e32 v181, v183, v115
	v_mad_i64_i32 v[169:170], null, v169, 36, v[59:60]
	v_add_nc_u32_e32 v184, v183, v116
	;; [unrolled: 2-line block ×3, first 2 shown]
	v_mad_i64_i32 v[173:174], null, v173, 36, v[59:60]
	v_mad_i64_i32 v[177:178], null, v177, 36, v[59:60]
	;; [unrolled: 1-line block ×5, first 2 shown]
	global_load_dword v201, v[175:176], off
	v_mad_i64_i32 v[175:176], null, v200, 36, v[59:60]
	s_clause 0x7
	global_load_dword v200, v[165:166], off offset:4
	global_load_dword v202, v[169:170], off offset:4
	;; [unrolled: 1-line block ×8, first 2 shown]
	v_mad_i64_i32 v[165:166], null, 0x6e, v104, v[179:180]
	v_mad_i64_i32 v[171:172], null, 0x6e, v105, v[179:180]
	;; [unrolled: 1-line block ×3, first 2 shown]
	v_add_co_u32 v169, vcc_lo, v63, v101
	v_add_co_ci_u32_e64 v170, null, 0, v64, vcc_lo
	v_add_co_u32 v175, vcc_lo, v165, v101
	v_add_co_ci_u32_e64 v176, null, 0, v166, vcc_lo
	;; [unrolled: 2-line block ×4, first 2 shown]
	s_clause 0x8
	global_load_dword v61, v[61:62], off
	global_load_dword v62, v[169:170], off offset:96
	global_load_dword v173, v[173:174], off offset:104
	global_load_dword v172, v[171:172], off offset:104
	global_load_dword v165, v[165:166], off offset:104
	global_load_dword v63, v[63:64], off offset:104
	global_load_dword v64, v[175:176], off offset:96
	global_load_dword v166, v[177:178], off offset:96
	global_load_dword v174, v[179:180], off offset:96
	v_add_nc_u32_e32 v169, v107, v110
	v_mov_b32_e32 v170, v138
	v_mov_b32_e32 v171, v137
	s_mov_b32 s0, 0
	s_mov_b32 s1, 0
	s_waitcnt vmcnt(25)
	v_cvt_f32_f16_e32 v176, v193
	s_waitcnt vmcnt(17)
	v_cvt_f32_f16_e32 v175, v201
	s_waitcnt vmcnt(16)
	ds_write_b32 v169, v200
	s_waitcnt vmcnt(15)
	ds_write_b32 v152, v202
	;; [unrolled: 2-line block ×8, first 2 shown]
	ds_write_b32 v108, v175
	ds_write_b32 v42, v34
	;; [unrolled: 1-line block ×18, first 2 shown]
	v_not_b32_e32 v34, v194
	v_not_b32_e32 v35, v195
	;; [unrolled: 1-line block ×5, first 2 shown]
	ds_write_b32 v140, v34
	ds_write_b32 v141, v35
	ds_write_b32 v142, v36
	ds_write_b32 v143, v37
	ds_write_b32 v144, v38
	v_not_b32_e32 v39, v198
	v_not_b32_e32 v40, v199
	ds_write_b32 v145, v39
	ds_write_b32 v146, v40
	s_waitcnt vmcnt(8)
	v_not_b32_e32 v41, v61
	s_waitcnt vmcnt(7)
	v_ashrrev_i32_e32 v61, v100, v62
	s_waitcnt vmcnt(3)
	v_ashrrev_i32_e32 v62, v102, v63
	;; [unrolled: 2-line block ×3, first 2 shown]
	v_ashrrev_i32_e32 v64, v102, v165
	s_waitcnt vmcnt(1)
	v_ashrrev_i32_e32 v165, v100, v166
	v_ashrrev_i32_e32 v166, v102, v172
	s_waitcnt vmcnt(0)
	v_ashrrev_i32_e32 v167, v100, v174
	v_ashrrev_i32_e32 v172, v102, v173
	v_and_b32_e32 v34, 0xf0f0f0f, v61
	v_lshlrev_b32_e32 v35, 4, v62
	v_and_b32_e32 v36, 0xf0f0f0f, v63
	v_lshlrev_b32_e32 v37, 4, v64
	;; [unrolled: 2-line block ×4, first 2 shown]
	v_and_or_b32 v34, 0x30303030, v35, v34
	v_and_or_b32 v35, 0x30303030, v37, v36
	v_and_or_b32 v36, 0x30303030, v61, v38
	v_and_or_b32 v37, 0x30303030, v63, v62
	v_lshrrev_b32_e32 v38, 16, v34
	v_and_b32_e32 v39, 0x3f00, v34
	v_lshlrev_b16 v34, 8, v34
	v_lshrrev_b32_e32 v61, 16, v35
	v_lshrrev_b32_e32 v63, 16, v36
	v_and_b32_e32 v62, 0x3f00, v35
	v_lshlrev_b16 v35, 8, v35
	v_lshrrev_b32_e32 v165, 16, v37
	v_and_b32_e32 v167, 0x3f00, v38
	v_lshlrev_b16 v38, 8, v38
	v_add_nc_u16 v34, 0xe000, v34
	v_and_b32_e32 v172, 0x3f00, v61
	v_lshlrev_b16 v61, 8, v61
	v_and_b32_e32 v173, 0x3f00, v63
	v_lshlrev_b16 v63, 8, v63
	v_add_nc_u16 v35, 0xe000, v35
	v_and_b32_e32 v174, 0x3f00, v165
	v_lshlrev_b16 v165, 8, v165
	v_add_nc_u16 v38, 0xe000, v38
	v_or_b32_sdwa v34, v39, v34 dst_sel:DWORD dst_unused:UNUSED_PAD src0_sel:DWORD src1_sel:BYTE_1
	v_add_nc_u16 v39, 0xe000, v61
	v_and_b32_e32 v64, 0x3f00, v36
	v_lshlrev_b16 v36, 8, v36
	v_add_nc_u16 v61, 0xe000, v63
	v_and_b32_e32 v166, 0x3f00, v37
	v_lshlrev_b16 v37, 8, v37
	v_or_b32_sdwa v35, v62, v35 dst_sel:DWORD dst_unused:UNUSED_PAD src0_sel:DWORD src1_sel:BYTE_1
	v_add_nc_u16 v62, 0xe000, v165
	v_or_b32_sdwa v38, v167, v38 dst_sel:DWORD dst_unused:UNUSED_PAD src0_sel:DWORD src1_sel:BYTE_1
	v_or_b32_sdwa v39, v172, v39 dst_sel:DWORD dst_unused:UNUSED_PAD src0_sel:DWORD src1_sel:BYTE_1
	v_add_nc_u16 v36, 0xe000, v36
	v_or_b32_sdwa v61, v173, v61 dst_sel:DWORD dst_unused:UNUSED_PAD src0_sel:DWORD src1_sel:BYTE_1
	v_add_nc_u16 v37, 0xe000, v37
	;; [unrolled: 2-line block ×3, first 2 shown]
	v_add_nc_u16 v39, 0xe000, v39
	v_or_b32_sdwa v36, v64, v36 dst_sel:DWORD dst_unused:UNUSED_PAD src0_sel:DWORD src1_sel:BYTE_1
	v_add_nc_u16 v61, 0xe000, v61
	v_or_b32_sdwa v37, v166, v37 dst_sel:DWORD dst_unused:UNUSED_PAD src0_sel:DWORD src1_sel:BYTE_1
	v_add_nc_u16 v62, 0xe000, v62
	v_add_nc_u16 v34, 0xe000, v34
	v_lshlrev_b32_e32 v38, 16, v38
	v_add_nc_u16 v35, 0xe000, v35
	v_lshlrev_b32_e32 v39, 16, v39
	;; [unrolled: 2-line block ×4, first 2 shown]
	v_or_b32_sdwa v34, v34, v38 dst_sel:DWORD dst_unused:UNUSED_PAD src0_sel:WORD_0 src1_sel:DWORD
	v_or_b32_sdwa v35, v35, v39 dst_sel:DWORD dst_unused:UNUSED_PAD src0_sel:WORD_0 src1_sel:DWORD
	;; [unrolled: 1-line block ×4, first 2 shown]
	ds_write_b32 v147, v41
	ds_write_b32 v148, v34
	;; [unrolled: 1-line block ×5, first 2 shown]
	s_waitcnt lgkmcnt(0)
	s_barrier
	buffer_gl0_inv
.LBB170_7:                              ;   Parent Loop BB170_6 Depth=1
                                        ; =>  This Inner Loop Header: Depth=2
	s_add_i32 s15, s16, 2
	v_lshlrev_b32_e32 v165, 2, v76
	s_lshr_b32 s17, s15, 4
	s_and_b32 s18, s15, 0x3ffffff8
	ds_read2_b32 v[61:62], v171 offset1:32
	ds_read_b128 v[38:41], v170
	ds_read_b128 v[34:37], v170 offset:16
	v_lshl_add_u32 v181, s18, 2, v118
	s_lshl_b32 s18, s17, 5
	s_lshl_b32 s17, s17, 2
	s_addk_i32 s18, 0x4200
	s_add_i32 s17, s17, 0x9380
	v_add3_u32 v178, s18, v165, v119
	ds_read2_b32 v[63:64], v181 offset1:1
	v_add3_u32 v188, s18, v159, v120
	v_add3_u32 v197, s18, v161, v122
	v_mov_b32_e32 v213, 0
	ds_read2_b32 v[166:167], v178 offset1:1
	v_mov_b32_e32 v214, 0
	v_mov_b32_e32 v208, 0
	v_mov_b32_e32 v210, 0
	v_mov_b32_e32 v215, 0
	v_mov_b32_e32 v217, 0
	v_mov_b32_e32 v233, 0
	v_mov_b32_e32 v238, 0
	v_mov_b32_e32 v228, 0
	v_mov_b32_e32 v227, 0
	v_mov_b32_e32 v226, 0
	v_mov_b32_e32 v225, 0
	v_mov_b32_e32 v222, 0
	v_mov_b32_e32 v236, 0
	v_mov_b32_e32 v235, 0
	v_mov_b32_e32 v231, 0
	s_waitcnt lgkmcnt(1)
	v_ashrrev_i32_e32 v63, s15, v63
	v_mov_b32_e32 v232, 0
	v_mov_b32_e32 v229, 0
	;; [unrolled: 1-line block ×3, first 2 shown]
	s_waitcnt lgkmcnt(0)
	v_ashrrev_i32_e32 v166, s0, v166
	v_and_b32_e32 v172, 0x3030303, v63
	v_bfe_u32 v63, v63, 24, 2
	v_ashrrev_i32_e32 v167, s0, v167
	v_mov_b32_e32 v223, 0
	v_lshlrev_b32_e32 v166, 2, v166
	v_lshrrev_b16 v174, 8, v172
	v_lshrrev_b32_e32 v173, 16, v172
	v_lshlrev_b32_e32 v167, 2, v167
	v_mov_b32_e32 v224, 0
	v_and_b32_e32 v166, 0x4040404, v166
	s_and_b32 s19, s1, -16
	v_mov_b32_e32 v234, 0
	v_and_b32_e32 v167, 0x4040404, v167
	s_add_i32 s16, s16, s19
	v_lshrrev_b16 v177, 8, v166
	v_lshrrev_b32_e32 v175, 16, v166
	v_lshrrev_b32_e32 v176, 24, v166
	v_sub_nc_u16 v166, v172, v166
	v_add_nc_u32_e32 v211, s16, v133
	v_sub_nc_u16 v172, v174, v177
	v_lshrrev_b32_e32 v174, 16, v167
	v_sub_nc_u16 v63, v63, v176
	v_lshrrev_b16 v176, 8, v167
	v_add_nc_u32_e32 v209, s16, v134
	v_lshlrev_b16 v172, 8, v172
	v_mov_b32_e32 v237, 0
	v_lshlrev_b16 v63, 8, v63
	v_add_nc_u32_e32 v216, s16, v135
	v_mov_b32_e32 v239, 0
	v_or_b32_sdwa v166, v166, v172 dst_sel:DWORD dst_unused:UNUSED_PAD src0_sel:BYTE_0 src1_sel:DWORD
	v_sub_nc_u16 v172, v173, v175
	v_lshrrev_b32_e32 v175, 24, v167
	v_mov_b32_e32 v240, 0
	v_mov_b32_e32 v241, 0
	s_add_i32 s1, s1, 2
	v_or_b32_sdwa v63, v172, v63 dst_sel:WORD_1 dst_unused:UNUSED_PAD src0_sel:BYTE_0 src1_sel:DWORD
	v_or_b32_sdwa v172, v166, v63 dst_sel:DWORD dst_unused:UNUSED_PAD src0_sel:WORD_0 src1_sel:DWORD
	v_ashrrev_i32_e32 v63, s15, v64
	v_dot4c_i32_i8 v213, v172, v38
	v_and_b32_e32 v64, 0x3030303, v63
	v_bfe_u32 v63, v63, 24, 2
	v_lshrrev_b16 v173, 8, v64
	v_lshrrev_b32_e32 v166, 16, v64
	v_sub_nc_u16 v64, v64, v167
	v_sub_nc_u16 v63, v63, v175
	v_sub_nc_u16 v167, v173, v176
	v_sub_nc_u16 v166, v166, v174
	v_lshlrev_b16 v63, 8, v63
	v_lshlrev_b16 v167, 8, v167
	v_or_b32_sdwa v63, v166, v63 dst_sel:WORD_1 dst_unused:UNUSED_PAD src0_sel:BYTE_0 src1_sel:DWORD
	v_or_b32_sdwa v64, v64, v167 dst_sel:DWORD dst_unused:UNUSED_PAD src0_sel:BYTE_0 src1_sel:DWORD
	ds_read2_b32 v[166:167], v178 offset0:2 offset1:3
	v_or_b32_sdwa v173, v64, v63 dst_sel:DWORD dst_unused:UNUSED_PAD src0_sel:WORD_0 src1_sel:DWORD
	ds_read2_b32 v[63:64], v181 offset0:2 offset1:3
	v_dot4c_i32_i8 v213, v173, v39
	s_waitcnt lgkmcnt(1)
	v_ashrrev_i32_e32 v166, s0, v166
	v_ashrrev_i32_e32 v167, s0, v167
	s_waitcnt lgkmcnt(0)
	v_ashrrev_i32_e32 v63, s15, v63
	v_lshlrev_b32_e32 v166, 2, v166
	v_lshlrev_b32_e32 v167, 2, v167
	v_and_b32_e32 v174, 0x3030303, v63
	v_and_b32_e32 v166, 0x4040404, v166
	v_bfe_u32 v63, v63, 24, 2
	v_and_b32_e32 v167, 0x4040404, v167
	v_lshrrev_b16 v176, 8, v174
	v_lshrrev_b16 v180, 8, v166
	v_lshrrev_b32_e32 v175, 16, v174
	v_lshrrev_b32_e32 v177, 16, v166
	;; [unrolled: 1-line block ×3, first 2 shown]
	v_sub_nc_u16 v166, v174, v166
	v_sub_nc_u16 v174, v176, v180
	v_lshrrev_b32_e32 v176, 16, v167
	v_sub_nc_u16 v63, v63, v179
	v_lshrrev_b16 v179, 8, v167
	v_lshlrev_b16 v174, 8, v174
	v_lshlrev_b16 v63, 8, v63
	v_or_b32_sdwa v166, v166, v174 dst_sel:DWORD dst_unused:UNUSED_PAD src0_sel:BYTE_0 src1_sel:DWORD
	v_sub_nc_u16 v174, v175, v177
	v_lshrrev_b32_e32 v177, 24, v167
	v_or_b32_sdwa v63, v174, v63 dst_sel:WORD_1 dst_unused:UNUSED_PAD src0_sel:BYTE_0 src1_sel:DWORD
	v_or_b32_sdwa v174, v166, v63 dst_sel:DWORD dst_unused:UNUSED_PAD src0_sel:WORD_0 src1_sel:DWORD
	v_ashrrev_i32_e32 v63, s15, v64
	v_dot4c_i32_i8 v213, v174, v40
	v_and_b32_e32 v64, 0x3030303, v63
	v_bfe_u32 v63, v63, 24, 2
	v_lshrrev_b16 v175, 8, v64
	v_lshrrev_b32_e32 v166, 16, v64
	v_sub_nc_u16 v64, v64, v167
	v_sub_nc_u16 v63, v63, v177
	;; [unrolled: 1-line block ×4, first 2 shown]
	v_lshlrev_b16 v63, 8, v63
	v_lshlrev_b16 v167, 8, v167
	v_or_b32_sdwa v63, v166, v63 dst_sel:WORD_1 dst_unused:UNUSED_PAD src0_sel:BYTE_0 src1_sel:DWORD
	v_or_b32_sdwa v64, v64, v167 dst_sel:DWORD dst_unused:UNUSED_PAD src0_sel:BYTE_0 src1_sel:DWORD
	ds_read2_b32 v[166:167], v178 offset0:4 offset1:5
	v_or_b32_sdwa v175, v64, v63 dst_sel:DWORD dst_unused:UNUSED_PAD src0_sel:WORD_0 src1_sel:DWORD
	ds_read2_b32 v[63:64], v181 offset0:4 offset1:5
	v_dot4c_i32_i8 v213, v175, v41
	s_waitcnt lgkmcnt(1)
	v_ashrrev_i32_e32 v166, s0, v166
	v_ashrrev_i32_e32 v167, s0, v167
	s_waitcnt lgkmcnt(0)
	v_ashrrev_i32_e32 v63, s15, v63
	v_lshlrev_b32_e32 v166, 2, v166
	v_lshlrev_b32_e32 v167, 2, v167
	v_and_b32_e32 v176, 0x3030303, v63
	v_and_b32_e32 v166, 0x4040404, v166
	v_bfe_u32 v63, v63, 24, 2
	v_and_b32_e32 v167, 0x4040404, v167
	v_lshrrev_b16 v179, 8, v176
	v_lshrrev_b16 v183, 8, v166
	v_lshrrev_b32_e32 v177, 16, v176
	v_lshrrev_b32_e32 v180, 16, v166
	;; [unrolled: 1-line block ×3, first 2 shown]
	v_sub_nc_u16 v166, v176, v166
	v_sub_nc_u16 v176, v179, v183
	v_lshrrev_b32_e32 v179, 16, v167
	v_sub_nc_u16 v63, v63, v182
	v_lshrrev_b16 v182, 8, v167
	v_lshlrev_b16 v176, 8, v176
	v_lshlrev_b16 v63, 8, v63
	v_or_b32_sdwa v166, v166, v176 dst_sel:DWORD dst_unused:UNUSED_PAD src0_sel:BYTE_0 src1_sel:DWORD
	v_sub_nc_u16 v176, v177, v180
	v_lshrrev_b32_e32 v180, 24, v167
	v_or_b32_sdwa v63, v176, v63 dst_sel:WORD_1 dst_unused:UNUSED_PAD src0_sel:BYTE_0 src1_sel:DWORD
	v_or_b32_sdwa v176, v166, v63 dst_sel:DWORD dst_unused:UNUSED_PAD src0_sel:WORD_0 src1_sel:DWORD
	v_ashrrev_i32_e32 v63, s15, v64
	v_dot4c_i32_i8 v214, v176, v34
	v_and_b32_e32 v64, 0x3030303, v63
	v_bfe_u32 v63, v63, 24, 2
	v_lshrrev_b16 v177, 8, v64
	v_lshrrev_b32_e32 v166, 16, v64
	v_sub_nc_u16 v64, v64, v167
	v_sub_nc_u16 v63, v63, v180
	;; [unrolled: 1-line block ×4, first 2 shown]
	v_lshlrev_b16 v63, 8, v63
	v_lshlrev_b16 v167, 8, v167
	v_or_b32_sdwa v63, v166, v63 dst_sel:WORD_1 dst_unused:UNUSED_PAD src0_sel:BYTE_0 src1_sel:DWORD
	v_or_b32_sdwa v64, v64, v167 dst_sel:DWORD dst_unused:UNUSED_PAD src0_sel:BYTE_0 src1_sel:DWORD
	ds_read2_b32 v[166:167], v178 offset0:6 offset1:7
	v_or_b32_sdwa v177, v64, v63 dst_sel:DWORD dst_unused:UNUSED_PAD src0_sel:WORD_0 src1_sel:DWORD
	ds_read2_b32 v[63:64], v181 offset0:6 offset1:7
	v_dot4c_i32_i8 v214, v177, v35
	s_waitcnt lgkmcnt(1)
	v_ashrrev_i32_e32 v166, s0, v166
	v_ashrrev_i32_e32 v167, s0, v167
	s_waitcnt lgkmcnt(0)
	v_ashrrev_i32_e32 v63, s15, v63
	v_lshlrev_b32_e32 v166, 2, v166
	v_lshlrev_b32_e32 v167, 2, v167
	v_and_b32_e32 v179, 0x3030303, v63
	v_bfe_u32 v63, v63, 24, 2
	v_and_b32_e32 v166, 0x4040404, v166
	v_and_b32_e32 v167, 0x4040404, v167
	v_lshrrev_b16 v182, 8, v179
	v_lshrrev_b32_e32 v180, 16, v179
	v_lshrrev_b32_e32 v183, 24, v166
	v_lshrrev_b16 v184, 8, v166
	v_lshrrev_b32_e32 v178, 16, v166
	v_sub_nc_u16 v166, v179, v166
	v_sub_nc_u16 v63, v63, v183
	;; [unrolled: 1-line block ×4, first 2 shown]
	v_lshrrev_b32_e32 v182, 24, v167
	v_lshrrev_b16 v183, 8, v167
	v_lshlrev_b16 v63, 8, v63
	v_lshlrev_b16 v179, 8, v179
	v_lshrrev_b32_e32 v180, 16, v167
	v_or_b32_sdwa v63, v178, v63 dst_sel:WORD_1 dst_unused:UNUSED_PAD src0_sel:BYTE_0 src1_sel:DWORD
	v_or_b32_sdwa v166, v166, v179 dst_sel:DWORD dst_unused:UNUSED_PAD src0_sel:BYTE_0 src1_sel:DWORD
	v_or_b32_sdwa v178, v166, v63 dst_sel:DWORD dst_unused:UNUSED_PAD src0_sel:WORD_0 src1_sel:DWORD
	v_ashrrev_i32_e32 v63, s15, v64
	v_dot4c_i32_i8 v214, v178, v36
	v_and_b32_e32 v64, 0x3030303, v63
	v_bfe_u32 v63, v63, 24, 2
	v_lshrrev_b16 v179, 8, v64
	v_lshrrev_b32_e32 v166, 16, v64
	v_sub_nc_u16 v64, v64, v167
	v_sub_nc_u16 v63, v63, v182
	;; [unrolled: 1-line block ×4, first 2 shown]
	ds_read2_b32 v[182:183], v188 offset1:1
	v_lshlrev_b16 v63, 8, v63
	v_lshlrev_b16 v167, 8, v167
	v_or_b32_sdwa v63, v166, v63 dst_sel:WORD_1 dst_unused:UNUSED_PAD src0_sel:BYTE_0 src1_sel:DWORD
	v_lshlrev_b32_e32 v166, 2, v66
	v_or_b32_sdwa v64, v64, v167 dst_sel:DWORD dst_unused:UNUSED_PAD src0_sel:BYTE_0 src1_sel:DWORD
	v_lshlrev_b32_e32 v167, 2, v98
	v_or_b32_sdwa v180, v64, v63 dst_sel:DWORD dst_unused:UNUSED_PAD src0_sel:WORD_0 src1_sel:DWORD
	v_add3_u32 v63, s17, v166, v167
	v_dot4c_i32_i8 v214, v180, v37
	ds_read_b32 v179, v63
	v_add_nc_u32_e32 v63, 0x1080, v181
	s_waitcnt lgkmcnt(1)
	v_ashrrev_i32_e32 v182, s0, v182
	v_ashrrev_i32_e32 v183, s0, v183
	ds_read2_b32 v[63:64], v63 offset1:1
	v_lshlrev_b32_e32 v182, 2, v182
	v_lshlrev_b32_e32 v183, 2, v183
	v_and_b32_e32 v182, 0x4040404, v182
	v_and_b32_e32 v183, 0x4040404, v183
	v_lshrrev_b16 v190, 8, v182
	v_lshrrev_b32_e32 v187, 16, v182
	v_lshrrev_b32_e32 v189, 24, v182
	s_waitcnt lgkmcnt(0)
	v_ashrrev_i32_e32 v63, s15, v63
	v_and_b32_e32 v184, 0x3030303, v63
	v_bfe_u32 v63, v63, 24, 2
	v_lshrrev_b16 v186, 8, v184
	v_lshrrev_b32_e32 v185, 16, v184
	v_sub_nc_u16 v182, v184, v182
	v_sub_nc_u16 v63, v63, v189
	v_lshrrev_b16 v189, 8, v183
	v_sub_nc_u16 v184, v186, v190
	v_lshrrev_b32_e32 v186, 16, v183
	v_lshlrev_b16 v63, 8, v63
	v_lshlrev_b16 v184, 8, v184
	v_or_b32_sdwa v182, v182, v184 dst_sel:DWORD dst_unused:UNUSED_PAD src0_sel:BYTE_0 src1_sel:DWORD
	v_sub_nc_u16 v184, v185, v187
	v_lshrrev_b32_e32 v187, 24, v183
	v_or_b32_sdwa v63, v184, v63 dst_sel:WORD_1 dst_unused:UNUSED_PAD src0_sel:BYTE_0 src1_sel:DWORD
	v_or_b32_sdwa v182, v182, v63 dst_sel:DWORD dst_unused:UNUSED_PAD src0_sel:WORD_0 src1_sel:DWORD
	v_ashrrev_i32_e32 v63, s15, v64
	v_dot4c_i32_i8 v208, v182, v38
	v_and_b32_e32 v64, 0x3030303, v63
	v_bfe_u32 v63, v63, 24, 2
	v_lshrrev_b16 v185, 8, v64
	v_lshrrev_b32_e32 v184, 16, v64
	v_sub_nc_u16 v64, v64, v183
	v_sub_nc_u16 v63, v63, v187
	v_sub_nc_u16 v183, v185, v189
	v_lshlrev_b16 v63, 8, v63
	v_lshlrev_b16 v183, 8, v183
	v_or_b32_sdwa v64, v64, v183 dst_sel:DWORD dst_unused:UNUSED_PAD src0_sel:BYTE_0 src1_sel:DWORD
	v_sub_nc_u16 v183, v184, v186
	ds_read2_b32 v[184:185], v188 offset0:2 offset1:3
	v_or_b32_sdwa v63, v183, v63 dst_sel:WORD_1 dst_unused:UNUSED_PAD src0_sel:BYTE_0 src1_sel:DWORD
	v_or_b32_sdwa v183, v64, v63 dst_sel:DWORD dst_unused:UNUSED_PAD src0_sel:WORD_0 src1_sel:DWORD
	v_add_nc_u32_e32 v63, 0x1088, v181
	v_dot4c_i32_i8 v208, v183, v39
	ds_read2_b32 v[63:64], v63 offset1:1
	s_waitcnt lgkmcnt(1)
	v_ashrrev_i32_e32 v184, s0, v184
	v_ashrrev_i32_e32 v185, s0, v185
	v_lshlrev_b32_e32 v184, 2, v184
	v_lshlrev_b32_e32 v185, 2, v185
	v_and_b32_e32 v184, 0x4040404, v184
	v_and_b32_e32 v185, 0x4040404, v185
	s_waitcnt lgkmcnt(0)
	v_ashrrev_i32_e32 v63, s15, v63
	v_lshrrev_b16 v192, 8, v184
	v_lshrrev_b32_e32 v190, 16, v184
	v_lshrrev_b32_e32 v191, 24, v184
	v_and_b32_e32 v186, 0x3030303, v63
	v_bfe_u32 v63, v63, 24, 2
	v_lshrrev_b16 v189, 8, v186
	v_lshrrev_b32_e32 v187, 16, v186
	v_sub_nc_u16 v184, v186, v184
	v_sub_nc_u16 v63, v63, v191
	v_lshrrev_b16 v191, 8, v185
	v_sub_nc_u16 v186, v189, v192
	v_lshrrev_b32_e32 v189, 16, v185
	v_lshlrev_b16 v63, 8, v63
	v_lshlrev_b16 v186, 8, v186
	v_or_b32_sdwa v184, v184, v186 dst_sel:DWORD dst_unused:UNUSED_PAD src0_sel:BYTE_0 src1_sel:DWORD
	v_sub_nc_u16 v186, v187, v190
	v_lshrrev_b32_e32 v190, 24, v185
	v_or_b32_sdwa v63, v186, v63 dst_sel:WORD_1 dst_unused:UNUSED_PAD src0_sel:BYTE_0 src1_sel:DWORD
	v_or_b32_sdwa v184, v184, v63 dst_sel:DWORD dst_unused:UNUSED_PAD src0_sel:WORD_0 src1_sel:DWORD
	v_ashrrev_i32_e32 v63, s15, v64
	v_dot4c_i32_i8 v208, v184, v40
	v_and_b32_e32 v64, 0x3030303, v63
	v_bfe_u32 v63, v63, 24, 2
	v_lshrrev_b16 v187, 8, v64
	v_lshrrev_b32_e32 v186, 16, v64
	v_sub_nc_u16 v64, v64, v185
	v_sub_nc_u16 v63, v63, v190
	v_sub_nc_u16 v185, v187, v191
	v_lshlrev_b16 v63, 8, v63
	v_lshlrev_b16 v185, 8, v185
	v_or_b32_sdwa v64, v64, v185 dst_sel:DWORD dst_unused:UNUSED_PAD src0_sel:BYTE_0 src1_sel:DWORD
	v_sub_nc_u16 v185, v186, v189
	ds_read2_b32 v[186:187], v188 offset0:4 offset1:5
	v_or_b32_sdwa v63, v185, v63 dst_sel:WORD_1 dst_unused:UNUSED_PAD src0_sel:BYTE_0 src1_sel:DWORD
	v_or_b32_sdwa v185, v64, v63 dst_sel:DWORD dst_unused:UNUSED_PAD src0_sel:WORD_0 src1_sel:DWORD
	v_add_nc_u32_e32 v63, 0x1090, v181
	v_dot4c_i32_i8 v208, v185, v41
	ds_read2_b32 v[63:64], v63 offset1:1
	s_waitcnt lgkmcnt(1)
	v_ashrrev_i32_e32 v186, s0, v186
	v_ashrrev_i32_e32 v187, s0, v187
	v_lshlrev_b32_e32 v186, 2, v186
	v_lshlrev_b32_e32 v187, 2, v187
	v_and_b32_e32 v186, 0x4040404, v186
	v_and_b32_e32 v187, 0x4040404, v187
	s_waitcnt lgkmcnt(0)
	v_ashrrev_i32_e32 v63, s15, v63
	v_lshrrev_b16 v194, 8, v186
	v_lshrrev_b32_e32 v192, 16, v186
	v_lshrrev_b32_e32 v193, 24, v186
	;; [unrolled: 47-line block ×3, first 2 shown]
	v_and_b32_e32 v190, 0x3030303, v63
	v_bfe_u32 v63, v63, 24, 2
	v_lshrrev_b16 v192, 8, v190
	v_lshrrev_b32_e32 v191, 16, v190
	v_sub_nc_u16 v188, v190, v188
	v_sub_nc_u16 v63, v63, v194
	v_lshrrev_b16 v194, 8, v189
	v_sub_nc_u16 v190, v192, v195
	v_lshrrev_b32_e32 v192, 16, v189
	v_lshlrev_b16 v63, 8, v63
	v_lshlrev_b16 v190, 8, v190
	v_or_b32_sdwa v188, v188, v190 dst_sel:DWORD dst_unused:UNUSED_PAD src0_sel:BYTE_0 src1_sel:DWORD
	v_sub_nc_u16 v190, v191, v193
	v_lshrrev_b32_e32 v193, 24, v189
	v_or_b32_sdwa v63, v190, v63 dst_sel:WORD_1 dst_unused:UNUSED_PAD src0_sel:BYTE_0 src1_sel:DWORD
	v_or_b32_sdwa v188, v188, v63 dst_sel:DWORD dst_unused:UNUSED_PAD src0_sel:WORD_0 src1_sel:DWORD
	v_ashrrev_i32_e32 v63, s15, v64
	v_dot4c_i32_i8 v210, v188, v36
	v_and_b32_e32 v64, 0x3030303, v63
	v_bfe_u32 v63, v63, 24, 2
	v_lshrrev_b16 v191, 8, v64
	v_lshrrev_b32_e32 v190, 16, v64
	v_sub_nc_u16 v64, v64, v189
	v_sub_nc_u16 v63, v63, v193
	;; [unrolled: 1-line block ×3, first 2 shown]
	v_lshlrev_b16 v63, 8, v63
	v_lshlrev_b16 v189, 8, v189
	v_or_b32_sdwa v64, v64, v189 dst_sel:DWORD dst_unused:UNUSED_PAD src0_sel:BYTE_0 src1_sel:DWORD
	v_sub_nc_u16 v189, v190, v192
	ds_read2_b32 v[191:192], v197 offset1:1
	v_or_b32_sdwa v63, v189, v63 dst_sel:WORD_1 dst_unused:UNUSED_PAD src0_sel:BYTE_0 src1_sel:DWORD
	v_or_b32_sdwa v190, v64, v63 dst_sel:DWORD dst_unused:UNUSED_PAD src0_sel:WORD_0 src1_sel:DWORD
	v_add3_u32 v63, s17, v160, v121
	v_dot4c_i32_i8 v210, v190, v37
	ds_read_b32 v189, v63
	v_add_nc_u32_e32 v63, 0x2100, v181
	s_waitcnt lgkmcnt(1)
	v_ashrrev_i32_e32 v191, s0, v191
	ds_read2_b32 v[63:64], v63 offset1:1
	v_ashrrev_i32_e32 v192, s0, v192
	v_lshlrev_b32_e32 v191, 2, v191
	v_lshlrev_b32_e32 v192, 2, v192
	v_and_b32_e32 v191, 0x4040404, v191
	v_and_b32_e32 v192, 0x4040404, v192
	v_lshrrev_b16 v199, 8, v191
	v_lshrrev_b32_e32 v196, 16, v191
	v_lshrrev_b32_e32 v198, 24, v191
	s_waitcnt lgkmcnt(0)
	v_ashrrev_i32_e32 v63, s15, v63
	v_and_b32_e32 v193, 0x3030303, v63
	v_bfe_u32 v63, v63, 24, 2
	v_lshrrev_b16 v195, 8, v193
	v_lshrrev_b32_e32 v194, 16, v193
	v_sub_nc_u16 v191, v193, v191
	v_sub_nc_u16 v63, v63, v198
	v_lshrrev_b16 v198, 8, v192
	v_sub_nc_u16 v193, v195, v199
	v_lshrrev_b32_e32 v195, 16, v192
	v_lshlrev_b16 v63, 8, v63
	v_lshlrev_b16 v193, 8, v193
	v_or_b32_sdwa v191, v191, v193 dst_sel:DWORD dst_unused:UNUSED_PAD src0_sel:BYTE_0 src1_sel:DWORD
	v_sub_nc_u16 v193, v194, v196
	v_lshrrev_b32_e32 v196, 24, v192
	v_or_b32_sdwa v63, v193, v63 dst_sel:WORD_1 dst_unused:UNUSED_PAD src0_sel:BYTE_0 src1_sel:DWORD
	v_or_b32_sdwa v191, v191, v63 dst_sel:DWORD dst_unused:UNUSED_PAD src0_sel:WORD_0 src1_sel:DWORD
	v_ashrrev_i32_e32 v63, s15, v64
	v_dot4c_i32_i8 v215, v191, v38
	v_and_b32_e32 v64, 0x3030303, v63
	v_bfe_u32 v63, v63, 24, 2
	v_lshrrev_b16 v194, 8, v64
	v_lshrrev_b32_e32 v193, 16, v64
	v_sub_nc_u16 v64, v64, v192
	v_sub_nc_u16 v63, v63, v196
	v_sub_nc_u16 v192, v194, v198
	v_lshlrev_b16 v63, 8, v63
	v_lshlrev_b16 v192, 8, v192
	v_or_b32_sdwa v64, v64, v192 dst_sel:DWORD dst_unused:UNUSED_PAD src0_sel:BYTE_0 src1_sel:DWORD
	v_sub_nc_u16 v192, v193, v195
	ds_read2_b32 v[193:194], v197 offset0:2 offset1:3
	v_or_b32_sdwa v63, v192, v63 dst_sel:WORD_1 dst_unused:UNUSED_PAD src0_sel:BYTE_0 src1_sel:DWORD
	v_or_b32_sdwa v192, v64, v63 dst_sel:DWORD dst_unused:UNUSED_PAD src0_sel:WORD_0 src1_sel:DWORD
	v_add_nc_u32_e32 v63, 0x2108, v181
	v_dot4c_i32_i8 v215, v192, v39
	ds_read2_b32 v[63:64], v63 offset1:1
	s_waitcnt lgkmcnt(1)
	v_ashrrev_i32_e32 v193, s0, v193
	v_ashrrev_i32_e32 v194, s0, v194
	v_lshlrev_b32_e32 v193, 2, v193
	v_lshlrev_b32_e32 v194, 2, v194
	v_and_b32_e32 v193, 0x4040404, v193
	v_and_b32_e32 v194, 0x4040404, v194
	s_waitcnt lgkmcnt(0)
	v_ashrrev_i32_e32 v63, s15, v63
	v_lshrrev_b16 v201, 8, v193
	v_lshrrev_b32_e32 v199, 16, v193
	v_lshrrev_b32_e32 v200, 24, v193
	v_and_b32_e32 v195, 0x3030303, v63
	v_bfe_u32 v63, v63, 24, 2
	v_lshrrev_b16 v198, 8, v195
	v_lshrrev_b32_e32 v196, 16, v195
	v_sub_nc_u16 v193, v195, v193
	v_sub_nc_u16 v63, v63, v200
	v_lshrrev_b16 v200, 8, v194
	v_sub_nc_u16 v195, v198, v201
	v_lshrrev_b32_e32 v198, 16, v194
	v_lshlrev_b16 v63, 8, v63
	v_lshlrev_b16 v195, 8, v195
	v_or_b32_sdwa v193, v193, v195 dst_sel:DWORD dst_unused:UNUSED_PAD src0_sel:BYTE_0 src1_sel:DWORD
	v_sub_nc_u16 v195, v196, v199
	v_lshrrev_b32_e32 v199, 24, v194
	v_or_b32_sdwa v63, v195, v63 dst_sel:WORD_1 dst_unused:UNUSED_PAD src0_sel:BYTE_0 src1_sel:DWORD
	v_or_b32_sdwa v193, v193, v63 dst_sel:DWORD dst_unused:UNUSED_PAD src0_sel:WORD_0 src1_sel:DWORD
	v_ashrrev_i32_e32 v63, s15, v64
	v_dot4c_i32_i8 v215, v193, v40
	v_and_b32_e32 v64, 0x3030303, v63
	v_bfe_u32 v63, v63, 24, 2
	v_lshrrev_b16 v196, 8, v64
	v_lshrrev_b32_e32 v195, 16, v64
	v_sub_nc_u16 v64, v64, v194
	v_sub_nc_u16 v63, v63, v199
	v_sub_nc_u16 v194, v196, v200
	v_lshlrev_b16 v63, 8, v63
	v_lshlrev_b16 v194, 8, v194
	v_or_b32_sdwa v64, v64, v194 dst_sel:DWORD dst_unused:UNUSED_PAD src0_sel:BYTE_0 src1_sel:DWORD
	v_sub_nc_u16 v194, v195, v198
	ds_read2_b32 v[195:196], v197 offset0:4 offset1:5
	v_or_b32_sdwa v63, v194, v63 dst_sel:WORD_1 dst_unused:UNUSED_PAD src0_sel:BYTE_0 src1_sel:DWORD
	v_or_b32_sdwa v194, v64, v63 dst_sel:DWORD dst_unused:UNUSED_PAD src0_sel:WORD_0 src1_sel:DWORD
	v_add_nc_u32_e32 v63, 0x2110, v181
	v_dot4c_i32_i8 v215, v194, v41
	ds_read2_b32 v[63:64], v63 offset1:1
	s_waitcnt lgkmcnt(1)
	v_ashrrev_i32_e32 v195, s0, v195
	v_ashrrev_i32_e32 v196, s0, v196
	v_lshlrev_b32_e32 v195, 2, v195
	v_lshlrev_b32_e32 v196, 2, v196
	v_and_b32_e32 v195, 0x4040404, v195
	v_and_b32_e32 v196, 0x4040404, v196
	s_waitcnt lgkmcnt(0)
	v_ashrrev_i32_e32 v63, s15, v63
	v_lshrrev_b16 v203, 8, v195
	v_lshrrev_b32_e32 v201, 16, v195
	v_lshrrev_b32_e32 v202, 24, v195
	v_and_b32_e32 v198, 0x3030303, v63
	v_bfe_u32 v63, v63, 24, 2
	v_lshrrev_b16 v200, 8, v198
	v_lshrrev_b32_e32 v199, 16, v198
	v_sub_nc_u16 v195, v198, v195
	v_sub_nc_u16 v63, v63, v202
	v_lshrrev_b16 v202, 8, v196
	v_sub_nc_u16 v198, v200, v203
	v_lshrrev_b32_e32 v200, 16, v196
	v_lshlrev_b16 v63, 8, v63
	v_lshlrev_b16 v198, 8, v198
	v_or_b32_sdwa v195, v195, v198 dst_sel:DWORD dst_unused:UNUSED_PAD src0_sel:BYTE_0 src1_sel:DWORD
	v_sub_nc_u16 v198, v199, v201
	v_lshrrev_b32_e32 v201, 24, v196
	v_or_b32_sdwa v63, v198, v63 dst_sel:WORD_1 dst_unused:UNUSED_PAD src0_sel:BYTE_0 src1_sel:DWORD
	v_or_b32_sdwa v195, v195, v63 dst_sel:DWORD dst_unused:UNUSED_PAD src0_sel:WORD_0 src1_sel:DWORD
	v_ashrrev_i32_e32 v63, s15, v64
	v_dot4c_i32_i8 v217, v195, v34
	v_and_b32_e32 v64, 0x3030303, v63
	v_bfe_u32 v63, v63, 24, 2
	v_lshrrev_b16 v199, 8, v64
	v_lshrrev_b32_e32 v198, 16, v64
	v_sub_nc_u16 v64, v64, v196
	v_sub_nc_u16 v63, v63, v201
	v_sub_nc_u16 v196, v199, v202
	v_lshlrev_b16 v63, 8, v63
	v_lshlrev_b16 v196, 8, v196
	v_or_b32_sdwa v64, v64, v196 dst_sel:DWORD dst_unused:UNUSED_PAD src0_sel:BYTE_0 src1_sel:DWORD
	v_sub_nc_u16 v196, v198, v200
	ds_read2_b32 v[197:198], v197 offset0:6 offset1:7
	v_or_b32_sdwa v63, v196, v63 dst_sel:WORD_1 dst_unused:UNUSED_PAD src0_sel:BYTE_0 src1_sel:DWORD
	v_or_b32_sdwa v196, v64, v63 dst_sel:DWORD dst_unused:UNUSED_PAD src0_sel:WORD_0 src1_sel:DWORD
	v_add_nc_u32_e32 v63, 0x2118, v181
	v_dot4c_i32_i8 v217, v196, v35
	ds_read2_b32 v[63:64], v63 offset1:1
	s_waitcnt lgkmcnt(1)
	v_ashrrev_i32_e32 v197, s0, v197
	v_ashrrev_i32_e32 v198, s0, v198
	v_lshlrev_b32_e32 v197, 2, v197
	v_lshlrev_b32_e32 v198, 2, v198
	v_and_b32_e32 v197, 0x4040404, v197
	v_and_b32_e32 v198, 0x4040404, v198
	s_waitcnt lgkmcnt(0)
	v_ashrrev_i32_e32 v63, s15, v63
	v_lshrrev_b16 v204, 8, v197
	v_lshrrev_b32_e32 v202, 16, v197
	v_lshrrev_b32_e32 v203, 24, v197
	v_and_b32_e32 v199, 0x3030303, v63
	v_bfe_u32 v63, v63, 24, 2
	v_lshrrev_b16 v201, 8, v199
	v_lshrrev_b32_e32 v200, 16, v199
	v_sub_nc_u16 v197, v199, v197
	v_sub_nc_u16 v63, v63, v203
	v_lshrrev_b16 v203, 8, v198
	v_sub_nc_u16 v199, v201, v204
	v_lshrrev_b32_e32 v201, 16, v198
	v_lshlrev_b16 v63, 8, v63
	v_lshlrev_b16 v199, 8, v199
	v_or_b32_sdwa v197, v197, v199 dst_sel:DWORD dst_unused:UNUSED_PAD src0_sel:BYTE_0 src1_sel:DWORD
	v_sub_nc_u16 v199, v200, v202
	v_lshrrev_b32_e32 v202, 24, v198
	v_or_b32_sdwa v63, v199, v63 dst_sel:WORD_1 dst_unused:UNUSED_PAD src0_sel:BYTE_0 src1_sel:DWORD
	v_or_b32_sdwa v197, v197, v63 dst_sel:DWORD dst_unused:UNUSED_PAD src0_sel:WORD_0 src1_sel:DWORD
	v_ashrrev_i32_e32 v63, s15, v64
	v_dot4c_i32_i8 v217, v197, v36
	v_and_b32_e32 v64, 0x3030303, v63
	v_bfe_u32 v63, v63, 24, 2
	v_lshrrev_b16 v200, 8, v64
	v_lshrrev_b32_e32 v199, 16, v64
	v_sub_nc_u16 v64, v64, v198
	v_sub_nc_u16 v63, v63, v202
	;; [unrolled: 1-line block ×3, first 2 shown]
	v_add3_u32 v203, s18, v163, v124
	v_lshlrev_b16 v63, 8, v63
	v_lshlrev_b16 v198, 8, v198
	ds_read2_b32 v[204:205], v203 offset1:1
	v_or_b32_sdwa v64, v64, v198 dst_sel:DWORD dst_unused:UNUSED_PAD src0_sel:BYTE_0 src1_sel:DWORD
	v_sub_nc_u16 v198, v199, v201
	v_or_b32_sdwa v63, v198, v63 dst_sel:WORD_1 dst_unused:UNUSED_PAD src0_sel:BYTE_0 src1_sel:DWORD
	v_or_b32_sdwa v199, v64, v63 dst_sel:DWORD dst_unused:UNUSED_PAD src0_sel:WORD_0 src1_sel:DWORD
	v_add3_u32 v63, s17, v162, v123
	v_dot4c_i32_i8 v217, v199, v37
	ds_read_b32 v198, v63
	v_add_nc_u32_e32 v63, 0x3180, v181
	s_waitcnt lgkmcnt(1)
	v_ashrrev_i32_e32 v204, s0, v204
	ds_read2_b32 v[63:64], v63 offset1:1
	v_lshlrev_b32_e32 v204, 2, v204
	v_and_b32_e32 v204, 0x4040404, v204
	v_lshrrev_b32_e32 v207, 24, v204
	v_lshrrev_b16 v212, 8, v204
	v_lshrrev_b32_e32 v206, 16, v204
	s_waitcnt lgkmcnt(0)
	v_ashrrev_i32_e32 v200, s15, v63
	v_and_b32_e32 v201, 0x3030303, v200
	v_bfe_u32 v200, v200, 24, 2
	v_lshrrev_b16 v202, 8, v201
	v_lshrrev_b32_e32 v63, 16, v201
	v_sub_nc_u16 v200, v200, v207
	v_sub_nc_u16 v201, v201, v204
	v_sub_nc_u16 v202, v202, v212
	v_sub_nc_u16 v63, v63, v206
	v_lshlrev_b16 v200, 8, v200
	v_lshlrev_b16 v202, 8, v202
	v_or_b32_sdwa v63, v63, v200 dst_sel:WORD_1 dst_unused:UNUSED_PAD src0_sel:BYTE_0 src1_sel:DWORD
	v_or_b32_sdwa v201, v201, v202 dst_sel:DWORD dst_unused:UNUSED_PAD src0_sel:BYTE_0 src1_sel:DWORD
	v_ashrrev_i32_e32 v202, s0, v205
	v_or_b32_sdwa v204, v201, v63 dst_sel:DWORD dst_unused:UNUSED_PAD src0_sel:WORD_0 src1_sel:DWORD
	v_ashrrev_i32_e32 v63, s15, v64
	v_lshlrev_b32_e32 v202, 2, v202
	v_and_b32_e32 v64, 0x3030303, v63
	v_and_b32_e32 v202, 0x4040404, v202
	v_bfe_u32 v63, v63, 24, 2
	v_lshrrev_b16 v201, 8, v64
	v_lshrrev_b32_e32 v206, 24, v202
	v_lshrrev_b16 v207, 8, v202
	v_lshrrev_b32_e32 v200, 16, v64
	v_lshrrev_b32_e32 v205, 16, v202
	v_sub_nc_u16 v64, v64, v202
	v_sub_nc_u16 v63, v63, v206
	;; [unrolled: 1-line block ×4, first 2 shown]
	v_lshlrev_b16 v63, 8, v63
	v_lshlrev_b16 v201, 8, v201
	v_or_b32_sdwa v63, v200, v63 dst_sel:WORD_1 dst_unused:UNUSED_PAD src0_sel:BYTE_0 src1_sel:DWORD
	v_or_b32_sdwa v64, v64, v201 dst_sel:DWORD dst_unused:UNUSED_PAD src0_sel:BYTE_0 src1_sel:DWORD
	ds_read2_b32 v[200:201], v203 offset0:2 offset1:3
	v_or_b32_sdwa v205, v64, v63 dst_sel:DWORD dst_unused:UNUSED_PAD src0_sel:WORD_0 src1_sel:DWORD
	v_add_nc_u32_e32 v63, 0x3188, v181
	ds_read2_b32 v[63:64], v63 offset1:1
	s_waitcnt lgkmcnt(1)
	v_ashrrev_i32_e32 v200, s0, v200
	v_ashrrev_i32_e32 v201, s0, v201
	v_lshlrev_b32_e32 v200, 2, v200
	v_lshlrev_b32_e32 v201, 2, v201
	s_waitcnt lgkmcnt(0)
	v_ashrrev_i32_e32 v63, s15, v63
	v_and_b32_e32 v200, 0x4040404, v200
	v_and_b32_e32 v201, 0x4040404, v201
	;; [unrolled: 1-line block ×3, first 2 shown]
	v_lshrrev_b16 v219, 8, v200
	v_bfe_u32 v63, v63, 24, 2
	v_lshrrev_b32_e32 v212, 16, v200
	v_lshrrev_b32_e32 v218, 24, v200
	v_lshrrev_b16 v207, 8, v202
	v_lshrrev_b32_e32 v206, 16, v202
	v_sub_nc_u16 v200, v202, v200
	v_sub_nc_u16 v63, v63, v218
	;; [unrolled: 1-line block ×3, first 2 shown]
	v_lshrrev_b16 v218, 8, v201
	v_lshrrev_b32_e32 v207, 16, v201
	v_lshlrev_b16 v63, 8, v63
	v_lshlrev_b16 v202, 8, v202
	v_or_b32_sdwa v200, v200, v202 dst_sel:DWORD dst_unused:UNUSED_PAD src0_sel:BYTE_0 src1_sel:DWORD
	v_sub_nc_u16 v202, v206, v212
	v_lshrrev_b32_e32 v212, 24, v201
	v_or_b32_sdwa v63, v202, v63 dst_sel:WORD_1 dst_unused:UNUSED_PAD src0_sel:BYTE_0 src1_sel:DWORD
	v_or_b32_sdwa v206, v200, v63 dst_sel:DWORD dst_unused:UNUSED_PAD src0_sel:WORD_0 src1_sel:DWORD
	v_ashrrev_i32_e32 v63, s15, v64
	v_and_b32_e32 v64, 0x3030303, v63
	v_bfe_u32 v63, v63, 24, 2
	v_lshrrev_b16 v202, 8, v64
	v_lshrrev_b32_e32 v200, 16, v64
	v_sub_nc_u16 v64, v64, v201
	v_sub_nc_u16 v63, v63, v212
	;; [unrolled: 1-line block ×4, first 2 shown]
	v_lshlrev_b16 v63, 8, v63
	v_lshlrev_b16 v201, 8, v201
	v_or_b32_sdwa v63, v200, v63 dst_sel:WORD_1 dst_unused:UNUSED_PAD src0_sel:BYTE_0 src1_sel:DWORD
	v_or_b32_sdwa v64, v64, v201 dst_sel:DWORD dst_unused:UNUSED_PAD src0_sel:BYTE_0 src1_sel:DWORD
	ds_read2_b32 v[201:202], v203 offset0:4 offset1:5
	v_or_b32_sdwa v207, v64, v63 dst_sel:DWORD dst_unused:UNUSED_PAD src0_sel:WORD_0 src1_sel:DWORD
	v_add_nc_u32_e32 v63, 0x3190, v181
	ds_read2_b32 v[63:64], v63 offset1:1
	s_waitcnt lgkmcnt(1)
	v_ashrrev_i32_e32 v201, s0, v201
	v_ashrrev_i32_e32 v202, s0, v202
	v_lshlrev_b32_e32 v201, 2, v201
	v_lshlrev_b32_e32 v202, 2, v202
	s_waitcnt lgkmcnt(0)
	v_ashrrev_i32_e32 v63, s15, v63
	v_and_b32_e32 v201, 0x4040404, v201
	v_and_b32_e32 v202, 0x4040404, v202
	;; [unrolled: 1-line block ×3, first 2 shown]
	v_lshrrev_b16 v221, 8, v201
	v_bfe_u32 v63, v63, 24, 2
	v_lshrrev_b32_e32 v219, 16, v201
	v_lshrrev_b32_e32 v220, 24, v201
	v_lshrrev_b16 v218, 8, v200
	v_lshrrev_b32_e32 v212, 16, v200
	v_sub_nc_u16 v200, v200, v201
	v_sub_nc_u16 v63, v63, v220
	;; [unrolled: 1-line block ×3, first 2 shown]
	v_lshrrev_b16 v220, 8, v202
	v_lshrrev_b32_e32 v218, 16, v202
	v_lshlrev_b16 v63, 8, v63
	v_lshlrev_b16 v201, 8, v201
	v_or_b32_sdwa v200, v200, v201 dst_sel:DWORD dst_unused:UNUSED_PAD src0_sel:BYTE_0 src1_sel:DWORD
	v_sub_nc_u16 v201, v212, v219
	v_lshrrev_b32_e32 v219, 24, v202
	v_or_b32_sdwa v63, v201, v63 dst_sel:WORD_1 dst_unused:UNUSED_PAD src0_sel:BYTE_0 src1_sel:DWORD
	v_or_b32_sdwa v201, v200, v63 dst_sel:DWORD dst_unused:UNUSED_PAD src0_sel:WORD_0 src1_sel:DWORD
	v_ashrrev_i32_e32 v63, s15, v64
	v_and_b32_e32 v64, 0x3030303, v63
	v_bfe_u32 v63, v63, 24, 2
	v_lshrrev_b16 v212, 8, v64
	v_lshrrev_b32_e32 v200, 16, v64
	v_sub_nc_u16 v64, v64, v202
	v_sub_nc_u16 v63, v63, v219
	;; [unrolled: 1-line block ×4, first 2 shown]
	v_lshlrev_b16 v63, 8, v63
	v_lshlrev_b16 v202, 8, v202
	v_or_b32_sdwa v63, v200, v63 dst_sel:WORD_1 dst_unused:UNUSED_PAD src0_sel:BYTE_0 src1_sel:DWORD
	v_or_b32_sdwa v64, v64, v202 dst_sel:DWORD dst_unused:UNUSED_PAD src0_sel:BYTE_0 src1_sel:DWORD
	ds_read2_b32 v[202:203], v203 offset0:6 offset1:7
	v_or_b32_sdwa v200, v64, v63 dst_sel:DWORD dst_unused:UNUSED_PAD src0_sel:WORD_0 src1_sel:DWORD
	v_add_nc_u32_e32 v63, 0x3198, v181
	ds_read2_b32 v[63:64], v63 offset1:1
	s_waitcnt lgkmcnt(1)
	v_ashrrev_i32_e32 v202, s0, v202
	v_ashrrev_i32_e32 v203, s0, v203
	v_lshlrev_b32_e32 v202, 2, v202
	v_lshlrev_b32_e32 v203, 2, v203
	s_waitcnt lgkmcnt(0)
	v_ashrrev_i32_e32 v63, s15, v63
	v_and_b32_e32 v202, 0x4040404, v202
	v_and_b32_e32 v203, 0x4040404, v203
	;; [unrolled: 1-line block ×3, first 2 shown]
	v_bfe_u32 v63, v63, 24, 2
	v_lshrrev_b16 v221, 8, v202
	v_lshrrev_b32_e32 v219, 16, v202
	v_lshrrev_b32_e32 v220, 24, v202
	v_lshrrev_b16 v218, 8, v181
	v_lshrrev_b32_e32 v212, 16, v181
	v_sub_nc_u16 v181, v181, v202
	v_sub_nc_u16 v63, v63, v220
	;; [unrolled: 1-line block ×3, first 2 shown]
	v_lshrrev_b32_e32 v218, 16, v203
	v_lshrrev_b16 v220, 8, v203
	v_mov_b32_e32 v221, 0
	v_lshlrev_b16 v63, 8, v63
	v_lshlrev_b16 v202, 8, v202
	v_or_b32_sdwa v181, v181, v202 dst_sel:DWORD dst_unused:UNUSED_PAD src0_sel:BYTE_0 src1_sel:DWORD
	v_sub_nc_u16 v202, v212, v219
	v_lshrrev_b32_e32 v219, 24, v203
	v_or_b32_sdwa v63, v202, v63 dst_sel:WORD_1 dst_unused:UNUSED_PAD src0_sel:BYTE_0 src1_sel:DWORD
	v_or_b32_sdwa v202, v181, v63 dst_sel:DWORD dst_unused:UNUSED_PAD src0_sel:WORD_0 src1_sel:DWORD
	v_ashrrev_i32_e32 v63, s15, v64
	v_and_b32_e32 v64, 0x3030303, v63
	v_bfe_u32 v63, v63, 24, 2
	v_lshrrev_b32_e32 v181, 16, v64
	v_lshrrev_b16 v212, 8, v64
	v_sub_nc_u16 v64, v64, v203
	v_sub_nc_u16 v63, v63, v219
	v_add_nc_u32_e32 v219, s16, v136
	v_sub_nc_u16 v181, v181, v218
	v_sub_nc_u16 v203, v212, v220
	v_mov_b32_e32 v218, 0
	v_mov_b32_e32 v220, 0
	v_lshlrev_b16 v63, 8, v63
	s_mov_b32 s16, s15
	v_lshlrev_b16 v203, 8, v203
	v_dot4c_i32_i8 v218, v204, v38
	v_dot4c_i32_i8 v220, v201, v34
	v_or_b32_sdwa v63, v181, v63 dst_sel:WORD_1 dst_unused:UNUSED_PAD src0_sel:BYTE_0 src1_sel:DWORD
	v_or_b32_sdwa v64, v64, v203 dst_sel:DWORD dst_unused:UNUSED_PAD src0_sel:BYTE_0 src1_sel:DWORD
	v_dot4c_i32_i8 v218, v205, v39
	v_dot4c_i32_i8 v220, v200, v35
	v_or_b32_sdwa v203, v64, v63 dst_sel:DWORD dst_unused:UNUSED_PAD src0_sel:WORD_0 src1_sel:DWORD
	v_add3_u32 v63, s17, v164, v125
	v_dot4c_i32_i8 v218, v206, v40
	v_dot4c_i32_i8 v220, v202, v36
	ds_read_b32 v181, v63
	v_dot4c_i32_i8 v218, v207, v41
	v_dot4c_i32_i8 v220, v203, v37
	ds_read_b128 v[34:37], v170 offset:1024
	ds_read_b128 v[38:41], v170 offset:1040
	s_waitcnt lgkmcnt(1)
	v_dot4c_i32_i8 v233, v172, v34
	s_waitcnt lgkmcnt(0)
	v_dot4c_i32_i8 v238, v176, v38
	v_dot4c_i32_i8 v228, v182, v34
	v_dot4c_i32_i8 v227, v186, v38
	v_dot4c_i32_i8 v226, v191, v34
	v_dot4c_i32_i8 v225, v195, v38
	v_dot4c_i32_i8 v222, v204, v34
	v_dot4c_i32_i8 v221, v201, v38
	v_dot4c_i32_i8 v233, v173, v35
	v_dot4c_i32_i8 v238, v177, v39
	v_dot4c_i32_i8 v228, v183, v35
	v_dot4c_i32_i8 v227, v187, v39
	v_dot4c_i32_i8 v226, v192, v35
	v_dot4c_i32_i8 v225, v196, v39
	v_dot4c_i32_i8 v222, v205, v35
	v_dot4c_i32_i8 v221, v200, v39
	v_dot4c_i32_i8 v233, v174, v36
	v_dot4c_i32_i8 v238, v178, v40
	v_dot4c_i32_i8 v228, v184, v36
	v_dot4c_i32_i8 v227, v188, v40
	v_dot4c_i32_i8 v226, v193, v36
	v_dot4c_i32_i8 v225, v197, v40
	v_dot4c_i32_i8 v222, v206, v36
	v_dot4c_i32_i8 v221, v202, v40
	v_dot4c_i32_i8 v233, v175, v37
	v_dot4c_i32_i8 v238, v180, v41
	v_dot4c_i32_i8 v228, v185, v37
	v_dot4c_i32_i8 v227, v190, v41
	v_dot4c_i32_i8 v226, v194, v37
	v_dot4c_i32_i8 v225, v199, v41
	v_dot4c_i32_i8 v222, v207, v37
	v_dot4c_i32_i8 v221, v203, v41
	ds_read2_b32 v[63:64], v171 offset0:64 offset1:96
	ds_read_b128 v[34:37], v170 offset:2048
	ds_read_b128 v[38:41], v170 offset:2064
	s_waitcnt lgkmcnt(1)
	v_dot4c_i32_i8 v236, v172, v34
	s_waitcnt lgkmcnt(0)
	v_dot4c_i32_i8 v235, v176, v38
	v_dot4c_i32_i8 v231, v182, v34
	;; [unrolled: 1-line block ×31, first 2 shown]
	ds_read_b128 v[38:41], v170 offset:3072
	ds_read_b128 v[34:37], v170 offset:3088
	ds_read_u16 v212, v211 offset:2
	ds_read_u16 v209, v209 offset:2
	s_waitcnt lgkmcnt(3)
	v_dot4c_i32_i8 v234, v172, v38
	s_waitcnt lgkmcnt(2)
	v_dot4c_i32_i8 v237, v176, v34
	s_waitcnt lgkmcnt(1)
	v_lshrrev_b16 v211, 8, v212
	v_bfe_i32 v212, v212, 0, 8
	v_dot4c_i32_i8 v234, v173, v39
	v_dot4c_i32_i8 v237, v177, v35
	v_bfe_i32 v211, v211, 0, 8
	v_mul_lo_u32 v233, v233, v212
	v_dot4c_i32_i8 v234, v174, v40
	v_dot4c_i32_i8 v237, v178, v36
	v_mul_lo_u32 v235, v235, v211
	v_mul_lo_u32 v214, v214, v211
	v_dot4c_i32_i8 v234, v175, v41
	v_dot4c_i32_i8 v237, v180, v37
	v_mul_lo_u32 v234, v234, v212
	v_mad_u64_u32 v[235:236], null, v236, v212, v[235:236]
	v_mad_u64_u32 v[213:214], null, v213, v212, v[214:215]
	v_mul_f32_e32 v214, v179, v62
	v_mad_u64_u32 v[236:237], null, v237, v211, v[234:235]
                                        ; kill: def $vgpr234 killed $sgpr0 killed $exec
	v_cvt_f32_i32_e32 v213, v213
	v_mad_u64_u32 v[233:234], null, v238, v211, v[233:234]
	v_mul_f32_e32 v234, v179, v61
	v_mul_f32_e32 v238, v179, v63
	v_mul_f32_e32 v237, v179, v64
	v_cvt_f32_i32_e32 v236, v236
	v_cvt_f32_i32_e32 v235, v235
	v_fma_f32 v7, v234, v213, v7
	v_cvt_f32_i32_e32 v233, v233
	v_mov_b32_e32 v234, 0
	s_waitcnt lgkmcnt(0)
	v_lshrrev_b16 v213, 8, v209
	v_fma_f32 v9, v238, v235, v9
	v_fma_f32 v8, v237, v236, v8
	v_fmac_f32_e32 v6, v214, v233
	v_mov_b32_e32 v233, 0
	v_dot4c_i32_i8 v234, v186, v34
	v_bfe_i32 v213, v213, 0, 8
	v_bfe_i32 v214, v209, 0, 8
	v_mov_b32_e32 v235, 0
	v_dot4c_i32_i8 v233, v182, v38
	v_dot4c_i32_i8 v234, v187, v35
	v_mul_lo_u32 v232, v232, v213
	v_mul_lo_u32 v209, v228, v214
	;; [unrolled: 1-line block ×3, first 2 shown]
	v_dot4c_i32_i8 v233, v183, v39
	v_dot4c_i32_i8 v234, v188, v36
	v_mov_b32_e32 v236, 0
	v_mov_b32_e32 v237, 0
	v_mov_b32_e32 v238, 0
	v_dot4c_i32_i8 v233, v184, v40
	v_dot4c_i32_i8 v234, v190, v37
	;; [unrolled: 1-line block ×3, first 2 shown]
	v_mul_lo_u32 v228, v233, v214
                                        ; kill: def $vgpr233 killed $sgpr0 killed $exec
	v_mad_u64_u32 v[231:232], null, v231, v214, v[232:233]
	v_mad_u64_u32 v[232:233], null, v234, v213, v[228:229]
	;; [unrolled: 1-line block ×4, first 2 shown]
	v_mul_f32_e32 v209, v189, v62
	v_mul_f32_e32 v227, v189, v64
	v_cvt_f32_i32_e32 v232, v232
	v_mul_f32_e32 v228, v189, v63
	v_cvt_f32_i32_e32 v231, v231
	;; [unrolled: 2-line block ×3, first 2 shown]
	v_fma_f32 v32, v227, v232, v32
	v_mov_b32_e32 v227, 0
	v_fma_f32 v33, v228, v231, v33
	v_mov_b32_e32 v228, 0
	v_fmac_f32_e32 v30, v209, v208
	ds_read_u16 v208, v216 offset:2
	v_dot4c_i32_i8 v227, v191, v38
	v_cvt_f32_i32_e32 v233, v233
	v_dot4c_i32_i8 v228, v195, v34
	v_mov_b32_e32 v231, 0
	v_mov_b32_e32 v232, 0
	v_dot4c_i32_i8 v227, v192, v39
	v_fma_f32 v31, v210, v233, v31
	v_dot4c_i32_i8 v228, v196, v35
	v_mov_b32_e32 v233, 0
	v_mov_b32_e32 v234, 0
	v_dot4c_i32_i8 v227, v193, v40
	v_dot4c_i32_i8 v228, v197, v36
	;; [unrolled: 1-line block ×4, first 2 shown]
	s_waitcnt lgkmcnt(0)
	v_lshrrev_b16 v209, 8, v208
	v_bfe_i32 v216, v208, 0, 8
	v_bfe_i32 v210, v209, 0, 8
	v_mul_lo_u32 v208, v226, v216
	v_mul_lo_u32 v226, v230, v210
	;; [unrolled: 1-line block ×4, first 2 shown]
                                        ; kill: def $vgpr227 killed $sgpr0 killed $exec
	v_mad_u64_u32 v[226:227], null, v229, v216, v[226:227]
	v_mad_u64_u32 v[227:228], null, v228, v210, v[217:218]
	;; [unrolled: 1-line block ×3, first 2 shown]
	v_mul_f32_e32 v215, v198, v61
                                        ; kill: def $vgpr209 killed $sgpr0 killed $exec
	v_mul_f32_e32 v217, v198, v64
	v_mad_u64_u32 v[208:209], null, v225, v210, v[208:209]
	v_mul_f32_e32 v209, v198, v62
	v_mul_f32_e32 v225, v198, v63
	v_cvt_f32_i32_e32 v228, v228
	v_cvt_f32_i32_e32 v227, v227
	;; [unrolled: 1-line block ×4, first 2 shown]
	v_fma_f32 v27, v215, v228, v27
	v_mov_b32_e32 v215, 0
	v_fma_f32 v28, v217, v227, v28
	v_fma_f32 v29, v225, v226, v29
	v_fmac_f32_e32 v26, v209, v208
	v_mov_b32_e32 v225, 0
	v_dot4c_i32_i8 v215, v204, v38
                                        ; kill: def $vgpr38 killed $sgpr0 killed $exec
	v_mov_b32_e32 v226, 0
	v_mov_b32_e32 v217, 0
	v_dot4c_i32_i8 v215, v205, v39
	v_mov_b32_e32 v39, 0
	v_dot4c_i32_i8 v215, v206, v40
	v_dot4c_i32_i8 v39, v201, v34
	ds_read_u16 v34, v219 offset:2
	v_mov_b32_e32 v219, 0
	v_dot4c_i32_i8 v215, v207, v41
	v_dot4c_i32_i8 v39, v200, v35
	v_mul_f32_e32 v41, v181, v63
	v_mov_b32_e32 v63, 0
	v_dot4c_i32_i8 v39, v202, v36
	v_dot4c_i32_i8 v39, v203, v37
	s_waitcnt lgkmcnt(0)
	v_lshrrev_b16 v35, 8, v34
	v_bfe_i32 v209, v34, 0, 8
	v_bfe_i32 v208, v35, 0, 8
	v_mul_lo_u32 v36, v215, v209
	v_mul_lo_u32 v34, v222, v209
	v_mov_b32_e32 v215, 0
	v_mov_b32_e32 v222, 0
	v_mul_lo_u32 v37, v224, v208
	v_mul_lo_u32 v35, v220, v208
	v_mov_b32_e32 v220, 0
	v_mov_b32_e32 v224, 0
	v_mad_u64_u32 v[37:38], null, v223, v209, v[37:38]
	v_mov_b32_e32 v223, 0
	v_mad_u64_u32 v[38:39], null, v39, v208, v[36:37]
                                        ; kill: def $vgpr36 killed $sgpr0 killed $exec
	v_cvt_f32_i32_e32 v37, v37
	v_mad_u64_u32 v[35:36], null, v218, v209, v[35:36]
	v_mul_f32_e32 v36, v181, v61
	v_mov_b32_e32 v218, 0
	v_fma_f32 v25, v41, v37, v25
	v_cvt_f32_i32_e32 v38, v38
	v_mad_u64_u32 v[39:40], null, v221, v208, v[34:35]
	v_mul_f32_e32 v34, v181, v62
	v_mul_f32_e32 v40, v181, v64
	v_cvt_f32_i32_e32 v35, v35
	v_mov_b32_e32 v221, 0
	v_mov_b32_e32 v64, 0
	v_cvt_f32_i32_e32 v39, v39
	v_fma_f32 v24, v40, v38, v24
	v_fma_f32 v23, v36, v35, v23
	v_fmac_f32_e32 v22, v34, v39
	ds_read2_b32 v[61:62], v171 offset0:128 offset1:160
	ds_read_b128 v[38:41], v170 offset:4096
	ds_read_b128 v[34:37], v170 offset:4112
	s_waitcnt lgkmcnt(1)
	v_dot4c_i32_i8 v215, v172, v38
	v_dot4c_i32_i8 v219, v182, v38
	;; [unrolled: 1-line block ×4, first 2 shown]
	s_waitcnt lgkmcnt(0)
	v_dot4c_i32_i8 v223, v176, v34
	v_dot4c_i32_i8 v215, v173, v39
	v_dot4c_i32_i8 v219, v183, v39
	v_dot4c_i32_i8 v220, v192, v39
	v_dot4c_i32_i8 v63, v205, v39
	v_dot4c_i32_i8 v222, v186, v34
	v_dot4c_i32_i8 v215, v174, v40
	v_dot4c_i32_i8 v219, v184, v40
	v_dot4c_i32_i8 v220, v193, v40
	v_dot4c_i32_i8 v63, v206, v40
	v_mov_b32_e32 v40, 0
	v_dot4c_i32_i8 v221, v195, v34
	v_dot4c_i32_i8 v223, v177, v35
	;; [unrolled: 1-line block ×17, first 2 shown]
	v_mov_b32_e32 v41, 0
	v_dot4c_i32_i8 v40, v203, v37
	ds_read_b128 v[34:37], v170 offset:5120
	ds_read_b128 v[227:230], v170 offset:5136
	s_waitcnt lgkmcnt(1)
	v_dot4c_i32_i8 v231, v172, v34
	s_waitcnt lgkmcnt(0)
	v_dot4c_i32_i8 v232, v176, v227
	v_dot4c_i32_i8 v225, v182, v34
	;; [unrolled: 1-line block ×31, first 2 shown]
	ds_read2_b32 v[38:39], v171 offset0:192 offset1:224
	ds_read_b128 v[34:37], v170 offset:6144
	ds_read_b128 v[227:230], v170 offset:6160
	v_add_nc_u32_e32 v171, 4, v171
	v_mul_lo_u32 v41, v41, v209
	s_waitcnt lgkmcnt(1)
	v_dot4c_i32_i8 v234, v172, v34
	s_waitcnt lgkmcnt(0)
	v_dot4c_i32_i8 v235, v176, v227
	v_dot4c_i32_i8 v236, v182, v34
	;; [unrolled: 1-line block ×31, first 2 shown]
	ds_read_b128 v[227:230], v170 offset:7168
	ds_read_b128 v[34:37], v170 offset:7184
	v_add_nc_u32_e32 v170, 32, v170
	s_waitcnt lgkmcnt(1)
	v_dot4c_i32_i8 v240, v172, v227
	s_waitcnt lgkmcnt(0)
	v_dot4c_i32_i8 v241, v176, v34
                                        ; kill: def $vgpr176 killed $sgpr0 killed $exec
	v_mul_lo_u32 v172, v231, v212
	v_dot4c_i32_i8 v240, v173, v228
	v_dot4c_i32_i8 v241, v177, v35
	v_mul_lo_u32 v173, v223, v211
	v_dot4c_i32_i8 v240, v174, v229
	v_dot4c_i32_i8 v241, v178, v36
	v_dot4c_i32_i8 v240, v175, v230
	v_mul_lo_u32 v175, v235, v211
	v_dot4c_i32_i8 v241, v180, v37
	v_mul_lo_u32 v174, v240, v212
	v_mad_u64_u32 v[175:176], null, v234, v212, v[175:176]
	v_mad_u64_u32 v[176:177], null, v241, v211, v[174:175]
                                        ; kill: def $vgpr174 killed $sgpr0 killed $exec
	v_cvt_f32_i32_e32 v175, v175
	v_mad_u64_u32 v[173:174], null, v215, v212, v[173:174]
	v_mul_f32_e32 v174, v179, v61
	v_cvt_f32_i32_e32 v176, v176
	v_mad_u64_u32 v[177:178], null, v232, v211, v[172:173]
	v_cvt_f32_i32_e32 v173, v173
	v_mul_f32_e32 v172, v179, v62
	v_mul_f32_e32 v178, v179, v39
	;; [unrolled: 1-line block ×3, first 2 shown]
	v_fma_f32 v19, v174, v173, v19
	v_mov_b32_e32 v174, 0
	v_cvt_f32_i32_e32 v177, v177
	v_fma_f32 v21, v179, v175, v21
	v_mul_lo_u32 v175, v237, v213
	v_fma_f32 v20, v178, v176, v20
	v_dot4c_i32_i8 v174, v182, v227
	v_fmac_f32_e32 v18, v172, v177
	v_mov_b32_e32 v177, 0
                                        ; kill: def $vgpr176 killed $sgpr0 killed $exec
	v_mul_lo_u32 v173, v222, v213
	v_mul_lo_u32 v172, v225, v214
	v_dot4c_i32_i8 v174, v183, v228
	v_mad_u64_u32 v[175:176], null, v236, v214, v[175:176]
	v_dot4c_i32_i8 v177, v186, v34
	v_mul_f32_e32 v179, v189, v38
	v_dot4c_i32_i8 v174, v184, v229
	v_dot4c_i32_i8 v177, v187, v35
	v_dot4c_i32_i8 v174, v185, v230
	v_dot4c_i32_i8 v177, v188, v36
	v_mul_lo_u32 v174, v174, v214
	v_dot4c_i32_i8 v177, v190, v37
	v_mad_u64_u32 v[176:177], null, v177, v213, v[174:175]
                                        ; kill: def $vgpr174 killed $sgpr0 killed $exec
	v_cvt_f32_i32_e32 v175, v175
	v_mad_u64_u32 v[173:174], null, v219, v214, v[173:174]
	v_mul_f32_e32 v174, v189, v61
	v_fma_f32 v17, v179, v175, v17
	v_mul_lo_u32 v175, v239, v210
	v_cvt_f32_i32_e32 v176, v176
	v_mul_f32_e32 v179, v198, v38
	v_mad_u64_u32 v[177:178], null, v233, v213, v[172:173]
	v_cvt_f32_i32_e32 v173, v173
	v_mul_f32_e32 v172, v189, v62
	v_mul_f32_e32 v178, v189, v39
	v_fma_f32 v15, v174, v173, v15
	v_mov_b32_e32 v174, 0
	v_cvt_f32_i32_e32 v177, v177
	v_fma_f32 v16, v178, v176, v16
                                        ; kill: def $vgpr176 killed $sgpr0 killed $exec
	v_mul_lo_u32 v173, v221, v210
	v_mad_u64_u32 v[175:176], null, v238, v216, v[175:176]
	v_dot4c_i32_i8 v174, v191, v227
	v_fmac_f32_e32 v14, v172, v177
	v_mov_b32_e32 v177, 0
	v_mul_lo_u32 v172, v226, v216
	v_dot4c_i32_i8 v174, v192, v228
	v_dot4c_i32_i8 v177, v195, v34
	;; [unrolled: 1-line block ×6, first 2 shown]
	v_mul_lo_u32 v174, v174, v216
	v_dot4c_i32_i8 v177, v199, v37
	v_mad_u64_u32 v[176:177], null, v177, v210, v[174:175]
                                        ; kill: def $vgpr174 killed $sgpr0 killed $exec
	v_cvt_f32_i32_e32 v175, v175
	v_mad_u64_u32 v[173:174], null, v220, v216, v[173:174]
	v_mul_f32_e32 v174, v198, v61
	v_fma_f32 v13, v179, v175, v13
	v_cvt_f32_i32_e32 v176, v176
	v_mad_u64_u32 v[177:178], null, v224, v210, v[172:173]
	v_mul_f32_e32 v172, v198, v62
	v_cvt_f32_i32_e32 v173, v173
	v_mul_f32_e32 v178, v198, v39
	v_mul_f32_e32 v39, v181, v39
	v_cvt_f32_i32_e32 v177, v177
	v_fma_f32 v11, v174, v173, v11
	v_mov_b32_e32 v173, 0
	v_fma_f32 v12, v178, v176, v12
	v_fmac_f32_e32 v10, v172, v177
	v_mov_b32_e32 v172, 0
	v_dot4c_i32_i8 v173, v201, v34
	v_mul_lo_u32 v34, v218, v208
	v_dot4c_i32_i8 v172, v204, v227
	v_dot4c_i32_i8 v173, v200, v35
                                        ; kill: def $vgpr35 killed $sgpr0 killed $exec
	s_add_i32 s0, s0, 1
	s_cmp_lt_u32 s15, 6
	v_dot4c_i32_i8 v172, v205, v228
	v_dot4c_i32_i8 v173, v202, v36
	v_mad_u64_u32 v[34:35], null, v217, v209, v[34:35]
	v_dot4c_i32_i8 v172, v206, v229
	v_dot4c_i32_i8 v173, v203, v37
	v_mul_lo_u32 v37, v40, v208
	v_mad_u64_u32 v[40:41], null, v64, v208, v[41:42]
	v_dot4c_i32_i8 v172, v207, v230
	v_mul_f32_e32 v41, v181, v61
	v_cvt_f32_i32_e32 v34, v34
	v_mul_lo_u32 v36, v172, v209
	v_cvt_f32_i32_e32 v40, v40
	v_mad_u64_u32 v[35:36], null, v173, v208, v[36:37]
	v_mad_u64_u32 v[36:37], null, v63, v209, v[37:38]
	v_mul_f32_e32 v37, v181, v62
	v_mul_f32_e32 v38, v181, v38
	v_cvt_f32_i32_e32 v35, v35
	v_fmac_f32_e32 v2, v37, v40
	v_cvt_f32_i32_e32 v36, v36
	v_fma_f32 v5, v38, v34, v5
	v_fma_f32 v4, v39, v35, v4
	;; [unrolled: 1-line block ×3, first 2 shown]
	s_cbranch_scc1 .LBB170_7
; %bb.8:                                ;   in Loop: Header=BB170_6 Depth=1
	v_add_nc_u32_e32 v170, s11, v126
	v_add_nc_u32_e32 v63, 4, v168
	s_barrier
	buffer_gl0_inv
	v_add_nc_u32_e32 v34, v170, v109
	v_add_nc_u32_e32 v36, v170, v111
	;; [unrolled: 1-line block ×5, first 2 shown]
	v_mad_u64_u32 v[63:64], null, v63, 36, s[2:3]
	v_mad_i64_i32 v[34:35], null, v34, 36, v[59:60]
	v_add_nc_u32_e32 v171, v170, v115
	v_mad_i64_i32 v[36:37], null, v36, 36, v[59:60]
	v_add_nc_u32_e32 v172, v170, v116
	;; [unrolled: 2-line block ×3, first 2 shown]
	v_mad_i64_i32 v[40:41], null, v40, 36, v[59:60]
	v_mad_i64_i32 v[61:62], null, v61, 36, v[59:60]
	;; [unrolled: 1-line block ×5, first 2 shown]
	s_clause 0x8
	global_load_dword v63, v[63:64], off
	global_load_dword v34, v[34:35], off offset:4
	global_load_dword v35, v[36:37], off offset:4
	;; [unrolled: 1-line block ×8, first 2 shown]
	v_mov_b32_e32 v170, v138
	v_mov_b32_e32 v171, v137
	s_mov_b32 s0, 4
	s_mov_b32 s1, 8
	;; [unrolled: 1-line block ×3, first 2 shown]
	s_waitcnt vmcnt(8)
	v_cvt_f32_f16_e32 v61, v63
	s_waitcnt vmcnt(7)
	ds_write_b32 v169, v34
	s_waitcnt vmcnt(6)
	ds_write_b32 v152, v35
	;; [unrolled: 2-line block ×8, first 2 shown]
	ds_write_b32 v108, v61
	s_waitcnt lgkmcnt(0)
	s_barrier
	buffer_gl0_inv
.LBB170_9:                              ;   Parent Loop BB170_6 Depth=1
                                        ; =>  This Inner Loop Header: Depth=2
	s_add_i32 s15, s17, 2
	ds_read2_b32 v[61:62], v171 offset1:32
	ds_read_b128 v[38:41], v170
	ds_read_b128 v[34:37], v170 offset:16
	s_lshr_b32 s20, s15, 4
	s_and_b32 s19, s15, 0x3ffffff8
	s_add_i32 s16, s17, -6
	v_lshl_add_u32 v199, s19, 2, v118
	s_lshl_b32 s19, s20, 5
	s_and_b32 s18, s1, -16
	s_addk_i32 s19, 0x4200
	s_add_i32 s17, s17, s18
	v_add3_u32 v178, s19, v165, v119
	ds_read2_b32 v[63:64], v199 offset1:1
	s_lshl_b32 s18, s20, 2
	v_add3_u32 v186, s19, v159, v120
	s_add_i32 s18, s18, 0x9380
	ds_read2_b32 v[172:173], v178 offset1:1
	v_add3_u32 v196, s19, v161, v122
	v_mov_b32_e32 v208, 0
	v_mov_b32_e32 v211, 0
	;; [unrolled: 1-line block ×14, first 2 shown]
	s_waitcnt lgkmcnt(1)
	v_ashrrev_i32_e32 v63, s16, v63
	v_mov_b32_e32 v235, 0
	v_mov_b32_e32 v231, 0
	;; [unrolled: 1-line block ×3, first 2 shown]
	s_waitcnt lgkmcnt(0)
	v_ashrrev_i32_e32 v172, s0, v172
	v_and_b32_e32 v174, 0x3030303, v63
	v_bfe_u32 v63, v63, 24, 2
	v_ashrrev_i32_e32 v173, s0, v173
	v_mov_b32_e32 v229, 0
	v_lshlrev_b32_e32 v172, 2, v172
	v_lshrrev_b16 v176, 8, v174
	v_lshrrev_b32_e32 v175, 16, v174
	v_lshlrev_b32_e32 v173, 2, v173
	v_mov_b32_e32 v230, 0
	v_and_b32_e32 v172, 0x4040404, v172
	v_mov_b32_e32 v223, 0
	v_mov_b32_e32 v224, 0
	v_and_b32_e32 v173, 0x4040404, v173
	v_add_nc_u32_e32 v210, s17, v129
	v_lshrrev_b16 v180, 8, v172
	v_lshrrev_b32_e32 v177, 16, v172
	v_lshrrev_b32_e32 v179, 24, v172
	v_sub_nc_u16 v172, v174, v172
	v_mov_b32_e32 v234, 0
	v_sub_nc_u16 v174, v176, v180
	v_lshrrev_b32_e32 v176, 16, v173
	v_sub_nc_u16 v63, v63, v179
	v_lshrrev_b16 v179, 8, v173
	v_mov_b32_e32 v237, 0
	v_lshlrev_b16 v174, 8, v174
	v_add_nc_u32_e32 v212, s17, v130
	v_lshlrev_b16 v63, 8, v63
	v_add_nc_u32_e32 v215, s17, v131
	v_mov_b32_e32 v240, 0
	v_or_b32_sdwa v172, v172, v174 dst_sel:DWORD dst_unused:UNUSED_PAD src0_sel:BYTE_0 src1_sel:DWORD
	v_sub_nc_u16 v174, v175, v177
	v_lshrrev_b32_e32 v177, 24, v173
	v_mov_b32_e32 v241, 0
	s_add_i32 s1, s1, 2
	v_or_b32_sdwa v63, v174, v63 dst_sel:WORD_1 dst_unused:UNUSED_PAD src0_sel:BYTE_0 src1_sel:DWORD
	v_or_b32_sdwa v172, v172, v63 dst_sel:DWORD dst_unused:UNUSED_PAD src0_sel:WORD_0 src1_sel:DWORD
	v_ashrrev_i32_e32 v63, s16, v64
	v_dot4c_i32_i8 v208, v172, v38
	v_and_b32_e32 v64, 0x3030303, v63
	v_bfe_u32 v63, v63, 24, 2
	v_lshrrev_b16 v175, 8, v64
	v_lshrrev_b32_e32 v174, 16, v64
	v_sub_nc_u16 v64, v64, v173
	v_sub_nc_u16 v63, v63, v177
	v_sub_nc_u16 v173, v175, v179
	v_lshlrev_b16 v63, 8, v63
	v_lshlrev_b16 v173, 8, v173
	v_or_b32_sdwa v64, v64, v173 dst_sel:DWORD dst_unused:UNUSED_PAD src0_sel:BYTE_0 src1_sel:DWORD
	v_sub_nc_u16 v173, v174, v176
	ds_read2_b32 v[174:175], v178 offset0:2 offset1:3
	v_or_b32_sdwa v63, v173, v63 dst_sel:WORD_1 dst_unused:UNUSED_PAD src0_sel:BYTE_0 src1_sel:DWORD
	v_or_b32_sdwa v173, v64, v63 dst_sel:DWORD dst_unused:UNUSED_PAD src0_sel:WORD_0 src1_sel:DWORD
	ds_read2_b32 v[63:64], v199 offset0:2 offset1:3
	v_dot4c_i32_i8 v208, v173, v39
	s_waitcnt lgkmcnt(1)
	v_ashrrev_i32_e32 v174, s0, v174
	v_ashrrev_i32_e32 v175, s0, v175
	v_lshlrev_b32_e32 v174, 2, v174
	v_lshlrev_b32_e32 v175, 2, v175
	s_waitcnt lgkmcnt(0)
	v_ashrrev_i32_e32 v63, s16, v63
	v_and_b32_e32 v174, 0x4040404, v174
	v_and_b32_e32 v175, 0x4040404, v175
	v_and_b32_e32 v176, 0x3030303, v63
	v_bfe_u32 v63, v63, 24, 2
	v_lshrrev_b16 v182, 8, v174
	v_lshrrev_b32_e32 v180, 16, v174
	v_lshrrev_b32_e32 v181, 24, v174
	v_lshrrev_b16 v179, 8, v176
	v_lshrrev_b32_e32 v177, 16, v176
	v_sub_nc_u16 v174, v176, v174
	v_sub_nc_u16 v63, v63, v181
	v_sub_nc_u16 v176, v179, v182
	v_lshrrev_b16 v181, 8, v175
	v_lshrrev_b32_e32 v179, 16, v175
	v_lshlrev_b16 v63, 8, v63
	v_lshlrev_b16 v176, 8, v176
	v_or_b32_sdwa v174, v174, v176 dst_sel:DWORD dst_unused:UNUSED_PAD src0_sel:BYTE_0 src1_sel:DWORD
	v_sub_nc_u16 v176, v177, v180
	v_lshrrev_b32_e32 v180, 24, v175
	v_or_b32_sdwa v63, v176, v63 dst_sel:WORD_1 dst_unused:UNUSED_PAD src0_sel:BYTE_0 src1_sel:DWORD
	v_or_b32_sdwa v174, v174, v63 dst_sel:DWORD dst_unused:UNUSED_PAD src0_sel:WORD_0 src1_sel:DWORD
	v_ashrrev_i32_e32 v63, s16, v64
	v_dot4c_i32_i8 v208, v174, v40
	v_and_b32_e32 v64, 0x3030303, v63
	v_bfe_u32 v63, v63, 24, 2
	v_lshrrev_b16 v177, 8, v64
	v_lshrrev_b32_e32 v176, 16, v64
	v_sub_nc_u16 v64, v64, v175
	v_sub_nc_u16 v63, v63, v180
	v_sub_nc_u16 v175, v177, v181
	v_lshlrev_b16 v63, 8, v63
	v_lshlrev_b16 v175, 8, v175
	v_or_b32_sdwa v64, v64, v175 dst_sel:DWORD dst_unused:UNUSED_PAD src0_sel:BYTE_0 src1_sel:DWORD
	v_sub_nc_u16 v175, v176, v179
	ds_read2_b32 v[176:177], v178 offset0:4 offset1:5
	v_or_b32_sdwa v63, v175, v63 dst_sel:WORD_1 dst_unused:UNUSED_PAD src0_sel:BYTE_0 src1_sel:DWORD
	v_or_b32_sdwa v175, v64, v63 dst_sel:DWORD dst_unused:UNUSED_PAD src0_sel:WORD_0 src1_sel:DWORD
	ds_read2_b32 v[63:64], v199 offset0:4 offset1:5
	v_dot4c_i32_i8 v208, v175, v41
	s_waitcnt lgkmcnt(1)
	v_ashrrev_i32_e32 v176, s0, v176
	v_ashrrev_i32_e32 v177, s0, v177
	v_lshlrev_b32_e32 v176, 2, v176
	v_lshlrev_b32_e32 v177, 2, v177
	s_waitcnt lgkmcnt(0)
	v_ashrrev_i32_e32 v63, s16, v63
	v_and_b32_e32 v176, 0x4040404, v176
	v_and_b32_e32 v177, 0x4040404, v177
	v_and_b32_e32 v179, 0x3030303, v63
	v_bfe_u32 v63, v63, 24, 2
	v_lshrrev_b16 v184, 8, v176
	v_lshrrev_b32_e32 v182, 16, v176
	v_lshrrev_b32_e32 v183, 24, v176
	v_lshrrev_b16 v181, 8, v179
	v_lshrrev_b32_e32 v180, 16, v179
	v_sub_nc_u16 v176, v179, v176
	v_sub_nc_u16 v63, v63, v183
	v_sub_nc_u16 v179, v181, v184
	v_lshrrev_b16 v183, 8, v177
	v_lshrrev_b32_e32 v181, 16, v177
	v_lshlrev_b16 v63, 8, v63
	v_lshlrev_b16 v179, 8, v179
	v_or_b32_sdwa v176, v176, v179 dst_sel:DWORD dst_unused:UNUSED_PAD src0_sel:BYTE_0 src1_sel:DWORD
	v_sub_nc_u16 v179, v180, v182
	v_lshrrev_b32_e32 v182, 24, v177
	;; [unrolled: 46-line block ×3, first 2 shown]
	v_or_b32_sdwa v63, v180, v63 dst_sel:WORD_1 dst_unused:UNUSED_PAD src0_sel:BYTE_0 src1_sel:DWORD
	v_or_b32_sdwa v178, v178, v63 dst_sel:DWORD dst_unused:UNUSED_PAD src0_sel:WORD_0 src1_sel:DWORD
	v_ashrrev_i32_e32 v63, s16, v64
	v_dot4c_i32_i8 v211, v178, v36
	v_and_b32_e32 v64, 0x3030303, v63
	v_bfe_u32 v63, v63, 24, 2
	v_lshrrev_b16 v181, 8, v64
	v_lshrrev_b32_e32 v180, 16, v64
	v_sub_nc_u16 v64, v64, v179
	v_sub_nc_u16 v63, v63, v183
	;; [unrolled: 1-line block ×3, first 2 shown]
	v_lshlrev_b16 v63, 8, v63
	v_lshlrev_b16 v179, 8, v179
	v_or_b32_sdwa v64, v64, v179 dst_sel:DWORD dst_unused:UNUSED_PAD src0_sel:BYTE_0 src1_sel:DWORD
	v_sub_nc_u16 v179, v180, v182
	ds_read2_b32 v[181:182], v186 offset1:1
	v_or_b32_sdwa v63, v179, v63 dst_sel:WORD_1 dst_unused:UNUSED_PAD src0_sel:BYTE_0 src1_sel:DWORD
	v_or_b32_sdwa v180, v64, v63 dst_sel:DWORD dst_unused:UNUSED_PAD src0_sel:WORD_0 src1_sel:DWORD
	v_add3_u32 v63, s18, v166, v167
	v_dot4c_i32_i8 v211, v180, v37
	ds_read_b32 v179, v63
	v_add_nc_u32_e32 v63, 0x1080, v199
	s_waitcnt lgkmcnt(1)
	v_ashrrev_i32_e32 v181, s0, v181
	ds_read2_b32 v[63:64], v63 offset1:1
	v_ashrrev_i32_e32 v182, s0, v182
	v_lshlrev_b32_e32 v181, 2, v181
	v_lshlrev_b32_e32 v182, 2, v182
	v_and_b32_e32 v181, 0x4040404, v181
	v_and_b32_e32 v182, 0x4040404, v182
	v_lshrrev_b16 v189, 8, v181
	v_lshrrev_b32_e32 v187, 16, v181
	v_lshrrev_b32_e32 v188, 24, v181
	s_waitcnt lgkmcnt(0)
	v_ashrrev_i32_e32 v63, s16, v63
	v_and_b32_e32 v183, 0x3030303, v63
	v_bfe_u32 v63, v63, 24, 2
	v_lshrrev_b16 v185, 8, v183
	v_lshrrev_b32_e32 v184, 16, v183
	v_sub_nc_u16 v181, v183, v181
	v_sub_nc_u16 v63, v63, v188
	v_lshrrev_b16 v188, 8, v182
	v_sub_nc_u16 v183, v185, v189
	v_lshrrev_b32_e32 v185, 16, v182
	v_lshlrev_b16 v63, 8, v63
	v_lshlrev_b16 v183, 8, v183
	v_or_b32_sdwa v181, v181, v183 dst_sel:DWORD dst_unused:UNUSED_PAD src0_sel:BYTE_0 src1_sel:DWORD
	v_sub_nc_u16 v183, v184, v187
	v_lshrrev_b32_e32 v187, 24, v182
	v_or_b32_sdwa v63, v183, v63 dst_sel:WORD_1 dst_unused:UNUSED_PAD src0_sel:BYTE_0 src1_sel:DWORD
	v_or_b32_sdwa v183, v181, v63 dst_sel:DWORD dst_unused:UNUSED_PAD src0_sel:WORD_0 src1_sel:DWORD
	v_ashrrev_i32_e32 v63, s16, v64
	v_dot4c_i32_i8 v209, v183, v38
	v_and_b32_e32 v64, 0x3030303, v63
	v_bfe_u32 v63, v63, 24, 2
	v_lshrrev_b16 v184, 8, v64
	v_lshrrev_b32_e32 v181, 16, v64
	v_sub_nc_u16 v64, v64, v182
	v_sub_nc_u16 v63, v63, v187
	;; [unrolled: 1-line block ×4, first 2 shown]
	v_lshlrev_b16 v63, 8, v63
	v_lshlrev_b16 v182, 8, v182
	v_or_b32_sdwa v63, v181, v63 dst_sel:WORD_1 dst_unused:UNUSED_PAD src0_sel:BYTE_0 src1_sel:DWORD
	v_or_b32_sdwa v64, v64, v182 dst_sel:DWORD dst_unused:UNUSED_PAD src0_sel:BYTE_0 src1_sel:DWORD
	ds_read2_b32 v[181:182], v186 offset0:2 offset1:3
	v_or_b32_sdwa v184, v64, v63 dst_sel:DWORD dst_unused:UNUSED_PAD src0_sel:WORD_0 src1_sel:DWORD
	v_add_nc_u32_e32 v63, 0x1088, v199
	v_dot4c_i32_i8 v209, v184, v39
	ds_read2_b32 v[63:64], v63 offset1:1
	s_waitcnt lgkmcnt(1)
	v_ashrrev_i32_e32 v181, s0, v181
	v_ashrrev_i32_e32 v182, s0, v182
	v_lshlrev_b32_e32 v181, 2, v181
	v_lshlrev_b32_e32 v182, 2, v182
	s_waitcnt lgkmcnt(0)
	v_ashrrev_i32_e32 v63, s16, v63
	v_and_b32_e32 v181, 0x4040404, v181
	v_and_b32_e32 v182, 0x4040404, v182
	;; [unrolled: 1-line block ×3, first 2 shown]
	v_bfe_u32 v63, v63, 24, 2
	v_lshrrev_b16 v191, 8, v181
	v_lshrrev_b32_e32 v189, 16, v181
	v_lshrrev_b32_e32 v190, 24, v181
	v_lshrrev_b16 v188, 8, v185
	v_lshrrev_b32_e32 v187, 16, v185
	v_sub_nc_u16 v181, v185, v181
	v_sub_nc_u16 v63, v63, v190
	;; [unrolled: 1-line block ×3, first 2 shown]
	v_lshrrev_b16 v190, 8, v182
	v_lshrrev_b32_e32 v188, 16, v182
	v_lshlrev_b16 v63, 8, v63
	v_lshlrev_b16 v185, 8, v185
	v_or_b32_sdwa v181, v181, v185 dst_sel:DWORD dst_unused:UNUSED_PAD src0_sel:BYTE_0 src1_sel:DWORD
	v_sub_nc_u16 v185, v187, v189
	v_lshrrev_b32_e32 v189, 24, v182
	v_or_b32_sdwa v63, v185, v63 dst_sel:WORD_1 dst_unused:UNUSED_PAD src0_sel:BYTE_0 src1_sel:DWORD
	v_or_b32_sdwa v187, v181, v63 dst_sel:DWORD dst_unused:UNUSED_PAD src0_sel:WORD_0 src1_sel:DWORD
	v_ashrrev_i32_e32 v63, s16, v64
	v_dot4c_i32_i8 v209, v187, v40
	v_and_b32_e32 v64, 0x3030303, v63
	v_bfe_u32 v63, v63, 24, 2
	v_lshrrev_b16 v185, 8, v64
	v_lshrrev_b32_e32 v181, 16, v64
	v_sub_nc_u16 v64, v64, v182
	v_sub_nc_u16 v63, v63, v189
	;; [unrolled: 1-line block ×4, first 2 shown]
	v_lshlrev_b16 v63, 8, v63
	v_lshlrev_b16 v182, 8, v182
	v_or_b32_sdwa v63, v181, v63 dst_sel:WORD_1 dst_unused:UNUSED_PAD src0_sel:BYTE_0 src1_sel:DWORD
	v_or_b32_sdwa v64, v64, v182 dst_sel:DWORD dst_unused:UNUSED_PAD src0_sel:BYTE_0 src1_sel:DWORD
	ds_read2_b32 v[181:182], v186 offset0:4 offset1:5
	v_or_b32_sdwa v189, v64, v63 dst_sel:DWORD dst_unused:UNUSED_PAD src0_sel:WORD_0 src1_sel:DWORD
	v_add_nc_u32_e32 v63, 0x1090, v199
	v_dot4c_i32_i8 v209, v189, v41
	ds_read2_b32 v[63:64], v63 offset1:1
	s_waitcnt lgkmcnt(1)
	v_ashrrev_i32_e32 v181, s0, v181
	v_ashrrev_i32_e32 v182, s0, v182
	v_lshlrev_b32_e32 v181, 2, v181
	v_lshlrev_b32_e32 v182, 2, v182
	s_waitcnt lgkmcnt(0)
	v_ashrrev_i32_e32 v63, s16, v63
	v_and_b32_e32 v181, 0x4040404, v181
	v_and_b32_e32 v182, 0x4040404, v182
	;; [unrolled: 1-line block ×3, first 2 shown]
	v_bfe_u32 v63, v63, 24, 2
	v_lshrrev_b16 v193, 8, v181
	v_lshrrev_b32_e32 v191, 16, v181
	v_lshrrev_b32_e32 v192, 24, v181
	v_lshrrev_b16 v190, 8, v185
	v_lshrrev_b32_e32 v188, 16, v185
	v_sub_nc_u16 v181, v185, v181
	v_sub_nc_u16 v63, v63, v192
	;; [unrolled: 1-line block ×3, first 2 shown]
	v_lshrrev_b16 v192, 8, v182
	v_lshrrev_b32_e32 v190, 16, v182
	v_lshlrev_b16 v63, 8, v63
	v_lshlrev_b16 v185, 8, v185
	v_or_b32_sdwa v181, v181, v185 dst_sel:DWORD dst_unused:UNUSED_PAD src0_sel:BYTE_0 src1_sel:DWORD
	v_sub_nc_u16 v185, v188, v191
	v_lshrrev_b32_e32 v191, 24, v182
	v_or_b32_sdwa v63, v185, v63 dst_sel:WORD_1 dst_unused:UNUSED_PAD src0_sel:BYTE_0 src1_sel:DWORD
	v_or_b32_sdwa v181, v181, v63 dst_sel:DWORD dst_unused:UNUSED_PAD src0_sel:WORD_0 src1_sel:DWORD
	v_ashrrev_i32_e32 v63, s16, v64
	v_dot4c_i32_i8 v213, v181, v34
	v_and_b32_e32 v64, 0x3030303, v63
	v_bfe_u32 v63, v63, 24, 2
	v_lshrrev_b16 v188, 8, v64
	v_lshrrev_b32_e32 v185, 16, v64
	v_sub_nc_u16 v64, v64, v182
	v_sub_nc_u16 v63, v63, v191
	;; [unrolled: 1-line block ×3, first 2 shown]
	v_lshlrev_b16 v63, 8, v63
	v_lshlrev_b16 v182, 8, v182
	v_or_b32_sdwa v64, v64, v182 dst_sel:DWORD dst_unused:UNUSED_PAD src0_sel:BYTE_0 src1_sel:DWORD
	v_sub_nc_u16 v182, v185, v190
	ds_read2_b32 v[185:186], v186 offset0:6 offset1:7
	v_or_b32_sdwa v63, v182, v63 dst_sel:WORD_1 dst_unused:UNUSED_PAD src0_sel:BYTE_0 src1_sel:DWORD
	v_or_b32_sdwa v182, v64, v63 dst_sel:DWORD dst_unused:UNUSED_PAD src0_sel:WORD_0 src1_sel:DWORD
	v_add_nc_u32_e32 v63, 0x1098, v199
	v_dot4c_i32_i8 v213, v182, v35
	ds_read2_b32 v[63:64], v63 offset1:1
	s_waitcnt lgkmcnt(1)
	v_ashrrev_i32_e32 v185, s0, v185
	v_ashrrev_i32_e32 v186, s0, v186
	v_lshlrev_b32_e32 v185, 2, v185
	v_lshlrev_b32_e32 v186, 2, v186
	v_and_b32_e32 v185, 0x4040404, v185
	v_and_b32_e32 v186, 0x4040404, v186
	s_waitcnt lgkmcnt(0)
	v_ashrrev_i32_e32 v63, s16, v63
	v_lshrrev_b16 v194, 8, v185
	v_lshrrev_b32_e32 v192, 16, v185
	v_lshrrev_b32_e32 v193, 24, v185
	v_and_b32_e32 v188, 0x3030303, v63
	v_bfe_u32 v63, v63, 24, 2
	v_lshrrev_b16 v191, 8, v188
	v_lshrrev_b32_e32 v190, 16, v188
	v_sub_nc_u16 v185, v188, v185
	v_sub_nc_u16 v63, v63, v193
	v_lshrrev_b16 v193, 8, v186
	v_sub_nc_u16 v188, v191, v194
	v_lshrrev_b32_e32 v191, 16, v186
	v_lshlrev_b16 v63, 8, v63
	v_lshlrev_b16 v188, 8, v188
	v_or_b32_sdwa v185, v185, v188 dst_sel:DWORD dst_unused:UNUSED_PAD src0_sel:BYTE_0 src1_sel:DWORD
	v_sub_nc_u16 v188, v190, v192
	v_lshrrev_b32_e32 v192, 24, v186
	v_or_b32_sdwa v63, v188, v63 dst_sel:WORD_1 dst_unused:UNUSED_PAD src0_sel:BYTE_0 src1_sel:DWORD
	v_or_b32_sdwa v185, v185, v63 dst_sel:DWORD dst_unused:UNUSED_PAD src0_sel:WORD_0 src1_sel:DWORD
	v_ashrrev_i32_e32 v63, s16, v64
	v_dot4c_i32_i8 v213, v185, v36
	v_and_b32_e32 v64, 0x3030303, v63
	v_bfe_u32 v63, v63, 24, 2
	v_lshrrev_b16 v190, 8, v64
	v_lshrrev_b32_e32 v188, 16, v64
	v_sub_nc_u16 v64, v64, v186
	v_sub_nc_u16 v63, v63, v192
	;; [unrolled: 1-line block ×3, first 2 shown]
	v_lshlrev_b16 v63, 8, v63
	v_lshlrev_b16 v186, 8, v186
	v_or_b32_sdwa v64, v64, v186 dst_sel:DWORD dst_unused:UNUSED_PAD src0_sel:BYTE_0 src1_sel:DWORD
	v_sub_nc_u16 v186, v188, v191
	ds_read2_b32 v[190:191], v196 offset1:1
	v_or_b32_sdwa v63, v186, v63 dst_sel:WORD_1 dst_unused:UNUSED_PAD src0_sel:BYTE_0 src1_sel:DWORD
	v_or_b32_sdwa v188, v64, v63 dst_sel:DWORD dst_unused:UNUSED_PAD src0_sel:WORD_0 src1_sel:DWORD
	v_add3_u32 v63, s18, v160, v121
	v_dot4c_i32_i8 v213, v188, v37
	ds_read_b32 v186, v63
	v_add_nc_u32_e32 v63, 0x2100, v199
	s_waitcnt lgkmcnt(1)
	v_ashrrev_i32_e32 v190, s0, v190
	ds_read2_b32 v[63:64], v63 offset1:1
	v_ashrrev_i32_e32 v191, s0, v191
	v_lshlrev_b32_e32 v190, 2, v190
	v_lshlrev_b32_e32 v191, 2, v191
	v_and_b32_e32 v190, 0x4040404, v190
	v_and_b32_e32 v191, 0x4040404, v191
	v_lshrrev_b16 v198, 8, v190
	v_lshrrev_b32_e32 v195, 16, v190
	v_lshrrev_b32_e32 v197, 24, v190
	s_waitcnt lgkmcnt(0)
	v_ashrrev_i32_e32 v63, s16, v63
	v_and_b32_e32 v192, 0x3030303, v63
	v_bfe_u32 v63, v63, 24, 2
	v_lshrrev_b16 v194, 8, v192
	v_lshrrev_b32_e32 v193, 16, v192
	v_sub_nc_u16 v190, v192, v190
	v_sub_nc_u16 v63, v63, v197
	v_lshrrev_b16 v197, 8, v191
	v_sub_nc_u16 v192, v194, v198
	v_lshrrev_b32_e32 v194, 16, v191
	v_lshlrev_b16 v63, 8, v63
	v_lshlrev_b16 v192, 8, v192
	v_or_b32_sdwa v190, v190, v192 dst_sel:DWORD dst_unused:UNUSED_PAD src0_sel:BYTE_0 src1_sel:DWORD
	v_sub_nc_u16 v192, v193, v195
	v_lshrrev_b32_e32 v195, 24, v191
	v_or_b32_sdwa v63, v192, v63 dst_sel:WORD_1 dst_unused:UNUSED_PAD src0_sel:BYTE_0 src1_sel:DWORD
	v_or_b32_sdwa v190, v190, v63 dst_sel:DWORD dst_unused:UNUSED_PAD src0_sel:WORD_0 src1_sel:DWORD
	v_ashrrev_i32_e32 v63, s16, v64
	v_dot4c_i32_i8 v214, v190, v38
	v_and_b32_e32 v64, 0x3030303, v63
	v_bfe_u32 v63, v63, 24, 2
	v_lshrrev_b16 v193, 8, v64
	v_lshrrev_b32_e32 v192, 16, v64
	v_sub_nc_u16 v64, v64, v191
	v_sub_nc_u16 v63, v63, v195
	v_sub_nc_u16 v191, v193, v197
	v_lshlrev_b16 v63, 8, v63
	v_lshlrev_b16 v191, 8, v191
	v_or_b32_sdwa v64, v64, v191 dst_sel:DWORD dst_unused:UNUSED_PAD src0_sel:BYTE_0 src1_sel:DWORD
	v_sub_nc_u16 v191, v192, v194
	ds_read2_b32 v[192:193], v196 offset0:2 offset1:3
	v_or_b32_sdwa v63, v191, v63 dst_sel:WORD_1 dst_unused:UNUSED_PAD src0_sel:BYTE_0 src1_sel:DWORD
	v_or_b32_sdwa v191, v64, v63 dst_sel:DWORD dst_unused:UNUSED_PAD src0_sel:WORD_0 src1_sel:DWORD
	v_add_nc_u32_e32 v63, 0x2108, v199
	v_dot4c_i32_i8 v214, v191, v39
	ds_read2_b32 v[63:64], v63 offset1:1
	s_waitcnt lgkmcnt(1)
	v_ashrrev_i32_e32 v192, s0, v192
	v_ashrrev_i32_e32 v193, s0, v193
	v_lshlrev_b32_e32 v192, 2, v192
	v_lshlrev_b32_e32 v193, 2, v193
	v_and_b32_e32 v192, 0x4040404, v192
	v_and_b32_e32 v193, 0x4040404, v193
	s_waitcnt lgkmcnt(0)
	v_ashrrev_i32_e32 v63, s16, v63
	v_lshrrev_b16 v201, 8, v192
	v_lshrrev_b32_e32 v198, 16, v192
	v_lshrrev_b32_e32 v200, 24, v192
	v_and_b32_e32 v194, 0x3030303, v63
	v_bfe_u32 v63, v63, 24, 2
	v_lshrrev_b16 v197, 8, v194
	v_lshrrev_b32_e32 v195, 16, v194
	v_sub_nc_u16 v192, v194, v192
	v_sub_nc_u16 v63, v63, v200
	v_lshrrev_b16 v200, 8, v193
	v_sub_nc_u16 v194, v197, v201
	v_lshrrev_b32_e32 v197, 16, v193
	v_lshlrev_b16 v63, 8, v63
	v_lshlrev_b16 v194, 8, v194
	v_or_b32_sdwa v192, v192, v194 dst_sel:DWORD dst_unused:UNUSED_PAD src0_sel:BYTE_0 src1_sel:DWORD
	v_sub_nc_u16 v194, v195, v198
	v_lshrrev_b32_e32 v198, 24, v193
	v_or_b32_sdwa v63, v194, v63 dst_sel:WORD_1 dst_unused:UNUSED_PAD src0_sel:BYTE_0 src1_sel:DWORD
	v_or_b32_sdwa v192, v192, v63 dst_sel:DWORD dst_unused:UNUSED_PAD src0_sel:WORD_0 src1_sel:DWORD
	v_ashrrev_i32_e32 v63, s16, v64
	v_dot4c_i32_i8 v214, v192, v40
	v_and_b32_e32 v64, 0x3030303, v63
	v_bfe_u32 v63, v63, 24, 2
	v_lshrrev_b16 v195, 8, v64
	v_lshrrev_b32_e32 v194, 16, v64
	v_sub_nc_u16 v64, v64, v193
	v_sub_nc_u16 v63, v63, v198
	v_sub_nc_u16 v193, v195, v200
	v_lshlrev_b16 v63, 8, v63
	v_lshlrev_b16 v193, 8, v193
	v_or_b32_sdwa v64, v64, v193 dst_sel:DWORD dst_unused:UNUSED_PAD src0_sel:BYTE_0 src1_sel:DWORD
	v_sub_nc_u16 v193, v194, v197
	ds_read2_b32 v[194:195], v196 offset0:4 offset1:5
	v_or_b32_sdwa v63, v193, v63 dst_sel:WORD_1 dst_unused:UNUSED_PAD src0_sel:BYTE_0 src1_sel:DWORD
	v_or_b32_sdwa v193, v64, v63 dst_sel:DWORD dst_unused:UNUSED_PAD src0_sel:WORD_0 src1_sel:DWORD
	v_add_nc_u32_e32 v63, 0x2110, v199
	v_dot4c_i32_i8 v214, v193, v41
	ds_read2_b32 v[63:64], v63 offset1:1
	s_waitcnt lgkmcnt(1)
	v_ashrrev_i32_e32 v194, s0, v194
	v_ashrrev_i32_e32 v195, s0, v195
	v_lshlrev_b32_e32 v194, 2, v194
	v_lshlrev_b32_e32 v195, 2, v195
	v_and_b32_e32 v194, 0x4040404, v194
	v_and_b32_e32 v195, 0x4040404, v195
	s_waitcnt lgkmcnt(0)
	v_ashrrev_i32_e32 v63, s16, v63
	v_lshrrev_b16 v203, 8, v194
	v_lshrrev_b32_e32 v201, 16, v194
	v_lshrrev_b32_e32 v202, 24, v194
	;; [unrolled: 47-line block ×3, first 2 shown]
	v_and_b32_e32 v198, 0x3030303, v63
	v_bfe_u32 v63, v63, 24, 2
	v_lshrrev_b16 v201, 8, v198
	v_lshrrev_b32_e32 v200, 16, v198
	v_sub_nc_u16 v196, v198, v196
	v_sub_nc_u16 v63, v63, v203
	v_lshrrev_b16 v203, 8, v197
	v_sub_nc_u16 v198, v201, v204
	v_lshrrev_b32_e32 v201, 16, v197
	v_lshlrev_b16 v63, 8, v63
	v_lshlrev_b16 v198, 8, v198
	v_or_b32_sdwa v196, v196, v198 dst_sel:DWORD dst_unused:UNUSED_PAD src0_sel:BYTE_0 src1_sel:DWORD
	v_sub_nc_u16 v198, v200, v202
	v_lshrrev_b32_e32 v202, 24, v197
	v_or_b32_sdwa v63, v198, v63 dst_sel:WORD_1 dst_unused:UNUSED_PAD src0_sel:BYTE_0 src1_sel:DWORD
	v_or_b32_sdwa v196, v196, v63 dst_sel:DWORD dst_unused:UNUSED_PAD src0_sel:WORD_0 src1_sel:DWORD
	v_ashrrev_i32_e32 v63, s16, v64
	v_dot4c_i32_i8 v216, v196, v36
	v_and_b32_e32 v64, 0x3030303, v63
	v_bfe_u32 v63, v63, 24, 2
	v_lshrrev_b16 v200, 8, v64
	v_lshrrev_b32_e32 v198, 16, v64
	v_sub_nc_u16 v64, v64, v197
	v_sub_nc_u16 v63, v63, v202
	;; [unrolled: 1-line block ×3, first 2 shown]
	v_add3_u32 v203, s19, v163, v124
	v_lshlrev_b16 v63, 8, v63
	v_lshlrev_b16 v197, 8, v197
	ds_read2_b32 v[204:205], v203 offset1:1
	v_or_b32_sdwa v64, v64, v197 dst_sel:DWORD dst_unused:UNUSED_PAD src0_sel:BYTE_0 src1_sel:DWORD
	v_sub_nc_u16 v197, v198, v201
	v_or_b32_sdwa v63, v197, v63 dst_sel:WORD_1 dst_unused:UNUSED_PAD src0_sel:BYTE_0 src1_sel:DWORD
	v_or_b32_sdwa v198, v64, v63 dst_sel:DWORD dst_unused:UNUSED_PAD src0_sel:WORD_0 src1_sel:DWORD
	v_add3_u32 v63, s18, v162, v123
	v_dot4c_i32_i8 v216, v198, v37
	ds_read_b32 v197, v63
	v_add_nc_u32_e32 v63, 0x3180, v199
	s_waitcnt lgkmcnt(1)
	v_ashrrev_i32_e32 v204, s0, v204
	ds_read2_b32 v[63:64], v63 offset1:1
	v_lshlrev_b32_e32 v204, 2, v204
	v_and_b32_e32 v204, 0x4040404, v204
	v_lshrrev_b32_e32 v207, 24, v204
	v_lshrrev_b16 v217, 8, v204
	v_lshrrev_b32_e32 v206, 16, v204
	s_waitcnt lgkmcnt(0)
	v_ashrrev_i32_e32 v200, s16, v63
	v_and_b32_e32 v201, 0x3030303, v200
	v_bfe_u32 v200, v200, 24, 2
	v_lshrrev_b16 v202, 8, v201
	v_lshrrev_b32_e32 v63, 16, v201
	v_sub_nc_u16 v200, v200, v207
	v_sub_nc_u16 v201, v201, v204
	;; [unrolled: 1-line block ×4, first 2 shown]
	v_lshlrev_b16 v200, 8, v200
	v_lshlrev_b16 v202, 8, v202
	v_or_b32_sdwa v63, v63, v200 dst_sel:WORD_1 dst_unused:UNUSED_PAD src0_sel:BYTE_0 src1_sel:DWORD
	v_or_b32_sdwa v201, v201, v202 dst_sel:DWORD dst_unused:UNUSED_PAD src0_sel:BYTE_0 src1_sel:DWORD
	v_ashrrev_i32_e32 v202, s0, v205
	v_or_b32_sdwa v204, v201, v63 dst_sel:DWORD dst_unused:UNUSED_PAD src0_sel:WORD_0 src1_sel:DWORD
	v_ashrrev_i32_e32 v63, s16, v64
	v_lshlrev_b32_e32 v202, 2, v202
	v_and_b32_e32 v64, 0x3030303, v63
	v_and_b32_e32 v202, 0x4040404, v202
	v_bfe_u32 v63, v63, 24, 2
	v_lshrrev_b16 v201, 8, v64
	v_lshrrev_b32_e32 v206, 24, v202
	v_lshrrev_b16 v207, 8, v202
	v_lshrrev_b32_e32 v200, 16, v64
	v_lshrrev_b32_e32 v205, 16, v202
	v_sub_nc_u16 v64, v64, v202
	v_sub_nc_u16 v63, v63, v206
	;; [unrolled: 1-line block ×4, first 2 shown]
	v_lshlrev_b16 v63, 8, v63
	v_lshlrev_b16 v201, 8, v201
	v_or_b32_sdwa v63, v200, v63 dst_sel:WORD_1 dst_unused:UNUSED_PAD src0_sel:BYTE_0 src1_sel:DWORD
	v_or_b32_sdwa v64, v64, v201 dst_sel:DWORD dst_unused:UNUSED_PAD src0_sel:BYTE_0 src1_sel:DWORD
	ds_read2_b32 v[200:201], v203 offset0:2 offset1:3
	v_or_b32_sdwa v205, v64, v63 dst_sel:DWORD dst_unused:UNUSED_PAD src0_sel:WORD_0 src1_sel:DWORD
	v_add_nc_u32_e32 v63, 0x3188, v199
	ds_read2_b32 v[63:64], v63 offset1:1
	s_waitcnt lgkmcnt(1)
	v_ashrrev_i32_e32 v200, s0, v200
	v_ashrrev_i32_e32 v201, s0, v201
	v_lshlrev_b32_e32 v200, 2, v200
	v_lshlrev_b32_e32 v201, 2, v201
	s_waitcnt lgkmcnt(0)
	v_ashrrev_i32_e32 v63, s16, v63
	v_and_b32_e32 v200, 0x4040404, v200
	v_and_b32_e32 v201, 0x4040404, v201
	v_and_b32_e32 v202, 0x3030303, v63
	v_lshrrev_b16 v219, 8, v200
	v_bfe_u32 v63, v63, 24, 2
	v_lshrrev_b32_e32 v217, 16, v200
	v_lshrrev_b32_e32 v218, 24, v200
	v_lshrrev_b16 v207, 8, v202
	v_lshrrev_b32_e32 v206, 16, v202
	v_sub_nc_u16 v200, v202, v200
	v_sub_nc_u16 v63, v63, v218
	v_sub_nc_u16 v202, v207, v219
	v_lshrrev_b16 v218, 8, v201
	v_lshrrev_b32_e32 v207, 16, v201
	v_lshlrev_b16 v63, 8, v63
	v_lshlrev_b16 v202, 8, v202
	v_or_b32_sdwa v200, v200, v202 dst_sel:DWORD dst_unused:UNUSED_PAD src0_sel:BYTE_0 src1_sel:DWORD
	v_sub_nc_u16 v202, v206, v217
	v_lshrrev_b32_e32 v217, 24, v201
	v_or_b32_sdwa v63, v202, v63 dst_sel:WORD_1 dst_unused:UNUSED_PAD src0_sel:BYTE_0 src1_sel:DWORD
	v_or_b32_sdwa v206, v200, v63 dst_sel:DWORD dst_unused:UNUSED_PAD src0_sel:WORD_0 src1_sel:DWORD
	v_ashrrev_i32_e32 v63, s16, v64
	v_and_b32_e32 v64, 0x3030303, v63
	v_bfe_u32 v63, v63, 24, 2
	v_lshrrev_b16 v202, 8, v64
	v_lshrrev_b32_e32 v200, 16, v64
	v_sub_nc_u16 v64, v64, v201
	v_sub_nc_u16 v63, v63, v217
	;; [unrolled: 1-line block ×4, first 2 shown]
	v_lshlrev_b16 v63, 8, v63
	v_lshlrev_b16 v201, 8, v201
	v_or_b32_sdwa v63, v200, v63 dst_sel:WORD_1 dst_unused:UNUSED_PAD src0_sel:BYTE_0 src1_sel:DWORD
	v_or_b32_sdwa v64, v64, v201 dst_sel:DWORD dst_unused:UNUSED_PAD src0_sel:BYTE_0 src1_sel:DWORD
	ds_read2_b32 v[200:201], v203 offset0:4 offset1:5
	v_or_b32_sdwa v207, v64, v63 dst_sel:DWORD dst_unused:UNUSED_PAD src0_sel:WORD_0 src1_sel:DWORD
	v_add_nc_u32_e32 v63, 0x3190, v199
	ds_read2_b32 v[63:64], v63 offset1:1
	s_waitcnt lgkmcnt(1)
	v_ashrrev_i32_e32 v200, s0, v200
	v_ashrrev_i32_e32 v201, s0, v201
	v_lshlrev_b32_e32 v200, 2, v200
	v_lshlrev_b32_e32 v201, 2, v201
	s_waitcnt lgkmcnt(0)
	v_ashrrev_i32_e32 v63, s16, v63
	v_and_b32_e32 v200, 0x4040404, v200
	v_and_b32_e32 v201, 0x4040404, v201
	v_and_b32_e32 v202, 0x3030303, v63
	v_bfe_u32 v63, v63, 24, 2
	v_lshrrev_b16 v221, 8, v200
	v_lshrrev_b32_e32 v219, 16, v200
	v_lshrrev_b32_e32 v220, 24, v200
	v_lshrrev_b16 v218, 8, v202
	v_lshrrev_b32_e32 v217, 16, v202
	v_sub_nc_u16 v200, v202, v200
	v_sub_nc_u16 v63, v63, v220
	;; [unrolled: 1-line block ×3, first 2 shown]
	v_lshrrev_b16 v220, 8, v201
	v_lshrrev_b32_e32 v218, 16, v201
	v_lshlrev_b16 v63, 8, v63
	v_lshlrev_b16 v202, 8, v202
	v_or_b32_sdwa v200, v200, v202 dst_sel:DWORD dst_unused:UNUSED_PAD src0_sel:BYTE_0 src1_sel:DWORD
	v_sub_nc_u16 v202, v217, v219
	v_lshrrev_b32_e32 v219, 24, v201
	v_or_b32_sdwa v63, v202, v63 dst_sel:WORD_1 dst_unused:UNUSED_PAD src0_sel:BYTE_0 src1_sel:DWORD
	v_or_b32_sdwa v200, v200, v63 dst_sel:DWORD dst_unused:UNUSED_PAD src0_sel:WORD_0 src1_sel:DWORD
	v_ashrrev_i32_e32 v63, s16, v64
	v_and_b32_e32 v64, 0x3030303, v63
	v_bfe_u32 v63, v63, 24, 2
	v_lshrrev_b16 v217, 8, v64
	v_lshrrev_b32_e32 v202, 16, v64
	v_sub_nc_u16 v64, v64, v201
	v_sub_nc_u16 v63, v63, v219
	;; [unrolled: 1-line block ×3, first 2 shown]
	v_lshlrev_b16 v63, 8, v63
	v_lshlrev_b16 v201, 8, v201
	v_or_b32_sdwa v64, v64, v201 dst_sel:DWORD dst_unused:UNUSED_PAD src0_sel:BYTE_0 src1_sel:DWORD
	v_sub_nc_u16 v201, v202, v218
	ds_read2_b32 v[202:203], v203 offset0:6 offset1:7
	v_or_b32_sdwa v63, v201, v63 dst_sel:WORD_1 dst_unused:UNUSED_PAD src0_sel:BYTE_0 src1_sel:DWORD
	v_or_b32_sdwa v201, v64, v63 dst_sel:DWORD dst_unused:UNUSED_PAD src0_sel:WORD_0 src1_sel:DWORD
	v_add_nc_u32_e32 v63, 0x3198, v199
	ds_read2_b32 v[63:64], v63 offset1:1
	s_waitcnt lgkmcnt(1)
	v_ashrrev_i32_e32 v202, s0, v202
	v_ashrrev_i32_e32 v203, s0, v203
	v_lshlrev_b32_e32 v202, 2, v202
	v_lshlrev_b32_e32 v203, 2, v203
	v_and_b32_e32 v202, 0x4040404, v202
	v_and_b32_e32 v203, 0x4040404, v203
	s_waitcnt lgkmcnt(0)
	v_ashrrev_i32_e32 v63, s16, v63
	v_lshrrev_b16 v221, 8, v202
	v_lshrrev_b32_e32 v219, 16, v202
	v_lshrrev_b32_e32 v220, 24, v202
	v_and_b32_e32 v199, 0x3030303, v63
	v_bfe_u32 v63, v63, 24, 2
	v_lshrrev_b16 v218, 8, v199
	v_lshrrev_b32_e32 v217, 16, v199
	v_sub_nc_u16 v199, v199, v202
	v_sub_nc_u16 v63, v63, v220
	v_lshrrev_b16 v220, 8, v203
	v_sub_nc_u16 v202, v218, v221
	v_lshrrev_b32_e32 v218, 16, v203
	v_mov_b32_e32 v221, 0
	v_lshlrev_b16 v63, 8, v63
	v_lshlrev_b16 v202, 8, v202
	v_or_b32_sdwa v199, v199, v202 dst_sel:DWORD dst_unused:UNUSED_PAD src0_sel:BYTE_0 src1_sel:DWORD
	v_sub_nc_u16 v202, v217, v219
	v_lshrrev_b32_e32 v219, 24, v203
	v_or_b32_sdwa v63, v202, v63 dst_sel:WORD_1 dst_unused:UNUSED_PAD src0_sel:BYTE_0 src1_sel:DWORD
	v_or_b32_sdwa v202, v199, v63 dst_sel:DWORD dst_unused:UNUSED_PAD src0_sel:WORD_0 src1_sel:DWORD
	v_ashrrev_i32_e32 v63, s16, v64
	v_and_b32_e32 v64, 0x3030303, v63
	v_bfe_u32 v63, v63, 24, 2
	v_lshrrev_b32_e32 v199, 16, v64
	v_lshrrev_b16 v217, 8, v64
	v_sub_nc_u16 v64, v64, v203
	v_sub_nc_u16 v63, v63, v219
	v_add_nc_u32_e32 v219, s17, v132
	v_sub_nc_u16 v199, v199, v218
	v_sub_nc_u16 v203, v217, v220
	v_mov_b32_e32 v218, 0
	v_mov_b32_e32 v220, 0
	v_lshlrev_b16 v63, 8, v63
	s_mov_b32 s17, s15
	v_lshlrev_b16 v203, 8, v203
	v_dot4c_i32_i8 v218, v204, v38
	v_dot4c_i32_i8 v220, v200, v34
	v_or_b32_sdwa v63, v199, v63 dst_sel:WORD_1 dst_unused:UNUSED_PAD src0_sel:BYTE_0 src1_sel:DWORD
	v_or_b32_sdwa v64, v64, v203 dst_sel:DWORD dst_unused:UNUSED_PAD src0_sel:BYTE_0 src1_sel:DWORD
	v_dot4c_i32_i8 v218, v205, v39
	v_dot4c_i32_i8 v220, v201, v35
	v_or_b32_sdwa v203, v64, v63 dst_sel:DWORD dst_unused:UNUSED_PAD src0_sel:WORD_0 src1_sel:DWORD
	v_add3_u32 v63, s18, v164, v125
	v_dot4c_i32_i8 v218, v206, v40
	v_dot4c_i32_i8 v220, v202, v36
	ds_read_b32 v199, v63
	v_dot4c_i32_i8 v218, v207, v41
	v_dot4c_i32_i8 v220, v203, v37
	ds_read_b128 v[34:37], v170 offset:1024
	ds_read_b128 v[38:41], v170 offset:1040
	s_waitcnt lgkmcnt(1)
	v_dot4c_i32_i8 v233, v172, v34
	s_waitcnt lgkmcnt(0)
	v_dot4c_i32_i8 v239, v176, v38
	v_dot4c_i32_i8 v228, v183, v34
	v_dot4c_i32_i8 v227, v181, v38
	v_dot4c_i32_i8 v226, v190, v34
	v_dot4c_i32_i8 v225, v194, v38
	v_dot4c_i32_i8 v222, v204, v34
	v_dot4c_i32_i8 v221, v200, v38
	v_dot4c_i32_i8 v233, v173, v35
	v_dot4c_i32_i8 v239, v177, v39
	v_dot4c_i32_i8 v228, v184, v35
	v_dot4c_i32_i8 v227, v182, v39
	v_dot4c_i32_i8 v226, v191, v35
	v_dot4c_i32_i8 v225, v195, v39
	v_dot4c_i32_i8 v222, v205, v35
	v_dot4c_i32_i8 v221, v201, v39
	v_dot4c_i32_i8 v233, v174, v36
	v_dot4c_i32_i8 v239, v178, v40
	v_dot4c_i32_i8 v228, v187, v36
	v_dot4c_i32_i8 v227, v185, v40
	v_dot4c_i32_i8 v226, v192, v36
	v_dot4c_i32_i8 v225, v196, v40
	v_dot4c_i32_i8 v222, v206, v36
	v_dot4c_i32_i8 v221, v202, v40
	v_dot4c_i32_i8 v233, v175, v37
	v_dot4c_i32_i8 v239, v180, v41
	v_dot4c_i32_i8 v228, v189, v37
	v_dot4c_i32_i8 v227, v188, v41
	v_dot4c_i32_i8 v226, v193, v37
	v_dot4c_i32_i8 v225, v198, v41
	v_dot4c_i32_i8 v222, v207, v37
	v_dot4c_i32_i8 v221, v203, v41
	ds_read2_b32 v[63:64], v171 offset0:64 offset1:96
	ds_read_b128 v[34:37], v170 offset:2048
	ds_read_b128 v[38:41], v170 offset:2064
	s_waitcnt lgkmcnt(1)
	v_dot4c_i32_i8 v236, v172, v34
	s_waitcnt lgkmcnt(0)
	v_dot4c_i32_i8 v235, v176, v38
	v_dot4c_i32_i8 v231, v183, v34
	;; [unrolled: 1-line block ×31, first 2 shown]
	ds_read_b128 v[38:41], v170 offset:3072
	ds_read_b128 v[34:37], v170 offset:3088
	ds_read_u16 v217, v210 offset:33538
	s_waitcnt lgkmcnt(2)
	v_dot4c_i32_i8 v234, v172, v38
	s_waitcnt lgkmcnt(1)
	v_dot4c_i32_i8 v237, v176, v34
	s_waitcnt lgkmcnt(0)
	v_lshrrev_b16 v210, 8, v217
	v_bfe_i32 v217, v217, 0, 8
	v_dot4c_i32_i8 v234, v173, v39
	v_dot4c_i32_i8 v237, v177, v35
	v_bfe_i32 v210, v210, 0, 8
	v_mul_lo_u32 v233, v233, v217
	v_dot4c_i32_i8 v234, v174, v40
	v_dot4c_i32_i8 v237, v178, v36
	v_mul_lo_u32 v235, v235, v210
	v_mul_lo_u32 v211, v211, v210
	v_dot4c_i32_i8 v234, v175, v41
	v_dot4c_i32_i8 v237, v180, v37
	v_mul_lo_u32 v234, v234, v217
	v_mad_u64_u32 v[235:236], null, v236, v217, v[235:236]
	v_mad_u64_u32 v[236:237], null, v237, v210, v[234:235]
                                        ; kill: def $vgpr234 killed $sgpr0 killed $exec
	v_mad_u64_u32 v[237:238], null, v208, v217, v[211:212]
	v_mad_u64_u32 v[233:234], null, v239, v210, v[233:234]
	ds_read_u16 v212, v212 offset:34562
	v_mul_f32_e32 v208, v179, v62
	v_mul_f32_e32 v211, v179, v61
	;; [unrolled: 1-line block ×3, first 2 shown]
	v_cvt_f32_i32_e32 v237, v237
	v_mul_f32_e32 v234, v179, v64
	v_cvt_f32_i32_e32 v233, v233
	v_cvt_f32_i32_e32 v236, v236
	;; [unrolled: 1-line block ×3, first 2 shown]
	v_fma_f32 v7, v211, v237, v7
	v_mov_b32_e32 v237, 0
	v_fmac_f32_e32 v6, v208, v233
	v_mov_b32_e32 v208, 0
	v_mov_b32_e32 v233, 0
	v_fma_f32 v9, v238, v235, v9
	v_fma_f32 v8, v234, v236, v8
	v_mov_b32_e32 v234, 0
	v_dot4c_i32_i8 v208, v183, v38
	v_dot4c_i32_i8 v233, v181, v34
	v_mov_b32_e32 v235, 0
	s_waitcnt lgkmcnt(0)
	v_lshrrev_b16 v211, 8, v212
	v_bfe_i32 v212, v212, 0, 8
	v_dot4c_i32_i8 v208, v184, v39
	v_dot4c_i32_i8 v233, v182, v35
	v_mov_b32_e32 v236, 0
	v_bfe_i32 v211, v211, 0, 8
	v_mul_lo_u32 v228, v228, v212
	v_dot4c_i32_i8 v208, v187, v40
	v_dot4c_i32_i8 v233, v185, v36
	v_mov_b32_e32 v238, 0
	v_mul_lo_u32 v232, v232, v211
	v_mul_lo_u32 v213, v213, v211
	v_dot4c_i32_i8 v208, v189, v41
	v_dot4c_i32_i8 v233, v188, v37
	v_mad_u64_u32 v[227:228], null, v227, v211, v[228:229]
	v_mul_f32_e32 v228, v186, v64
	v_mul_lo_u32 v208, v208, v212
	v_mad_u64_u32 v[231:232], null, v231, v212, v[232:233]
	v_mov_b32_e32 v239, 0
	v_cvt_f32_i32_e32 v227, v227
	v_mad_u64_u32 v[232:233], null, v233, v211, v[208:209]
	v_mad_u64_u32 v[208:209], null, v209, v212, v[213:214]
	v_mul_f32_e32 v213, v186, v61
	v_mul_f32_e32 v209, v186, v62
	;; [unrolled: 1-line block ×3, first 2 shown]
	v_cvt_f32_i32_e32 v231, v231
	v_cvt_f32_i32_e32 v232, v232
	;; [unrolled: 1-line block ×3, first 2 shown]
	v_fmac_f32_e32 v30, v209, v227
	v_mov_b32_e32 v227, 0
	v_fma_f32 v32, v228, v232, v32
	v_mov_b32_e32 v228, 0
	v_fma_f32 v31, v213, v208, v31
	ds_read_u16 v208, v215 offset:35586
	v_dot4c_i32_i8 v227, v190, v38
	v_fma_f32 v33, v233, v231, v33
	v_dot4c_i32_i8 v228, v194, v34
	v_mov_b32_e32 v232, 0
	v_mov_b32_e32 v233, 0
	v_dot4c_i32_i8 v227, v191, v39
	v_dot4c_i32_i8 v228, v195, v35
	;; [unrolled: 1-line block ×6, first 2 shown]
	s_waitcnt lgkmcnt(0)
	v_lshrrev_b16 v209, 8, v208
	v_bfe_i32 v215, v208, 0, 8
	v_bfe_i32 v213, v209, 0, 8
	v_mul_lo_u32 v208, v226, v215
	v_mul_lo_u32 v226, v230, v213
	;; [unrolled: 1-line block ×4, first 2 shown]
                                        ; kill: def $vgpr227 killed $sgpr0 killed $exec
	v_mad_u64_u32 v[226:227], null, v229, v215, v[226:227]
	v_mad_u64_u32 v[227:228], null, v228, v213, v[216:217]
	;; [unrolled: 1-line block ×3, first 2 shown]
	v_mul_f32_e32 v214, v197, v61
                                        ; kill: def $vgpr209 killed $sgpr0 killed $exec
	v_mul_f32_e32 v216, v197, v64
	v_mad_u64_u32 v[208:209], null, v225, v213, v[208:209]
	v_mul_f32_e32 v209, v197, v62
	v_mul_f32_e32 v225, v197, v63
	v_cvt_f32_i32_e32 v228, v228
	v_cvt_f32_i32_e32 v227, v227
	;; [unrolled: 1-line block ×4, first 2 shown]
	v_fma_f32 v27, v214, v228, v27
	v_mov_b32_e32 v214, 0
	v_fma_f32 v28, v216, v227, v28
	v_mov_b32_e32 v227, 0
	v_fmac_f32_e32 v26, v209, v208
	v_fma_f32 v29, v225, v226, v29
	v_dot4c_i32_i8 v214, v204, v38
                                        ; kill: def $vgpr38 killed $sgpr0 killed $exec
	v_mov_b32_e32 v225, 0
	v_mov_b32_e32 v226, 0
	;; [unrolled: 1-line block ×3, first 2 shown]
	v_dot4c_i32_i8 v214, v205, v39
	v_mov_b32_e32 v39, 0
	v_dot4c_i32_i8 v214, v206, v40
	v_dot4c_i32_i8 v39, v200, v34
	ds_read_u16 v34, v219 offset:36610
	v_mov_b32_e32 v219, 0
	v_dot4c_i32_i8 v214, v207, v41
	v_dot4c_i32_i8 v39, v201, v35
	v_mul_f32_e32 v41, v199, v63
	v_mov_b32_e32 v63, 0
	v_dot4c_i32_i8 v39, v202, v36
	v_dot4c_i32_i8 v39, v203, v37
	s_waitcnt lgkmcnt(0)
	v_lshrrev_b16 v35, 8, v34
	v_bfe_i32 v209, v34, 0, 8
	v_bfe_i32 v208, v35, 0, 8
	v_mul_lo_u32 v36, v214, v209
	v_mul_lo_u32 v34, v222, v209
	v_mov_b32_e32 v214, 0
	v_mov_b32_e32 v222, 0
	v_mul_lo_u32 v37, v224, v208
	v_mul_lo_u32 v35, v220, v208
	v_mov_b32_e32 v220, 0
	v_mov_b32_e32 v224, 0
	v_mad_u64_u32 v[37:38], null, v223, v209, v[37:38]
	v_mov_b32_e32 v223, 0
	v_mad_u64_u32 v[38:39], null, v39, v208, v[36:37]
                                        ; kill: def $vgpr36 killed $sgpr0 killed $exec
	v_cvt_f32_i32_e32 v37, v37
	v_mad_u64_u32 v[35:36], null, v218, v209, v[35:36]
	v_mul_f32_e32 v36, v199, v61
	v_mov_b32_e32 v218, 0
	v_fma_f32 v25, v41, v37, v25
	v_cvt_f32_i32_e32 v38, v38
	v_mad_u64_u32 v[39:40], null, v221, v208, v[34:35]
	v_mul_f32_e32 v34, v199, v62
	v_mul_f32_e32 v40, v199, v64
	v_cvt_f32_i32_e32 v35, v35
	v_mov_b32_e32 v221, 0
	v_mov_b32_e32 v64, 0
	v_cvt_f32_i32_e32 v39, v39
	v_fma_f32 v24, v40, v38, v24
	v_fma_f32 v23, v36, v35, v23
	v_fmac_f32_e32 v22, v34, v39
	ds_read2_b32 v[61:62], v171 offset0:128 offset1:160
	ds_read_b128 v[38:41], v170 offset:4096
	ds_read_b128 v[34:37], v170 offset:4112
	s_waitcnt lgkmcnt(1)
	v_dot4c_i32_i8 v214, v172, v38
	v_dot4c_i32_i8 v220, v183, v38
	;; [unrolled: 1-line block ×4, first 2 shown]
	s_waitcnt lgkmcnt(0)
	v_dot4c_i32_i8 v227, v176, v34
	v_dot4c_i32_i8 v214, v173, v39
	v_dot4c_i32_i8 v220, v184, v39
	v_dot4c_i32_i8 v219, v191, v39
	v_dot4c_i32_i8 v63, v205, v39
	v_dot4c_i32_i8 v222, v181, v34
	v_dot4c_i32_i8 v214, v174, v40
	v_dot4c_i32_i8 v220, v187, v40
	v_dot4c_i32_i8 v219, v192, v40
	v_dot4c_i32_i8 v63, v206, v40
	v_mov_b32_e32 v40, 0
	v_dot4c_i32_i8 v221, v194, v34
	v_dot4c_i32_i8 v227, v177, v35
	;; [unrolled: 1-line block ×17, first 2 shown]
	v_mov_b32_e32 v41, 0
	v_dot4c_i32_i8 v40, v203, v37
	ds_read_b128 v[34:37], v170 offset:5120
	ds_read_b128 v[228:231], v170 offset:5136
	s_waitcnt lgkmcnt(1)
	v_dot4c_i32_i8 v232, v172, v34
	s_waitcnt lgkmcnt(0)
	v_dot4c_i32_i8 v233, v176, v228
	v_dot4c_i32_i8 v225, v183, v34
	;; [unrolled: 1-line block ×31, first 2 shown]
	ds_read2_b32 v[38:39], v171 offset0:192 offset1:224
	ds_read_b128 v[34:37], v170 offset:6144
	ds_read_b128 v[228:231], v170 offset:6160
	v_add_nc_u32_e32 v171, 4, v171
	v_mul_lo_u32 v41, v41, v209
	s_waitcnt lgkmcnt(1)
	v_dot4c_i32_i8 v234, v172, v34
	s_waitcnt lgkmcnt(0)
	v_dot4c_i32_i8 v235, v176, v228
	v_dot4c_i32_i8 v236, v183, v34
	;; [unrolled: 1-line block ×31, first 2 shown]
	ds_read_b128 v[228:231], v170 offset:7168
	ds_read_b128 v[34:37], v170 offset:7184
	v_add_nc_u32_e32 v170, 32, v170
	s_waitcnt lgkmcnt(1)
	v_dot4c_i32_i8 v240, v172, v228
	s_waitcnt lgkmcnt(0)
	v_dot4c_i32_i8 v241, v176, v34
                                        ; kill: def $vgpr176 killed $sgpr0 killed $exec
	v_mul_lo_u32 v172, v232, v217
	v_dot4c_i32_i8 v240, v173, v229
	v_dot4c_i32_i8 v241, v177, v35
	v_mul_lo_u32 v173, v227, v210
	v_dot4c_i32_i8 v240, v174, v230
	v_dot4c_i32_i8 v241, v178, v36
	;; [unrolled: 1-line block ×3, first 2 shown]
	v_mul_lo_u32 v175, v235, v210
	v_dot4c_i32_i8 v241, v180, v37
	v_mul_lo_u32 v174, v240, v217
	v_mad_u64_u32 v[175:176], null, v234, v217, v[175:176]
	v_mad_u64_u32 v[176:177], null, v241, v210, v[174:175]
                                        ; kill: def $vgpr174 killed $sgpr0 killed $exec
	v_cvt_f32_i32_e32 v175, v175
	v_mad_u64_u32 v[173:174], null, v214, v217, v[173:174]
	v_mul_f32_e32 v174, v179, v61
	v_cvt_f32_i32_e32 v176, v176
	v_mad_u64_u32 v[177:178], null, v233, v210, v[172:173]
	v_cvt_f32_i32_e32 v173, v173
	v_mul_f32_e32 v172, v179, v62
	v_mul_f32_e32 v178, v179, v39
	;; [unrolled: 1-line block ×3, first 2 shown]
	v_fma_f32 v19, v174, v173, v19
	v_mov_b32_e32 v174, 0
	v_cvt_f32_i32_e32 v177, v177
	v_fma_f32 v21, v179, v175, v21
	v_mul_lo_u32 v175, v237, v211
	v_fma_f32 v20, v178, v176, v20
	v_dot4c_i32_i8 v174, v183, v228
	v_fmac_f32_e32 v18, v172, v177
	v_mov_b32_e32 v177, 0
                                        ; kill: def $vgpr176 killed $sgpr0 killed $exec
	v_mul_lo_u32 v173, v222, v211
	v_mul_lo_u32 v172, v225, v212
	v_dot4c_i32_i8 v174, v184, v229
	v_mad_u64_u32 v[175:176], null, v236, v212, v[175:176]
	v_dot4c_i32_i8 v177, v181, v34
	v_mul_f32_e32 v179, v186, v38
	v_dot4c_i32_i8 v174, v187, v230
	v_dot4c_i32_i8 v177, v182, v35
	;; [unrolled: 1-line block ×4, first 2 shown]
	v_mul_lo_u32 v174, v174, v212
	v_dot4c_i32_i8 v177, v188, v37
	v_mad_u64_u32 v[176:177], null, v177, v211, v[174:175]
                                        ; kill: def $vgpr174 killed $sgpr0 killed $exec
	v_cvt_f32_i32_e32 v175, v175
	v_mad_u64_u32 v[173:174], null, v220, v212, v[173:174]
	v_mul_f32_e32 v174, v186, v61
	v_fma_f32 v17, v179, v175, v17
	v_mul_lo_u32 v175, v239, v213
	v_cvt_f32_i32_e32 v176, v176
	v_mul_f32_e32 v179, v197, v38
	v_mad_u64_u32 v[177:178], null, v226, v211, v[172:173]
	v_cvt_f32_i32_e32 v173, v173
	v_mul_f32_e32 v172, v186, v62
	v_mul_f32_e32 v178, v186, v39
	v_fma_f32 v15, v174, v173, v15
	v_mov_b32_e32 v174, 0
	v_cvt_f32_i32_e32 v177, v177
	v_fma_f32 v16, v178, v176, v16
                                        ; kill: def $vgpr176 killed $sgpr0 killed $exec
	v_mul_lo_u32 v173, v221, v213
	v_mad_u64_u32 v[175:176], null, v238, v215, v[175:176]
	v_dot4c_i32_i8 v174, v190, v228
	v_fmac_f32_e32 v14, v172, v177
	v_mov_b32_e32 v177, 0
	v_mul_lo_u32 v172, v224, v215
	v_dot4c_i32_i8 v174, v191, v229
	v_dot4c_i32_i8 v177, v194, v34
	v_dot4c_i32_i8 v174, v192, v230
	v_dot4c_i32_i8 v177, v195, v35
	v_dot4c_i32_i8 v174, v193, v231
	v_dot4c_i32_i8 v177, v196, v36
	v_mul_lo_u32 v174, v174, v215
	v_dot4c_i32_i8 v177, v198, v37
	v_mad_u64_u32 v[176:177], null, v177, v213, v[174:175]
                                        ; kill: def $vgpr174 killed $sgpr0 killed $exec
	v_cvt_f32_i32_e32 v175, v175
	v_mad_u64_u32 v[173:174], null, v219, v215, v[173:174]
	v_mul_f32_e32 v174, v197, v61
	v_fma_f32 v13, v179, v175, v13
	v_cvt_f32_i32_e32 v176, v176
	v_mad_u64_u32 v[177:178], null, v223, v213, v[172:173]
	v_mul_f32_e32 v172, v197, v62
	v_cvt_f32_i32_e32 v173, v173
	v_mul_f32_e32 v178, v197, v39
	v_mul_f32_e32 v39, v199, v39
	v_cvt_f32_i32_e32 v177, v177
	v_fma_f32 v11, v174, v173, v11
	v_mov_b32_e32 v173, 0
	v_fma_f32 v12, v178, v176, v12
	v_fmac_f32_e32 v10, v172, v177
	v_mov_b32_e32 v172, 0
	v_dot4c_i32_i8 v173, v200, v34
	v_mul_lo_u32 v34, v218, v208
	v_dot4c_i32_i8 v172, v204, v228
	v_dot4c_i32_i8 v173, v201, v35
                                        ; kill: def $vgpr35 killed $sgpr0 killed $exec
	s_add_i32 s0, s0, 1
	s_cmp_lt_u32 s15, 14
	v_dot4c_i32_i8 v172, v205, v229
	v_dot4c_i32_i8 v173, v202, v36
	v_mad_u64_u32 v[34:35], null, v216, v209, v[34:35]
	v_dot4c_i32_i8 v172, v206, v230
	v_dot4c_i32_i8 v173, v203, v37
	v_mul_lo_u32 v37, v40, v208
	v_mad_u64_u32 v[40:41], null, v64, v208, v[41:42]
	v_dot4c_i32_i8 v172, v207, v231
	v_mul_f32_e32 v41, v199, v61
	v_cvt_f32_i32_e32 v34, v34
	v_mul_lo_u32 v36, v172, v209
	v_cvt_f32_i32_e32 v40, v40
	v_mad_u64_u32 v[35:36], null, v173, v208, v[36:37]
	v_mad_u64_u32 v[36:37], null, v63, v209, v[37:38]
	v_mul_f32_e32 v37, v199, v62
	v_mul_f32_e32 v38, v199, v38
	v_cvt_f32_i32_e32 v35, v35
	v_fmac_f32_e32 v2, v37, v40
	v_cvt_f32_i32_e32 v36, v36
	v_fma_f32 v5, v38, v34, v5
	v_fma_f32 v4, v39, v35, v4
	;; [unrolled: 1-line block ×3, first 2 shown]
	s_cbranch_scc1 .LBB170_9
; %bb.10:                               ;   in Loop: Header=BB170_6 Depth=1
	s_or_b32 s0, s9, 1
	s_cmp_ge_i32 s0, s4
	s_barrier
	buffer_gl0_inv
	s_cbranch_scc1 .LBB170_5
; %bb.11:                               ;   in Loop: Header=BB170_6 Depth=1
	v_add_nc_u32_e32 v170, s11, v127
	v_add_nc_u32_e32 v63, 8, v168
	s_mov_b32 s0, 16
	s_mov_b32 s17, 14
	;; [unrolled: 1-line block ×3, first 2 shown]
	v_add_nc_u32_e32 v34, v170, v109
	v_add_nc_u32_e32 v36, v170, v111
	;; [unrolled: 1-line block ×5, first 2 shown]
	v_mad_u64_u32 v[63:64], null, v63, 36, s[2:3]
	v_mad_i64_i32 v[34:35], null, v34, 36, v[59:60]
	v_add_nc_u32_e32 v171, v170, v115
	v_mad_i64_i32 v[36:37], null, v36, 36, v[59:60]
	v_add_nc_u32_e32 v172, v170, v116
	;; [unrolled: 2-line block ×3, first 2 shown]
	v_mad_i64_i32 v[40:41], null, v40, 36, v[59:60]
	v_mad_i64_i32 v[61:62], null, v61, 36, v[59:60]
	;; [unrolled: 1-line block ×5, first 2 shown]
	s_clause 0x8
	global_load_dword v63, v[63:64], off
	global_load_dword v34, v[34:35], off offset:4
	global_load_dword v35, v[36:37], off offset:4
	;; [unrolled: 1-line block ×8, first 2 shown]
	v_mov_b32_e32 v170, v138
	v_mov_b32_e32 v171, v137
	s_waitcnt vmcnt(8)
	v_cvt_f32_f16_e32 v61, v63
	s_waitcnt vmcnt(7)
	ds_write_b32 v169, v34
	s_waitcnt vmcnt(6)
	ds_write_b32 v152, v35
	;; [unrolled: 2-line block ×8, first 2 shown]
	ds_write_b32 v108, v61
	s_waitcnt lgkmcnt(0)
	s_barrier
	buffer_gl0_inv
.LBB170_12:                             ;   Parent Loop BB170_6 Depth=1
                                        ; =>  This Inner Loop Header: Depth=2
	s_add_i32 s15, s17, 2
	ds_read2_b32 v[61:62], v171 offset1:32
	ds_read_b128 v[38:41], v170
	ds_read_b128 v[34:37], v170 offset:16
	s_lshr_b32 s18, s15, 4
	s_and_b32 s19, s15, 0x3ffffff8
	s_add_i32 s16, s17, -14
	v_lshl_add_u32 v199, s19, 2, v118
	s_lshl_b32 s19, s18, 5
	s_lshl_b32 s18, s18, 2
	s_addk_i32 s19, 0x4200
	s_add_i32 s18, s18, 0x9380
	v_add3_u32 v178, s19, v165, v119
	ds_read2_b32 v[63:64], v199 offset1:1
	v_add3_u32 v186, s19, v159, v120
	v_add3_u32 v196, s19, v161, v122
	v_mov_b32_e32 v208, 0
	ds_read2_b32 v[172:173], v178 offset1:1
	v_mov_b32_e32 v211, 0
	v_mov_b32_e32 v209, 0
	;; [unrolled: 1-line block ×15, first 2 shown]
	s_waitcnt lgkmcnt(1)
	v_ashrrev_i32_e32 v63, s16, v63
	v_mov_b32_e32 v232, 0
	v_mov_b32_e32 v229, 0
	;; [unrolled: 1-line block ×3, first 2 shown]
	s_waitcnt lgkmcnt(0)
	v_ashrrev_i32_e32 v172, s1, v172
	v_and_b32_e32 v174, 0x3030303, v63
	v_bfe_u32 v63, v63, 24, 2
	v_ashrrev_i32_e32 v173, s1, v173
	v_mov_b32_e32 v223, 0
	v_lshlrev_b32_e32 v172, 2, v172
	v_lshrrev_b16 v176, 8, v174
	v_lshrrev_b32_e32 v175, 16, v174
	v_lshlrev_b32_e32 v173, 2, v173
	v_mov_b32_e32 v224, 0
	v_and_b32_e32 v172, 0x4040404, v172
	s_and_b32 s20, s0, -16
	v_mov_b32_e32 v234, 0
	v_and_b32_e32 v173, 0x4040404, v173
	s_add_i32 s17, s17, s20
	v_lshrrev_b16 v180, 8, v172
	v_lshrrev_b32_e32 v177, 16, v172
	v_lshrrev_b32_e32 v179, 24, v172
	v_sub_nc_u16 v172, v174, v172
	v_add_nc_u32_e32 v210, s17, v129
	v_sub_nc_u16 v174, v176, v180
	v_lshrrev_b32_e32 v176, 16, v173
	v_sub_nc_u16 v63, v63, v179
	v_lshrrev_b16 v179, 8, v173
	v_mov_b32_e32 v237, 0
	v_lshlrev_b16 v174, 8, v174
	v_add_nc_u32_e32 v212, s17, v130
	v_lshlrev_b16 v63, 8, v63
	v_add_nc_u32_e32 v215, s17, v131
	v_mov_b32_e32 v240, 0
	v_or_b32_sdwa v172, v172, v174 dst_sel:DWORD dst_unused:UNUSED_PAD src0_sel:BYTE_0 src1_sel:DWORD
	v_sub_nc_u16 v174, v175, v177
	v_lshrrev_b32_e32 v177, 24, v173
	v_mov_b32_e32 v241, 0
	v_or_b32_sdwa v63, v174, v63 dst_sel:WORD_1 dst_unused:UNUSED_PAD src0_sel:BYTE_0 src1_sel:DWORD
	v_or_b32_sdwa v172, v172, v63 dst_sel:DWORD dst_unused:UNUSED_PAD src0_sel:WORD_0 src1_sel:DWORD
	v_ashrrev_i32_e32 v63, s16, v64
	v_dot4c_i32_i8 v208, v172, v38
	v_and_b32_e32 v64, 0x3030303, v63
	v_bfe_u32 v63, v63, 24, 2
	v_lshrrev_b16 v175, 8, v64
	v_lshrrev_b32_e32 v174, 16, v64
	v_sub_nc_u16 v64, v64, v173
	v_sub_nc_u16 v63, v63, v177
	v_sub_nc_u16 v173, v175, v179
	v_lshlrev_b16 v63, 8, v63
	v_lshlrev_b16 v173, 8, v173
	v_or_b32_sdwa v64, v64, v173 dst_sel:DWORD dst_unused:UNUSED_PAD src0_sel:BYTE_0 src1_sel:DWORD
	v_sub_nc_u16 v173, v174, v176
	ds_read2_b32 v[174:175], v178 offset0:2 offset1:3
	v_or_b32_sdwa v63, v173, v63 dst_sel:WORD_1 dst_unused:UNUSED_PAD src0_sel:BYTE_0 src1_sel:DWORD
	v_or_b32_sdwa v173, v64, v63 dst_sel:DWORD dst_unused:UNUSED_PAD src0_sel:WORD_0 src1_sel:DWORD
	ds_read2_b32 v[63:64], v199 offset0:2 offset1:3
	v_dot4c_i32_i8 v208, v173, v39
	s_waitcnt lgkmcnt(1)
	v_ashrrev_i32_e32 v174, s1, v174
	v_ashrrev_i32_e32 v175, s1, v175
	v_lshlrev_b32_e32 v174, 2, v174
	v_lshlrev_b32_e32 v175, 2, v175
	s_waitcnt lgkmcnt(0)
	v_ashrrev_i32_e32 v63, s16, v63
	v_and_b32_e32 v174, 0x4040404, v174
	v_and_b32_e32 v175, 0x4040404, v175
	v_and_b32_e32 v176, 0x3030303, v63
	v_bfe_u32 v63, v63, 24, 2
	v_lshrrev_b16 v182, 8, v174
	v_lshrrev_b32_e32 v180, 16, v174
	v_lshrrev_b32_e32 v181, 24, v174
	v_lshrrev_b16 v179, 8, v176
	v_lshrrev_b32_e32 v177, 16, v176
	v_sub_nc_u16 v174, v176, v174
	v_sub_nc_u16 v63, v63, v181
	v_sub_nc_u16 v176, v179, v182
	v_lshrrev_b16 v181, 8, v175
	v_lshrrev_b32_e32 v179, 16, v175
	v_lshlrev_b16 v63, 8, v63
	v_lshlrev_b16 v176, 8, v176
	v_or_b32_sdwa v174, v174, v176 dst_sel:DWORD dst_unused:UNUSED_PAD src0_sel:BYTE_0 src1_sel:DWORD
	v_sub_nc_u16 v176, v177, v180
	v_lshrrev_b32_e32 v180, 24, v175
	v_or_b32_sdwa v63, v176, v63 dst_sel:WORD_1 dst_unused:UNUSED_PAD src0_sel:BYTE_0 src1_sel:DWORD
	v_or_b32_sdwa v174, v174, v63 dst_sel:DWORD dst_unused:UNUSED_PAD src0_sel:WORD_0 src1_sel:DWORD
	v_ashrrev_i32_e32 v63, s16, v64
	v_dot4c_i32_i8 v208, v174, v40
	v_and_b32_e32 v64, 0x3030303, v63
	v_bfe_u32 v63, v63, 24, 2
	v_lshrrev_b16 v177, 8, v64
	v_lshrrev_b32_e32 v176, 16, v64
	v_sub_nc_u16 v64, v64, v175
	v_sub_nc_u16 v63, v63, v180
	v_sub_nc_u16 v175, v177, v181
	v_lshlrev_b16 v63, 8, v63
	v_lshlrev_b16 v175, 8, v175
	v_or_b32_sdwa v64, v64, v175 dst_sel:DWORD dst_unused:UNUSED_PAD src0_sel:BYTE_0 src1_sel:DWORD
	v_sub_nc_u16 v175, v176, v179
	ds_read2_b32 v[176:177], v178 offset0:4 offset1:5
	v_or_b32_sdwa v63, v175, v63 dst_sel:WORD_1 dst_unused:UNUSED_PAD src0_sel:BYTE_0 src1_sel:DWORD
	v_or_b32_sdwa v175, v64, v63 dst_sel:DWORD dst_unused:UNUSED_PAD src0_sel:WORD_0 src1_sel:DWORD
	ds_read2_b32 v[63:64], v199 offset0:4 offset1:5
	v_dot4c_i32_i8 v208, v175, v41
	s_waitcnt lgkmcnt(1)
	v_ashrrev_i32_e32 v176, s1, v176
	v_ashrrev_i32_e32 v177, s1, v177
	v_lshlrev_b32_e32 v176, 2, v176
	v_lshlrev_b32_e32 v177, 2, v177
	s_waitcnt lgkmcnt(0)
	v_ashrrev_i32_e32 v63, s16, v63
	v_and_b32_e32 v176, 0x4040404, v176
	v_and_b32_e32 v177, 0x4040404, v177
	v_and_b32_e32 v179, 0x3030303, v63
	v_bfe_u32 v63, v63, 24, 2
	v_lshrrev_b16 v184, 8, v176
	v_lshrrev_b32_e32 v182, 16, v176
	v_lshrrev_b32_e32 v183, 24, v176
	v_lshrrev_b16 v181, 8, v179
	v_lshrrev_b32_e32 v180, 16, v179
	v_sub_nc_u16 v176, v179, v176
	v_sub_nc_u16 v63, v63, v183
	v_sub_nc_u16 v179, v181, v184
	v_lshrrev_b16 v183, 8, v177
	v_lshrrev_b32_e32 v181, 16, v177
	v_lshlrev_b16 v63, 8, v63
	v_lshlrev_b16 v179, 8, v179
	v_or_b32_sdwa v176, v176, v179 dst_sel:DWORD dst_unused:UNUSED_PAD src0_sel:BYTE_0 src1_sel:DWORD
	v_sub_nc_u16 v179, v180, v182
	v_lshrrev_b32_e32 v182, 24, v177
	;; [unrolled: 46-line block ×3, first 2 shown]
	v_or_b32_sdwa v63, v180, v63 dst_sel:WORD_1 dst_unused:UNUSED_PAD src0_sel:BYTE_0 src1_sel:DWORD
	v_or_b32_sdwa v178, v178, v63 dst_sel:DWORD dst_unused:UNUSED_PAD src0_sel:WORD_0 src1_sel:DWORD
	v_ashrrev_i32_e32 v63, s16, v64
	v_dot4c_i32_i8 v211, v178, v36
	v_and_b32_e32 v64, 0x3030303, v63
	v_bfe_u32 v63, v63, 24, 2
	v_lshrrev_b16 v181, 8, v64
	v_lshrrev_b32_e32 v180, 16, v64
	v_sub_nc_u16 v64, v64, v179
	v_sub_nc_u16 v63, v63, v183
	;; [unrolled: 1-line block ×3, first 2 shown]
	v_lshlrev_b16 v63, 8, v63
	v_lshlrev_b16 v179, 8, v179
	v_or_b32_sdwa v64, v64, v179 dst_sel:DWORD dst_unused:UNUSED_PAD src0_sel:BYTE_0 src1_sel:DWORD
	v_sub_nc_u16 v179, v180, v182
	ds_read2_b32 v[181:182], v186 offset1:1
	v_or_b32_sdwa v63, v179, v63 dst_sel:WORD_1 dst_unused:UNUSED_PAD src0_sel:BYTE_0 src1_sel:DWORD
	v_or_b32_sdwa v180, v64, v63 dst_sel:DWORD dst_unused:UNUSED_PAD src0_sel:WORD_0 src1_sel:DWORD
	v_add3_u32 v63, s18, v166, v167
	v_dot4c_i32_i8 v211, v180, v37
	ds_read_b32 v179, v63
	v_add_nc_u32_e32 v63, 0x1080, v199
	s_waitcnt lgkmcnt(1)
	v_ashrrev_i32_e32 v181, s1, v181
	ds_read2_b32 v[63:64], v63 offset1:1
	v_ashrrev_i32_e32 v182, s1, v182
	v_lshlrev_b32_e32 v181, 2, v181
	v_lshlrev_b32_e32 v182, 2, v182
	v_and_b32_e32 v181, 0x4040404, v181
	v_and_b32_e32 v182, 0x4040404, v182
	v_lshrrev_b16 v189, 8, v181
	v_lshrrev_b32_e32 v187, 16, v181
	v_lshrrev_b32_e32 v188, 24, v181
	s_waitcnt lgkmcnt(0)
	v_ashrrev_i32_e32 v63, s16, v63
	v_and_b32_e32 v183, 0x3030303, v63
	v_bfe_u32 v63, v63, 24, 2
	v_lshrrev_b16 v185, 8, v183
	v_lshrrev_b32_e32 v184, 16, v183
	v_sub_nc_u16 v181, v183, v181
	v_sub_nc_u16 v63, v63, v188
	v_lshrrev_b16 v188, 8, v182
	v_sub_nc_u16 v183, v185, v189
	v_lshrrev_b32_e32 v185, 16, v182
	v_lshlrev_b16 v63, 8, v63
	v_lshlrev_b16 v183, 8, v183
	v_or_b32_sdwa v181, v181, v183 dst_sel:DWORD dst_unused:UNUSED_PAD src0_sel:BYTE_0 src1_sel:DWORD
	v_sub_nc_u16 v183, v184, v187
	v_lshrrev_b32_e32 v187, 24, v182
	v_or_b32_sdwa v63, v183, v63 dst_sel:WORD_1 dst_unused:UNUSED_PAD src0_sel:BYTE_0 src1_sel:DWORD
	v_or_b32_sdwa v183, v181, v63 dst_sel:DWORD dst_unused:UNUSED_PAD src0_sel:WORD_0 src1_sel:DWORD
	v_ashrrev_i32_e32 v63, s16, v64
	v_dot4c_i32_i8 v209, v183, v38
	v_and_b32_e32 v64, 0x3030303, v63
	v_bfe_u32 v63, v63, 24, 2
	v_lshrrev_b16 v184, 8, v64
	v_lshrrev_b32_e32 v181, 16, v64
	v_sub_nc_u16 v64, v64, v182
	v_sub_nc_u16 v63, v63, v187
	;; [unrolled: 1-line block ×4, first 2 shown]
	v_lshlrev_b16 v63, 8, v63
	v_lshlrev_b16 v182, 8, v182
	v_or_b32_sdwa v63, v181, v63 dst_sel:WORD_1 dst_unused:UNUSED_PAD src0_sel:BYTE_0 src1_sel:DWORD
	v_or_b32_sdwa v64, v64, v182 dst_sel:DWORD dst_unused:UNUSED_PAD src0_sel:BYTE_0 src1_sel:DWORD
	ds_read2_b32 v[181:182], v186 offset0:2 offset1:3
	v_or_b32_sdwa v184, v64, v63 dst_sel:DWORD dst_unused:UNUSED_PAD src0_sel:WORD_0 src1_sel:DWORD
	v_add_nc_u32_e32 v63, 0x1088, v199
	v_dot4c_i32_i8 v209, v184, v39
	ds_read2_b32 v[63:64], v63 offset1:1
	s_waitcnt lgkmcnt(1)
	v_ashrrev_i32_e32 v181, s1, v181
	v_ashrrev_i32_e32 v182, s1, v182
	v_lshlrev_b32_e32 v181, 2, v181
	v_lshlrev_b32_e32 v182, 2, v182
	s_waitcnt lgkmcnt(0)
	v_ashrrev_i32_e32 v63, s16, v63
	v_and_b32_e32 v181, 0x4040404, v181
	v_and_b32_e32 v182, 0x4040404, v182
	;; [unrolled: 1-line block ×3, first 2 shown]
	v_bfe_u32 v63, v63, 24, 2
	v_lshrrev_b16 v191, 8, v181
	v_lshrrev_b32_e32 v189, 16, v181
	v_lshrrev_b32_e32 v190, 24, v181
	v_lshrrev_b16 v188, 8, v185
	v_lshrrev_b32_e32 v187, 16, v185
	v_sub_nc_u16 v181, v185, v181
	v_sub_nc_u16 v63, v63, v190
	;; [unrolled: 1-line block ×3, first 2 shown]
	v_lshrrev_b16 v190, 8, v182
	v_lshrrev_b32_e32 v188, 16, v182
	v_lshlrev_b16 v63, 8, v63
	v_lshlrev_b16 v185, 8, v185
	v_or_b32_sdwa v181, v181, v185 dst_sel:DWORD dst_unused:UNUSED_PAD src0_sel:BYTE_0 src1_sel:DWORD
	v_sub_nc_u16 v185, v187, v189
	v_lshrrev_b32_e32 v189, 24, v182
	v_or_b32_sdwa v63, v185, v63 dst_sel:WORD_1 dst_unused:UNUSED_PAD src0_sel:BYTE_0 src1_sel:DWORD
	v_or_b32_sdwa v187, v181, v63 dst_sel:DWORD dst_unused:UNUSED_PAD src0_sel:WORD_0 src1_sel:DWORD
	v_ashrrev_i32_e32 v63, s16, v64
	v_dot4c_i32_i8 v209, v187, v40
	v_and_b32_e32 v64, 0x3030303, v63
	v_bfe_u32 v63, v63, 24, 2
	v_lshrrev_b16 v185, 8, v64
	v_lshrrev_b32_e32 v181, 16, v64
	v_sub_nc_u16 v64, v64, v182
	v_sub_nc_u16 v63, v63, v189
	;; [unrolled: 1-line block ×4, first 2 shown]
	v_lshlrev_b16 v63, 8, v63
	v_lshlrev_b16 v182, 8, v182
	v_or_b32_sdwa v63, v181, v63 dst_sel:WORD_1 dst_unused:UNUSED_PAD src0_sel:BYTE_0 src1_sel:DWORD
	v_or_b32_sdwa v64, v64, v182 dst_sel:DWORD dst_unused:UNUSED_PAD src0_sel:BYTE_0 src1_sel:DWORD
	ds_read2_b32 v[181:182], v186 offset0:4 offset1:5
	v_or_b32_sdwa v189, v64, v63 dst_sel:DWORD dst_unused:UNUSED_PAD src0_sel:WORD_0 src1_sel:DWORD
	v_add_nc_u32_e32 v63, 0x1090, v199
	v_dot4c_i32_i8 v209, v189, v41
	ds_read2_b32 v[63:64], v63 offset1:1
	s_waitcnt lgkmcnt(1)
	v_ashrrev_i32_e32 v181, s1, v181
	v_ashrrev_i32_e32 v182, s1, v182
	v_lshlrev_b32_e32 v181, 2, v181
	v_lshlrev_b32_e32 v182, 2, v182
	s_waitcnt lgkmcnt(0)
	v_ashrrev_i32_e32 v63, s16, v63
	v_and_b32_e32 v181, 0x4040404, v181
	v_and_b32_e32 v182, 0x4040404, v182
	;; [unrolled: 1-line block ×3, first 2 shown]
	v_bfe_u32 v63, v63, 24, 2
	v_lshrrev_b16 v193, 8, v181
	v_lshrrev_b32_e32 v191, 16, v181
	v_lshrrev_b32_e32 v192, 24, v181
	v_lshrrev_b16 v190, 8, v185
	v_lshrrev_b32_e32 v188, 16, v185
	v_sub_nc_u16 v181, v185, v181
	v_sub_nc_u16 v63, v63, v192
	;; [unrolled: 1-line block ×3, first 2 shown]
	v_lshrrev_b16 v192, 8, v182
	v_lshrrev_b32_e32 v190, 16, v182
	v_lshlrev_b16 v63, 8, v63
	v_lshlrev_b16 v185, 8, v185
	v_or_b32_sdwa v181, v181, v185 dst_sel:DWORD dst_unused:UNUSED_PAD src0_sel:BYTE_0 src1_sel:DWORD
	v_sub_nc_u16 v185, v188, v191
	v_lshrrev_b32_e32 v191, 24, v182
	v_or_b32_sdwa v63, v185, v63 dst_sel:WORD_1 dst_unused:UNUSED_PAD src0_sel:BYTE_0 src1_sel:DWORD
	v_or_b32_sdwa v181, v181, v63 dst_sel:DWORD dst_unused:UNUSED_PAD src0_sel:WORD_0 src1_sel:DWORD
	v_ashrrev_i32_e32 v63, s16, v64
	v_dot4c_i32_i8 v213, v181, v34
	v_and_b32_e32 v64, 0x3030303, v63
	v_bfe_u32 v63, v63, 24, 2
	v_lshrrev_b16 v188, 8, v64
	v_lshrrev_b32_e32 v185, 16, v64
	v_sub_nc_u16 v64, v64, v182
	v_sub_nc_u16 v63, v63, v191
	;; [unrolled: 1-line block ×3, first 2 shown]
	v_lshlrev_b16 v63, 8, v63
	v_lshlrev_b16 v182, 8, v182
	v_or_b32_sdwa v64, v64, v182 dst_sel:DWORD dst_unused:UNUSED_PAD src0_sel:BYTE_0 src1_sel:DWORD
	v_sub_nc_u16 v182, v185, v190
	ds_read2_b32 v[185:186], v186 offset0:6 offset1:7
	v_or_b32_sdwa v63, v182, v63 dst_sel:WORD_1 dst_unused:UNUSED_PAD src0_sel:BYTE_0 src1_sel:DWORD
	v_or_b32_sdwa v182, v64, v63 dst_sel:DWORD dst_unused:UNUSED_PAD src0_sel:WORD_0 src1_sel:DWORD
	v_add_nc_u32_e32 v63, 0x1098, v199
	v_dot4c_i32_i8 v213, v182, v35
	ds_read2_b32 v[63:64], v63 offset1:1
	s_waitcnt lgkmcnt(1)
	v_ashrrev_i32_e32 v185, s1, v185
	v_ashrrev_i32_e32 v186, s1, v186
	v_lshlrev_b32_e32 v185, 2, v185
	v_lshlrev_b32_e32 v186, 2, v186
	v_and_b32_e32 v185, 0x4040404, v185
	v_and_b32_e32 v186, 0x4040404, v186
	s_waitcnt lgkmcnt(0)
	v_ashrrev_i32_e32 v63, s16, v63
	v_lshrrev_b16 v194, 8, v185
	v_lshrrev_b32_e32 v192, 16, v185
	v_lshrrev_b32_e32 v193, 24, v185
	v_and_b32_e32 v188, 0x3030303, v63
	v_bfe_u32 v63, v63, 24, 2
	v_lshrrev_b16 v191, 8, v188
	v_lshrrev_b32_e32 v190, 16, v188
	v_sub_nc_u16 v185, v188, v185
	v_sub_nc_u16 v63, v63, v193
	v_lshrrev_b16 v193, 8, v186
	v_sub_nc_u16 v188, v191, v194
	v_lshrrev_b32_e32 v191, 16, v186
	v_lshlrev_b16 v63, 8, v63
	v_lshlrev_b16 v188, 8, v188
	v_or_b32_sdwa v185, v185, v188 dst_sel:DWORD dst_unused:UNUSED_PAD src0_sel:BYTE_0 src1_sel:DWORD
	v_sub_nc_u16 v188, v190, v192
	v_lshrrev_b32_e32 v192, 24, v186
	v_or_b32_sdwa v63, v188, v63 dst_sel:WORD_1 dst_unused:UNUSED_PAD src0_sel:BYTE_0 src1_sel:DWORD
	v_or_b32_sdwa v185, v185, v63 dst_sel:DWORD dst_unused:UNUSED_PAD src0_sel:WORD_0 src1_sel:DWORD
	v_ashrrev_i32_e32 v63, s16, v64
	v_dot4c_i32_i8 v213, v185, v36
	v_and_b32_e32 v64, 0x3030303, v63
	v_bfe_u32 v63, v63, 24, 2
	v_lshrrev_b16 v190, 8, v64
	v_lshrrev_b32_e32 v188, 16, v64
	v_sub_nc_u16 v64, v64, v186
	v_sub_nc_u16 v63, v63, v192
	;; [unrolled: 1-line block ×3, first 2 shown]
	v_lshlrev_b16 v63, 8, v63
	v_lshlrev_b16 v186, 8, v186
	v_or_b32_sdwa v64, v64, v186 dst_sel:DWORD dst_unused:UNUSED_PAD src0_sel:BYTE_0 src1_sel:DWORD
	v_sub_nc_u16 v186, v188, v191
	ds_read2_b32 v[190:191], v196 offset1:1
	v_or_b32_sdwa v63, v186, v63 dst_sel:WORD_1 dst_unused:UNUSED_PAD src0_sel:BYTE_0 src1_sel:DWORD
	v_or_b32_sdwa v188, v64, v63 dst_sel:DWORD dst_unused:UNUSED_PAD src0_sel:WORD_0 src1_sel:DWORD
	v_add3_u32 v63, s18, v160, v121
	v_dot4c_i32_i8 v213, v188, v37
	ds_read_b32 v186, v63
	v_add_nc_u32_e32 v63, 0x2100, v199
	s_waitcnt lgkmcnt(1)
	v_ashrrev_i32_e32 v190, s1, v190
	ds_read2_b32 v[63:64], v63 offset1:1
	v_ashrrev_i32_e32 v191, s1, v191
	v_lshlrev_b32_e32 v190, 2, v190
	v_lshlrev_b32_e32 v191, 2, v191
	v_and_b32_e32 v190, 0x4040404, v190
	v_and_b32_e32 v191, 0x4040404, v191
	v_lshrrev_b16 v198, 8, v190
	v_lshrrev_b32_e32 v195, 16, v190
	v_lshrrev_b32_e32 v197, 24, v190
	s_waitcnt lgkmcnt(0)
	v_ashrrev_i32_e32 v63, s16, v63
	v_and_b32_e32 v192, 0x3030303, v63
	v_bfe_u32 v63, v63, 24, 2
	v_lshrrev_b16 v194, 8, v192
	v_lshrrev_b32_e32 v193, 16, v192
	v_sub_nc_u16 v190, v192, v190
	v_sub_nc_u16 v63, v63, v197
	v_lshrrev_b16 v197, 8, v191
	v_sub_nc_u16 v192, v194, v198
	v_lshrrev_b32_e32 v194, 16, v191
	v_lshlrev_b16 v63, 8, v63
	v_lshlrev_b16 v192, 8, v192
	v_or_b32_sdwa v190, v190, v192 dst_sel:DWORD dst_unused:UNUSED_PAD src0_sel:BYTE_0 src1_sel:DWORD
	v_sub_nc_u16 v192, v193, v195
	v_lshrrev_b32_e32 v195, 24, v191
	v_or_b32_sdwa v63, v192, v63 dst_sel:WORD_1 dst_unused:UNUSED_PAD src0_sel:BYTE_0 src1_sel:DWORD
	v_or_b32_sdwa v190, v190, v63 dst_sel:DWORD dst_unused:UNUSED_PAD src0_sel:WORD_0 src1_sel:DWORD
	v_ashrrev_i32_e32 v63, s16, v64
	v_dot4c_i32_i8 v214, v190, v38
	v_and_b32_e32 v64, 0x3030303, v63
	v_bfe_u32 v63, v63, 24, 2
	v_lshrrev_b16 v193, 8, v64
	v_lshrrev_b32_e32 v192, 16, v64
	v_sub_nc_u16 v64, v64, v191
	v_sub_nc_u16 v63, v63, v195
	v_sub_nc_u16 v191, v193, v197
	v_lshlrev_b16 v63, 8, v63
	v_lshlrev_b16 v191, 8, v191
	v_or_b32_sdwa v64, v64, v191 dst_sel:DWORD dst_unused:UNUSED_PAD src0_sel:BYTE_0 src1_sel:DWORD
	v_sub_nc_u16 v191, v192, v194
	ds_read2_b32 v[192:193], v196 offset0:2 offset1:3
	v_or_b32_sdwa v63, v191, v63 dst_sel:WORD_1 dst_unused:UNUSED_PAD src0_sel:BYTE_0 src1_sel:DWORD
	v_or_b32_sdwa v191, v64, v63 dst_sel:DWORD dst_unused:UNUSED_PAD src0_sel:WORD_0 src1_sel:DWORD
	v_add_nc_u32_e32 v63, 0x2108, v199
	v_dot4c_i32_i8 v214, v191, v39
	ds_read2_b32 v[63:64], v63 offset1:1
	s_waitcnt lgkmcnt(1)
	v_ashrrev_i32_e32 v192, s1, v192
	v_ashrrev_i32_e32 v193, s1, v193
	v_lshlrev_b32_e32 v192, 2, v192
	v_lshlrev_b32_e32 v193, 2, v193
	v_and_b32_e32 v192, 0x4040404, v192
	v_and_b32_e32 v193, 0x4040404, v193
	s_waitcnt lgkmcnt(0)
	v_ashrrev_i32_e32 v63, s16, v63
	v_lshrrev_b16 v201, 8, v192
	v_lshrrev_b32_e32 v198, 16, v192
	v_lshrrev_b32_e32 v200, 24, v192
	v_and_b32_e32 v194, 0x3030303, v63
	v_bfe_u32 v63, v63, 24, 2
	v_lshrrev_b16 v197, 8, v194
	v_lshrrev_b32_e32 v195, 16, v194
	v_sub_nc_u16 v192, v194, v192
	v_sub_nc_u16 v63, v63, v200
	v_lshrrev_b16 v200, 8, v193
	v_sub_nc_u16 v194, v197, v201
	v_lshrrev_b32_e32 v197, 16, v193
	v_lshlrev_b16 v63, 8, v63
	v_lshlrev_b16 v194, 8, v194
	v_or_b32_sdwa v192, v192, v194 dst_sel:DWORD dst_unused:UNUSED_PAD src0_sel:BYTE_0 src1_sel:DWORD
	v_sub_nc_u16 v194, v195, v198
	v_lshrrev_b32_e32 v198, 24, v193
	v_or_b32_sdwa v63, v194, v63 dst_sel:WORD_1 dst_unused:UNUSED_PAD src0_sel:BYTE_0 src1_sel:DWORD
	v_or_b32_sdwa v192, v192, v63 dst_sel:DWORD dst_unused:UNUSED_PAD src0_sel:WORD_0 src1_sel:DWORD
	v_ashrrev_i32_e32 v63, s16, v64
	v_dot4c_i32_i8 v214, v192, v40
	v_and_b32_e32 v64, 0x3030303, v63
	v_bfe_u32 v63, v63, 24, 2
	v_lshrrev_b16 v195, 8, v64
	v_lshrrev_b32_e32 v194, 16, v64
	v_sub_nc_u16 v64, v64, v193
	v_sub_nc_u16 v63, v63, v198
	v_sub_nc_u16 v193, v195, v200
	v_lshlrev_b16 v63, 8, v63
	v_lshlrev_b16 v193, 8, v193
	v_or_b32_sdwa v64, v64, v193 dst_sel:DWORD dst_unused:UNUSED_PAD src0_sel:BYTE_0 src1_sel:DWORD
	v_sub_nc_u16 v193, v194, v197
	ds_read2_b32 v[194:195], v196 offset0:4 offset1:5
	v_or_b32_sdwa v63, v193, v63 dst_sel:WORD_1 dst_unused:UNUSED_PAD src0_sel:BYTE_0 src1_sel:DWORD
	v_or_b32_sdwa v193, v64, v63 dst_sel:DWORD dst_unused:UNUSED_PAD src0_sel:WORD_0 src1_sel:DWORD
	v_add_nc_u32_e32 v63, 0x2110, v199
	v_dot4c_i32_i8 v214, v193, v41
	ds_read2_b32 v[63:64], v63 offset1:1
	s_waitcnt lgkmcnt(1)
	v_ashrrev_i32_e32 v194, s1, v194
	v_ashrrev_i32_e32 v195, s1, v195
	v_lshlrev_b32_e32 v194, 2, v194
	v_lshlrev_b32_e32 v195, 2, v195
	v_and_b32_e32 v194, 0x4040404, v194
	v_and_b32_e32 v195, 0x4040404, v195
	s_waitcnt lgkmcnt(0)
	v_ashrrev_i32_e32 v63, s16, v63
	v_lshrrev_b16 v203, 8, v194
	v_lshrrev_b32_e32 v201, 16, v194
	v_lshrrev_b32_e32 v202, 24, v194
	;; [unrolled: 47-line block ×3, first 2 shown]
	v_and_b32_e32 v198, 0x3030303, v63
	v_bfe_u32 v63, v63, 24, 2
	v_lshrrev_b16 v201, 8, v198
	v_lshrrev_b32_e32 v200, 16, v198
	v_sub_nc_u16 v196, v198, v196
	v_sub_nc_u16 v63, v63, v203
	v_lshrrev_b16 v203, 8, v197
	v_sub_nc_u16 v198, v201, v204
	v_lshrrev_b32_e32 v201, 16, v197
	v_lshlrev_b16 v63, 8, v63
	v_lshlrev_b16 v198, 8, v198
	v_or_b32_sdwa v196, v196, v198 dst_sel:DWORD dst_unused:UNUSED_PAD src0_sel:BYTE_0 src1_sel:DWORD
	v_sub_nc_u16 v198, v200, v202
	v_lshrrev_b32_e32 v202, 24, v197
	v_or_b32_sdwa v63, v198, v63 dst_sel:WORD_1 dst_unused:UNUSED_PAD src0_sel:BYTE_0 src1_sel:DWORD
	v_or_b32_sdwa v196, v196, v63 dst_sel:DWORD dst_unused:UNUSED_PAD src0_sel:WORD_0 src1_sel:DWORD
	v_ashrrev_i32_e32 v63, s16, v64
	v_dot4c_i32_i8 v216, v196, v36
	v_and_b32_e32 v64, 0x3030303, v63
	v_bfe_u32 v63, v63, 24, 2
	v_lshrrev_b16 v200, 8, v64
	v_lshrrev_b32_e32 v198, 16, v64
	v_sub_nc_u16 v64, v64, v197
	v_sub_nc_u16 v63, v63, v202
	;; [unrolled: 1-line block ×3, first 2 shown]
	v_add3_u32 v203, s19, v163, v124
	v_lshlrev_b16 v63, 8, v63
	v_lshlrev_b16 v197, 8, v197
	ds_read2_b32 v[204:205], v203 offset1:1
	v_or_b32_sdwa v64, v64, v197 dst_sel:DWORD dst_unused:UNUSED_PAD src0_sel:BYTE_0 src1_sel:DWORD
	v_sub_nc_u16 v197, v198, v201
	v_or_b32_sdwa v63, v197, v63 dst_sel:WORD_1 dst_unused:UNUSED_PAD src0_sel:BYTE_0 src1_sel:DWORD
	v_or_b32_sdwa v198, v64, v63 dst_sel:DWORD dst_unused:UNUSED_PAD src0_sel:WORD_0 src1_sel:DWORD
	v_add3_u32 v63, s18, v162, v123
	v_dot4c_i32_i8 v216, v198, v37
	ds_read_b32 v197, v63
	v_add_nc_u32_e32 v63, 0x3180, v199
	s_waitcnt lgkmcnt(1)
	v_ashrrev_i32_e32 v204, s1, v204
	ds_read2_b32 v[63:64], v63 offset1:1
	v_lshlrev_b32_e32 v204, 2, v204
	v_and_b32_e32 v204, 0x4040404, v204
	v_lshrrev_b32_e32 v207, 24, v204
	v_lshrrev_b16 v217, 8, v204
	v_lshrrev_b32_e32 v206, 16, v204
	s_waitcnt lgkmcnt(0)
	v_ashrrev_i32_e32 v200, s16, v63
	v_and_b32_e32 v201, 0x3030303, v200
	v_bfe_u32 v200, v200, 24, 2
	v_lshrrev_b16 v202, 8, v201
	v_lshrrev_b32_e32 v63, 16, v201
	v_sub_nc_u16 v200, v200, v207
	v_sub_nc_u16 v201, v201, v204
	;; [unrolled: 1-line block ×4, first 2 shown]
	v_lshlrev_b16 v200, 8, v200
	v_lshlrev_b16 v202, 8, v202
	v_or_b32_sdwa v63, v63, v200 dst_sel:WORD_1 dst_unused:UNUSED_PAD src0_sel:BYTE_0 src1_sel:DWORD
	v_or_b32_sdwa v201, v201, v202 dst_sel:DWORD dst_unused:UNUSED_PAD src0_sel:BYTE_0 src1_sel:DWORD
	v_ashrrev_i32_e32 v202, s1, v205
	v_or_b32_sdwa v204, v201, v63 dst_sel:DWORD dst_unused:UNUSED_PAD src0_sel:WORD_0 src1_sel:DWORD
	v_ashrrev_i32_e32 v63, s16, v64
	v_lshlrev_b32_e32 v202, 2, v202
	v_and_b32_e32 v64, 0x3030303, v63
	v_and_b32_e32 v202, 0x4040404, v202
	v_bfe_u32 v63, v63, 24, 2
	v_lshrrev_b16 v201, 8, v64
	v_lshrrev_b32_e32 v206, 24, v202
	v_lshrrev_b16 v207, 8, v202
	v_lshrrev_b32_e32 v200, 16, v64
	v_lshrrev_b32_e32 v205, 16, v202
	v_sub_nc_u16 v64, v64, v202
	v_sub_nc_u16 v63, v63, v206
	;; [unrolled: 1-line block ×4, first 2 shown]
	v_lshlrev_b16 v63, 8, v63
	v_lshlrev_b16 v201, 8, v201
	v_or_b32_sdwa v63, v200, v63 dst_sel:WORD_1 dst_unused:UNUSED_PAD src0_sel:BYTE_0 src1_sel:DWORD
	v_or_b32_sdwa v64, v64, v201 dst_sel:DWORD dst_unused:UNUSED_PAD src0_sel:BYTE_0 src1_sel:DWORD
	ds_read2_b32 v[200:201], v203 offset0:2 offset1:3
	v_or_b32_sdwa v205, v64, v63 dst_sel:DWORD dst_unused:UNUSED_PAD src0_sel:WORD_0 src1_sel:DWORD
	v_add_nc_u32_e32 v63, 0x3188, v199
	ds_read2_b32 v[63:64], v63 offset1:1
	s_waitcnt lgkmcnt(1)
	v_ashrrev_i32_e32 v200, s1, v200
	v_ashrrev_i32_e32 v201, s1, v201
	v_lshlrev_b32_e32 v200, 2, v200
	v_lshlrev_b32_e32 v201, 2, v201
	s_waitcnt lgkmcnt(0)
	v_ashrrev_i32_e32 v63, s16, v63
	v_and_b32_e32 v200, 0x4040404, v200
	v_and_b32_e32 v201, 0x4040404, v201
	;; [unrolled: 1-line block ×3, first 2 shown]
	v_lshrrev_b16 v219, 8, v200
	v_bfe_u32 v63, v63, 24, 2
	v_lshrrev_b32_e32 v217, 16, v200
	v_lshrrev_b32_e32 v218, 24, v200
	v_lshrrev_b16 v207, 8, v202
	v_lshrrev_b32_e32 v206, 16, v202
	v_sub_nc_u16 v200, v202, v200
	v_sub_nc_u16 v63, v63, v218
	;; [unrolled: 1-line block ×3, first 2 shown]
	v_lshrrev_b16 v218, 8, v201
	v_lshrrev_b32_e32 v207, 16, v201
	v_lshlrev_b16 v63, 8, v63
	v_lshlrev_b16 v202, 8, v202
	v_or_b32_sdwa v200, v200, v202 dst_sel:DWORD dst_unused:UNUSED_PAD src0_sel:BYTE_0 src1_sel:DWORD
	v_sub_nc_u16 v202, v206, v217
	v_lshrrev_b32_e32 v217, 24, v201
	v_or_b32_sdwa v63, v202, v63 dst_sel:WORD_1 dst_unused:UNUSED_PAD src0_sel:BYTE_0 src1_sel:DWORD
	v_or_b32_sdwa v206, v200, v63 dst_sel:DWORD dst_unused:UNUSED_PAD src0_sel:WORD_0 src1_sel:DWORD
	v_ashrrev_i32_e32 v63, s16, v64
	v_and_b32_e32 v64, 0x3030303, v63
	v_bfe_u32 v63, v63, 24, 2
	v_lshrrev_b16 v202, 8, v64
	v_lshrrev_b32_e32 v200, 16, v64
	v_sub_nc_u16 v64, v64, v201
	v_sub_nc_u16 v63, v63, v217
	;; [unrolled: 1-line block ×4, first 2 shown]
	v_lshlrev_b16 v63, 8, v63
	v_lshlrev_b16 v201, 8, v201
	v_or_b32_sdwa v63, v200, v63 dst_sel:WORD_1 dst_unused:UNUSED_PAD src0_sel:BYTE_0 src1_sel:DWORD
	v_or_b32_sdwa v64, v64, v201 dst_sel:DWORD dst_unused:UNUSED_PAD src0_sel:BYTE_0 src1_sel:DWORD
	ds_read2_b32 v[200:201], v203 offset0:4 offset1:5
	v_or_b32_sdwa v207, v64, v63 dst_sel:DWORD dst_unused:UNUSED_PAD src0_sel:WORD_0 src1_sel:DWORD
	v_add_nc_u32_e32 v63, 0x3190, v199
	ds_read2_b32 v[63:64], v63 offset1:1
	s_waitcnt lgkmcnt(1)
	v_ashrrev_i32_e32 v200, s1, v200
	v_ashrrev_i32_e32 v201, s1, v201
	v_lshlrev_b32_e32 v200, 2, v200
	v_lshlrev_b32_e32 v201, 2, v201
	s_waitcnt lgkmcnt(0)
	v_ashrrev_i32_e32 v63, s16, v63
	v_and_b32_e32 v200, 0x4040404, v200
	v_and_b32_e32 v201, 0x4040404, v201
	;; [unrolled: 1-line block ×3, first 2 shown]
	v_bfe_u32 v63, v63, 24, 2
	v_lshrrev_b16 v221, 8, v200
	v_lshrrev_b32_e32 v219, 16, v200
	v_lshrrev_b32_e32 v220, 24, v200
	v_lshrrev_b16 v218, 8, v202
	v_lshrrev_b32_e32 v217, 16, v202
	v_sub_nc_u16 v200, v202, v200
	v_sub_nc_u16 v63, v63, v220
	;; [unrolled: 1-line block ×3, first 2 shown]
	v_lshrrev_b16 v220, 8, v201
	v_lshrrev_b32_e32 v218, 16, v201
	v_lshlrev_b16 v63, 8, v63
	v_lshlrev_b16 v202, 8, v202
	v_or_b32_sdwa v200, v200, v202 dst_sel:DWORD dst_unused:UNUSED_PAD src0_sel:BYTE_0 src1_sel:DWORD
	v_sub_nc_u16 v202, v217, v219
	v_lshrrev_b32_e32 v219, 24, v201
	v_or_b32_sdwa v63, v202, v63 dst_sel:WORD_1 dst_unused:UNUSED_PAD src0_sel:BYTE_0 src1_sel:DWORD
	v_or_b32_sdwa v200, v200, v63 dst_sel:DWORD dst_unused:UNUSED_PAD src0_sel:WORD_0 src1_sel:DWORD
	v_ashrrev_i32_e32 v63, s16, v64
	v_and_b32_e32 v64, 0x3030303, v63
	v_bfe_u32 v63, v63, 24, 2
	v_lshrrev_b16 v217, 8, v64
	v_lshrrev_b32_e32 v202, 16, v64
	v_sub_nc_u16 v64, v64, v201
	v_sub_nc_u16 v63, v63, v219
	;; [unrolled: 1-line block ×3, first 2 shown]
	v_lshlrev_b16 v63, 8, v63
	v_lshlrev_b16 v201, 8, v201
	v_or_b32_sdwa v64, v64, v201 dst_sel:DWORD dst_unused:UNUSED_PAD src0_sel:BYTE_0 src1_sel:DWORD
	v_sub_nc_u16 v201, v202, v218
	ds_read2_b32 v[202:203], v203 offset0:6 offset1:7
	v_or_b32_sdwa v63, v201, v63 dst_sel:WORD_1 dst_unused:UNUSED_PAD src0_sel:BYTE_0 src1_sel:DWORD
	v_or_b32_sdwa v201, v64, v63 dst_sel:DWORD dst_unused:UNUSED_PAD src0_sel:WORD_0 src1_sel:DWORD
	v_add_nc_u32_e32 v63, 0x3198, v199
	ds_read2_b32 v[63:64], v63 offset1:1
	s_waitcnt lgkmcnt(1)
	v_ashrrev_i32_e32 v202, s1, v202
	v_ashrrev_i32_e32 v203, s1, v203
	s_add_i32 s1, s1, 1
	v_lshlrev_b32_e32 v202, 2, v202
	v_lshlrev_b32_e32 v203, 2, v203
	v_and_b32_e32 v202, 0x4040404, v202
	v_and_b32_e32 v203, 0x4040404, v203
	s_waitcnt lgkmcnt(0)
	v_ashrrev_i32_e32 v63, s16, v63
	v_lshrrev_b16 v221, 8, v202
	v_lshrrev_b32_e32 v219, 16, v202
	v_lshrrev_b32_e32 v220, 24, v202
	v_and_b32_e32 v199, 0x3030303, v63
	v_bfe_u32 v63, v63, 24, 2
	v_lshrrev_b16 v218, 8, v199
	v_lshrrev_b32_e32 v217, 16, v199
	v_sub_nc_u16 v199, v199, v202
	v_sub_nc_u16 v63, v63, v220
	v_lshrrev_b16 v220, 8, v203
	v_sub_nc_u16 v202, v218, v221
	v_lshrrev_b32_e32 v218, 16, v203
	v_mov_b32_e32 v221, 0
	v_lshlrev_b16 v63, 8, v63
	v_lshlrev_b16 v202, 8, v202
	v_or_b32_sdwa v199, v199, v202 dst_sel:DWORD dst_unused:UNUSED_PAD src0_sel:BYTE_0 src1_sel:DWORD
	v_sub_nc_u16 v202, v217, v219
	v_lshrrev_b32_e32 v219, 24, v203
	v_or_b32_sdwa v63, v202, v63 dst_sel:WORD_1 dst_unused:UNUSED_PAD src0_sel:BYTE_0 src1_sel:DWORD
	v_or_b32_sdwa v202, v199, v63 dst_sel:DWORD dst_unused:UNUSED_PAD src0_sel:WORD_0 src1_sel:DWORD
	v_ashrrev_i32_e32 v63, s16, v64
	v_and_b32_e32 v64, 0x3030303, v63
	v_bfe_u32 v63, v63, 24, 2
	v_lshrrev_b32_e32 v199, 16, v64
	v_lshrrev_b16 v217, 8, v64
	v_sub_nc_u16 v64, v64, v203
	v_sub_nc_u16 v63, v63, v219
	v_add_nc_u32_e32 v219, s17, v132
	v_sub_nc_u16 v199, v199, v218
	v_sub_nc_u16 v203, v217, v220
	v_mov_b32_e32 v218, 0
	v_mov_b32_e32 v220, 0
	v_lshlrev_b16 v63, 8, v63
	s_mov_b32 s17, s15
	v_lshlrev_b16 v203, 8, v203
	v_dot4c_i32_i8 v218, v204, v38
	v_dot4c_i32_i8 v220, v200, v34
	v_or_b32_sdwa v63, v199, v63 dst_sel:WORD_1 dst_unused:UNUSED_PAD src0_sel:BYTE_0 src1_sel:DWORD
	v_or_b32_sdwa v64, v64, v203 dst_sel:DWORD dst_unused:UNUSED_PAD src0_sel:BYTE_0 src1_sel:DWORD
	v_dot4c_i32_i8 v218, v205, v39
	v_dot4c_i32_i8 v220, v201, v35
	v_or_b32_sdwa v203, v64, v63 dst_sel:DWORD dst_unused:UNUSED_PAD src0_sel:WORD_0 src1_sel:DWORD
	v_add3_u32 v63, s18, v164, v125
	v_dot4c_i32_i8 v218, v206, v40
	v_dot4c_i32_i8 v220, v202, v36
	ds_read_b32 v199, v63
	v_dot4c_i32_i8 v218, v207, v41
	v_dot4c_i32_i8 v220, v203, v37
	ds_read_b128 v[34:37], v170 offset:1024
	ds_read_b128 v[38:41], v170 offset:1040
	s_waitcnt lgkmcnt(1)
	v_dot4c_i32_i8 v233, v172, v34
	s_waitcnt lgkmcnt(0)
	v_dot4c_i32_i8 v239, v176, v38
	v_dot4c_i32_i8 v228, v183, v34
	;; [unrolled: 1-line block ×31, first 2 shown]
	ds_read2_b32 v[63:64], v171 offset0:64 offset1:96
	ds_read_b128 v[34:37], v170 offset:2048
	ds_read_b128 v[38:41], v170 offset:2064
	s_waitcnt lgkmcnt(1)
	v_dot4c_i32_i8 v236, v172, v34
	s_waitcnt lgkmcnt(0)
	v_dot4c_i32_i8 v235, v176, v38
	v_dot4c_i32_i8 v231, v183, v34
	;; [unrolled: 1-line block ×31, first 2 shown]
	ds_read_b128 v[38:41], v170 offset:3072
	ds_read_b128 v[34:37], v170 offset:3088
	ds_read_u16 v217, v210 offset:33522
	s_waitcnt lgkmcnt(2)
	v_dot4c_i32_i8 v234, v172, v38
	s_waitcnt lgkmcnt(1)
	v_dot4c_i32_i8 v237, v176, v34
	s_waitcnt lgkmcnt(0)
	v_lshrrev_b16 v210, 8, v217
	v_bfe_i32 v217, v217, 0, 8
	v_dot4c_i32_i8 v234, v173, v39
	v_dot4c_i32_i8 v237, v177, v35
	v_bfe_i32 v210, v210, 0, 8
	v_mul_lo_u32 v233, v233, v217
	v_dot4c_i32_i8 v234, v174, v40
	v_dot4c_i32_i8 v237, v178, v36
	v_mul_lo_u32 v235, v235, v210
	v_mul_lo_u32 v211, v211, v210
	v_dot4c_i32_i8 v234, v175, v41
	v_dot4c_i32_i8 v237, v180, v37
	v_mul_lo_u32 v234, v234, v217
	v_mad_u64_u32 v[235:236], null, v236, v217, v[235:236]
	v_mad_u64_u32 v[236:237], null, v237, v210, v[234:235]
                                        ; kill: def $vgpr234 killed $sgpr0 killed $exec
	v_mad_u64_u32 v[237:238], null, v208, v217, v[211:212]
	v_mad_u64_u32 v[233:234], null, v239, v210, v[233:234]
	ds_read_u16 v212, v212 offset:34546
	v_mul_f32_e32 v208, v179, v62
	v_mul_f32_e32 v211, v179, v61
	;; [unrolled: 1-line block ×3, first 2 shown]
	v_cvt_f32_i32_e32 v237, v237
	v_mul_f32_e32 v234, v179, v64
	v_cvt_f32_i32_e32 v233, v233
	v_cvt_f32_i32_e32 v236, v236
	;; [unrolled: 1-line block ×3, first 2 shown]
	v_fma_f32 v7, v211, v237, v7
	v_mov_b32_e32 v237, 0
	v_fmac_f32_e32 v6, v208, v233
	v_mov_b32_e32 v208, 0
	v_mov_b32_e32 v233, 0
	v_fma_f32 v9, v238, v235, v9
	v_fma_f32 v8, v234, v236, v8
	v_mov_b32_e32 v234, 0
	v_dot4c_i32_i8 v208, v183, v38
	v_dot4c_i32_i8 v233, v181, v34
	v_mov_b32_e32 v235, 0
	s_waitcnt lgkmcnt(0)
	v_lshrrev_b16 v211, 8, v212
	v_bfe_i32 v212, v212, 0, 8
	v_dot4c_i32_i8 v208, v184, v39
	v_dot4c_i32_i8 v233, v182, v35
	v_mov_b32_e32 v236, 0
	v_bfe_i32 v211, v211, 0, 8
	v_mul_lo_u32 v228, v228, v212
	v_dot4c_i32_i8 v208, v187, v40
	v_dot4c_i32_i8 v233, v185, v36
	v_mov_b32_e32 v238, 0
	v_mul_lo_u32 v232, v232, v211
	v_mul_lo_u32 v213, v213, v211
	v_dot4c_i32_i8 v208, v189, v41
	v_dot4c_i32_i8 v233, v188, v37
	v_mad_u64_u32 v[227:228], null, v227, v211, v[228:229]
	v_mul_f32_e32 v228, v186, v64
	v_mul_lo_u32 v208, v208, v212
	v_mad_u64_u32 v[231:232], null, v231, v212, v[232:233]
	v_mov_b32_e32 v239, 0
	v_cvt_f32_i32_e32 v227, v227
	v_mad_u64_u32 v[232:233], null, v233, v211, v[208:209]
	v_mad_u64_u32 v[208:209], null, v209, v212, v[213:214]
	v_mul_f32_e32 v213, v186, v61
	v_mul_f32_e32 v209, v186, v62
	;; [unrolled: 1-line block ×3, first 2 shown]
	v_cvt_f32_i32_e32 v231, v231
	v_cvt_f32_i32_e32 v232, v232
	;; [unrolled: 1-line block ×3, first 2 shown]
	v_fmac_f32_e32 v30, v209, v227
	v_mov_b32_e32 v227, 0
	v_fma_f32 v32, v228, v232, v32
	v_mov_b32_e32 v228, 0
	v_fma_f32 v31, v213, v208, v31
	ds_read_u16 v208, v215 offset:35570
	v_dot4c_i32_i8 v227, v190, v38
	v_fma_f32 v33, v233, v231, v33
	v_dot4c_i32_i8 v228, v194, v34
	v_mov_b32_e32 v232, 0
	v_mov_b32_e32 v233, 0
	v_dot4c_i32_i8 v227, v191, v39
	v_dot4c_i32_i8 v228, v195, v35
	;; [unrolled: 1-line block ×6, first 2 shown]
	s_waitcnt lgkmcnt(0)
	v_lshrrev_b16 v209, 8, v208
	v_bfe_i32 v215, v208, 0, 8
	v_bfe_i32 v213, v209, 0, 8
	v_mul_lo_u32 v208, v226, v215
	v_mul_lo_u32 v226, v230, v213
	;; [unrolled: 1-line block ×4, first 2 shown]
                                        ; kill: def $vgpr227 killed $sgpr0 killed $exec
	v_mad_u64_u32 v[226:227], null, v229, v215, v[226:227]
	v_mad_u64_u32 v[227:228], null, v228, v213, v[216:217]
	v_mad_u64_u32 v[228:229], null, v214, v215, v[209:210]
	v_mul_f32_e32 v214, v197, v61
                                        ; kill: def $vgpr209 killed $sgpr0 killed $exec
	v_mul_f32_e32 v216, v197, v64
	v_mad_u64_u32 v[208:209], null, v225, v213, v[208:209]
	v_mul_f32_e32 v209, v197, v62
	v_mul_f32_e32 v225, v197, v63
	v_cvt_f32_i32_e32 v228, v228
	v_cvt_f32_i32_e32 v227, v227
	;; [unrolled: 1-line block ×4, first 2 shown]
	v_fma_f32 v27, v214, v228, v27
	v_mov_b32_e32 v214, 0
	v_fma_f32 v28, v216, v227, v28
	v_mov_b32_e32 v227, 0
	v_fmac_f32_e32 v26, v209, v208
	v_fma_f32 v29, v225, v226, v29
	v_dot4c_i32_i8 v214, v204, v38
                                        ; kill: def $vgpr38 killed $sgpr0 killed $exec
	v_mov_b32_e32 v225, 0
	v_mov_b32_e32 v226, 0
	;; [unrolled: 1-line block ×3, first 2 shown]
	v_dot4c_i32_i8 v214, v205, v39
	v_mov_b32_e32 v39, 0
	v_dot4c_i32_i8 v214, v206, v40
	v_dot4c_i32_i8 v39, v200, v34
	ds_read_u16 v34, v219 offset:36594
	v_mov_b32_e32 v219, 0
	v_dot4c_i32_i8 v214, v207, v41
	v_dot4c_i32_i8 v39, v201, v35
	v_mul_f32_e32 v41, v199, v63
	v_mov_b32_e32 v63, 0
	v_dot4c_i32_i8 v39, v202, v36
	v_dot4c_i32_i8 v39, v203, v37
	s_waitcnt lgkmcnt(0)
	v_lshrrev_b16 v35, 8, v34
	v_bfe_i32 v209, v34, 0, 8
	v_bfe_i32 v208, v35, 0, 8
	v_mul_lo_u32 v36, v214, v209
	v_mul_lo_u32 v34, v222, v209
	v_mov_b32_e32 v214, 0
	v_mov_b32_e32 v222, 0
	v_mul_lo_u32 v37, v224, v208
	v_mul_lo_u32 v35, v220, v208
	v_mov_b32_e32 v220, 0
	v_mov_b32_e32 v224, 0
	v_mad_u64_u32 v[37:38], null, v223, v209, v[37:38]
	v_mov_b32_e32 v223, 0
	v_mad_u64_u32 v[38:39], null, v39, v208, v[36:37]
                                        ; kill: def $vgpr36 killed $sgpr0 killed $exec
	v_cvt_f32_i32_e32 v37, v37
	v_mad_u64_u32 v[35:36], null, v218, v209, v[35:36]
	v_mul_f32_e32 v36, v199, v61
	v_mov_b32_e32 v218, 0
	v_fma_f32 v25, v41, v37, v25
	v_cvt_f32_i32_e32 v38, v38
	v_mad_u64_u32 v[39:40], null, v221, v208, v[34:35]
	v_mul_f32_e32 v34, v199, v62
	v_mul_f32_e32 v40, v199, v64
	v_cvt_f32_i32_e32 v35, v35
	v_mov_b32_e32 v221, 0
	v_mov_b32_e32 v64, 0
	v_cvt_f32_i32_e32 v39, v39
	v_fma_f32 v24, v40, v38, v24
	v_fma_f32 v23, v36, v35, v23
	v_fmac_f32_e32 v22, v34, v39
	ds_read2_b32 v[61:62], v171 offset0:128 offset1:160
	ds_read_b128 v[38:41], v170 offset:4096
	ds_read_b128 v[34:37], v170 offset:4112
	s_waitcnt lgkmcnt(1)
	v_dot4c_i32_i8 v214, v172, v38
	v_dot4c_i32_i8 v220, v183, v38
	;; [unrolled: 1-line block ×4, first 2 shown]
	s_waitcnt lgkmcnt(0)
	v_dot4c_i32_i8 v227, v176, v34
	v_dot4c_i32_i8 v214, v173, v39
	;; [unrolled: 1-line block ×10, first 2 shown]
	v_mov_b32_e32 v40, 0
	v_dot4c_i32_i8 v221, v194, v34
	v_dot4c_i32_i8 v227, v177, v35
	;; [unrolled: 1-line block ×17, first 2 shown]
	v_mov_b32_e32 v41, 0
	v_dot4c_i32_i8 v40, v203, v37
	ds_read_b128 v[34:37], v170 offset:5120
	ds_read_b128 v[228:231], v170 offset:5136
	s_waitcnt lgkmcnt(1)
	v_dot4c_i32_i8 v232, v172, v34
	s_waitcnt lgkmcnt(0)
	v_dot4c_i32_i8 v233, v176, v228
	v_dot4c_i32_i8 v225, v183, v34
	;; [unrolled: 1-line block ×31, first 2 shown]
	ds_read2_b32 v[38:39], v171 offset0:192 offset1:224
	ds_read_b128 v[34:37], v170 offset:6144
	ds_read_b128 v[228:231], v170 offset:6160
	v_add_nc_u32_e32 v171, 4, v171
	v_mul_lo_u32 v41, v41, v209
	s_waitcnt lgkmcnt(1)
	v_dot4c_i32_i8 v234, v172, v34
	s_waitcnt lgkmcnt(0)
	v_dot4c_i32_i8 v235, v176, v228
	v_dot4c_i32_i8 v236, v183, v34
	;; [unrolled: 1-line block ×31, first 2 shown]
	ds_read_b128 v[228:231], v170 offset:7168
	ds_read_b128 v[34:37], v170 offset:7184
	v_add_nc_u32_e32 v170, 32, v170
	s_waitcnt lgkmcnt(1)
	v_dot4c_i32_i8 v240, v172, v228
	s_waitcnt lgkmcnt(0)
	v_dot4c_i32_i8 v241, v176, v34
                                        ; kill: def $vgpr176 killed $sgpr0 killed $exec
	v_mul_lo_u32 v172, v232, v217
	v_dot4c_i32_i8 v240, v173, v229
	v_dot4c_i32_i8 v241, v177, v35
	v_mul_lo_u32 v173, v227, v210
	v_dot4c_i32_i8 v240, v174, v230
	v_dot4c_i32_i8 v241, v178, v36
	;; [unrolled: 1-line block ×3, first 2 shown]
	v_mul_lo_u32 v175, v235, v210
	v_dot4c_i32_i8 v241, v180, v37
	v_mul_lo_u32 v174, v240, v217
	v_mad_u64_u32 v[175:176], null, v234, v217, v[175:176]
	v_mad_u64_u32 v[176:177], null, v241, v210, v[174:175]
                                        ; kill: def $vgpr174 killed $sgpr0 killed $exec
	v_cvt_f32_i32_e32 v175, v175
	v_mad_u64_u32 v[173:174], null, v214, v217, v[173:174]
	v_mul_f32_e32 v174, v179, v61
	v_cvt_f32_i32_e32 v176, v176
	v_mad_u64_u32 v[177:178], null, v233, v210, v[172:173]
	v_cvt_f32_i32_e32 v173, v173
	v_mul_f32_e32 v172, v179, v62
	v_mul_f32_e32 v178, v179, v39
	v_mul_f32_e32 v179, v179, v38
	v_fma_f32 v19, v174, v173, v19
	v_mov_b32_e32 v174, 0
	v_cvt_f32_i32_e32 v177, v177
	v_fma_f32 v21, v179, v175, v21
	v_mul_lo_u32 v175, v237, v211
	v_fma_f32 v20, v178, v176, v20
	v_dot4c_i32_i8 v174, v183, v228
	v_fmac_f32_e32 v18, v172, v177
	v_mov_b32_e32 v177, 0
                                        ; kill: def $vgpr176 killed $sgpr0 killed $exec
	v_mul_lo_u32 v173, v222, v211
	v_mul_lo_u32 v172, v225, v212
	v_dot4c_i32_i8 v174, v184, v229
	v_mad_u64_u32 v[175:176], null, v236, v212, v[175:176]
	v_dot4c_i32_i8 v177, v181, v34
	v_mul_f32_e32 v179, v186, v38
	v_dot4c_i32_i8 v174, v187, v230
	v_dot4c_i32_i8 v177, v182, v35
	;; [unrolled: 1-line block ×4, first 2 shown]
	v_mul_lo_u32 v174, v174, v212
	v_dot4c_i32_i8 v177, v188, v37
	v_mad_u64_u32 v[176:177], null, v177, v211, v[174:175]
                                        ; kill: def $vgpr174 killed $sgpr0 killed $exec
	v_cvt_f32_i32_e32 v175, v175
	v_mad_u64_u32 v[173:174], null, v220, v212, v[173:174]
	v_mul_f32_e32 v174, v186, v61
	v_fma_f32 v17, v179, v175, v17
	v_mul_lo_u32 v175, v239, v213
	v_cvt_f32_i32_e32 v176, v176
	v_mul_f32_e32 v179, v197, v38
	v_mad_u64_u32 v[177:178], null, v226, v211, v[172:173]
	v_cvt_f32_i32_e32 v173, v173
	v_mul_f32_e32 v172, v186, v62
	v_mul_f32_e32 v178, v186, v39
	v_fma_f32 v15, v174, v173, v15
	v_mov_b32_e32 v174, 0
	v_cvt_f32_i32_e32 v177, v177
	v_fma_f32 v16, v178, v176, v16
                                        ; kill: def $vgpr176 killed $sgpr0 killed $exec
	v_mul_lo_u32 v173, v221, v213
	v_mad_u64_u32 v[175:176], null, v238, v215, v[175:176]
	v_dot4c_i32_i8 v174, v190, v228
	v_fmac_f32_e32 v14, v172, v177
	v_mov_b32_e32 v177, 0
	v_mul_lo_u32 v172, v224, v215
	v_dot4c_i32_i8 v174, v191, v229
	v_dot4c_i32_i8 v177, v194, v34
	;; [unrolled: 1-line block ×6, first 2 shown]
	v_mul_lo_u32 v174, v174, v215
	v_dot4c_i32_i8 v177, v198, v37
	v_mad_u64_u32 v[176:177], null, v177, v213, v[174:175]
                                        ; kill: def $vgpr174 killed $sgpr0 killed $exec
	v_cvt_f32_i32_e32 v175, v175
	v_mad_u64_u32 v[173:174], null, v219, v215, v[173:174]
	v_mul_f32_e32 v174, v197, v61
	v_fma_f32 v13, v179, v175, v13
	v_cvt_f32_i32_e32 v176, v176
	v_mad_u64_u32 v[177:178], null, v223, v213, v[172:173]
	v_mul_f32_e32 v172, v197, v62
	v_cvt_f32_i32_e32 v173, v173
	v_mul_f32_e32 v178, v197, v39
	v_mul_f32_e32 v39, v199, v39
	v_cvt_f32_i32_e32 v177, v177
	v_fma_f32 v11, v174, v173, v11
	v_mov_b32_e32 v173, 0
	v_fma_f32 v12, v178, v176, v12
	v_fmac_f32_e32 v10, v172, v177
	v_mov_b32_e32 v172, 0
	v_dot4c_i32_i8 v173, v200, v34
	v_mul_lo_u32 v34, v218, v208
	v_dot4c_i32_i8 v172, v204, v228
	v_dot4c_i32_i8 v173, v201, v35
                                        ; kill: def $vgpr35 killed $sgpr0 killed $exec
	s_add_i32 s0, s0, 2
	s_cmp_lt_u32 s15, 22
	v_dot4c_i32_i8 v172, v205, v229
	v_dot4c_i32_i8 v173, v202, v36
	v_mad_u64_u32 v[34:35], null, v216, v209, v[34:35]
	v_dot4c_i32_i8 v172, v206, v230
	v_dot4c_i32_i8 v173, v203, v37
	v_mul_lo_u32 v37, v40, v208
	v_mad_u64_u32 v[40:41], null, v64, v208, v[41:42]
	v_dot4c_i32_i8 v172, v207, v231
	v_mul_f32_e32 v41, v199, v61
	v_cvt_f32_i32_e32 v34, v34
	v_mul_lo_u32 v36, v172, v209
	v_cvt_f32_i32_e32 v40, v40
	v_mad_u64_u32 v[35:36], null, v173, v208, v[36:37]
	v_mad_u64_u32 v[36:37], null, v63, v209, v[37:38]
	v_mul_f32_e32 v37, v199, v62
	v_mul_f32_e32 v38, v199, v38
	v_cvt_f32_i32_e32 v35, v35
	v_fmac_f32_e32 v2, v37, v40
	v_cvt_f32_i32_e32 v36, v36
	v_fma_f32 v5, v38, v34, v5
	v_fma_f32 v4, v39, v35, v4
	v_fma_f32 v3, v41, v36, v3
	s_cbranch_scc1 .LBB170_12
; %bb.13:                               ;   in Loop: Header=BB170_6 Depth=1
	v_add_nc_u32_e32 v170, s11, v128
	v_add_nc_u32_e32 v63, 12, v168
	s_barrier
	buffer_gl0_inv
	v_add_nc_u32_e32 v34, v170, v109
	v_add_nc_u32_e32 v36, v170, v111
	;; [unrolled: 1-line block ×5, first 2 shown]
	v_mad_u64_u32 v[63:64], null, v63, 36, s[2:3]
	v_mad_i64_i32 v[34:35], null, v34, 36, v[59:60]
	v_add_nc_u32_e32 v168, v170, v115
	v_mad_i64_i32 v[36:37], null, v36, 36, v[59:60]
	v_add_nc_u32_e32 v172, v170, v116
	;; [unrolled: 2-line block ×3, first 2 shown]
	v_mad_i64_i32 v[40:41], null, v40, 36, v[59:60]
	v_mad_i64_i32 v[61:62], null, v61, 36, v[59:60]
	;; [unrolled: 1-line block ×5, first 2 shown]
	s_clause 0x8
	global_load_dword v63, v[63:64], off
	global_load_dword v34, v[34:35], off offset:4
	global_load_dword v35, v[36:37], off offset:4
	;; [unrolled: 1-line block ×8, first 2 shown]
	v_mov_b32_e32 v168, v138
	v_mov_b32_e32 v170, v137
	s_mov_b32 s0, 24
	s_mov_b32 s16, 22
	;; [unrolled: 1-line block ×3, first 2 shown]
	s_waitcnt vmcnt(8)
	v_cvt_f32_f16_e32 v61, v63
	s_waitcnt vmcnt(7)
	ds_write_b32 v169, v34
	s_waitcnt vmcnt(6)
	ds_write_b32 v152, v35
	;; [unrolled: 2-line block ×8, first 2 shown]
	ds_write_b32 v108, v61
	s_waitcnt lgkmcnt(0)
	s_barrier
	buffer_gl0_inv
.LBB170_14:                             ;   Parent Loop BB170_6 Depth=1
                                        ; =>  This Inner Loop Header: Depth=2
	s_add_i32 s11, s16, 2
	ds_read2_b32 v[61:62], v170 offset1:32
	ds_read_b128 v[38:41], v168
	ds_read_b128 v[34:37], v168 offset:16
	s_lshr_b32 s17, s11, 4
	s_and_b32 s18, s11, 0x3ffffff8
	s_sub_i32 s15, s16, 22
	v_lshl_add_u32 v197, s18, 2, v118
	s_lshl_b32 s18, s17, 5
	s_lshl_b32 s17, s17, 2
	s_addk_i32 s18, 0x4200
	s_add_i32 s17, s17, 0x9380
	v_add3_u32 v176, s18, v165, v119
	ds_read2_b32 v[63:64], v197 offset1:1
	v_add3_u32 v184, s18, v159, v120
	v_add3_u32 v194, s18, v161, v122
	v_mov_b32_e32 v206, 0
	ds_read2_b32 v[171:172], v176 offset1:1
	v_mov_b32_e32 v209, 0
	v_mov_b32_e32 v207, 0
	;; [unrolled: 1-line block ×15, first 2 shown]
	s_waitcnt lgkmcnt(1)
	v_ashrrev_i32_e32 v63, s15, v63
	v_mov_b32_e32 v230, 0
	v_mov_b32_e32 v227, 0
	;; [unrolled: 1-line block ×3, first 2 shown]
	s_waitcnt lgkmcnt(0)
	v_ashrrev_i32_e32 v171, s1, v171
	v_and_b32_e32 v169, 0x3030303, v63
	v_bfe_u32 v63, v63, 24, 2
	v_ashrrev_i32_e32 v172, s1, v172
	v_mov_b32_e32 v221, 0
	v_lshlrev_b32_e32 v171, 2, v171
	v_lshrrev_b16 v174, 8, v169
	v_lshrrev_b32_e32 v173, 16, v169
	v_lshlrev_b32_e32 v172, 2, v172
	v_mov_b32_e32 v222, 0
	v_and_b32_e32 v171, 0x4040404, v171
	s_and_b32 s19, s0, -16
	v_mov_b32_e32 v232, 0
	v_and_b32_e32 v172, 0x4040404, v172
	s_add_i32 s16, s16, s19
	v_lshrrev_b16 v178, 8, v171
	v_lshrrev_b32_e32 v175, 16, v171
	v_lshrrev_b32_e32 v177, 24, v171
	v_sub_nc_u16 v169, v169, v171
	v_add_nc_u32_e32 v208, s16, v129
	v_sub_nc_u16 v171, v174, v178
	v_lshrrev_b32_e32 v174, 16, v172
	v_sub_nc_u16 v63, v63, v177
	v_lshrrev_b16 v177, 8, v172
	v_mov_b32_e32 v235, 0
	v_lshlrev_b16 v171, 8, v171
	v_add_nc_u32_e32 v210, s16, v130
	v_lshlrev_b16 v63, 8, v63
	v_add_nc_u32_e32 v213, s16, v131
	v_mov_b32_e32 v238, 0
	v_or_b32_sdwa v169, v169, v171 dst_sel:DWORD dst_unused:UNUSED_PAD src0_sel:BYTE_0 src1_sel:DWORD
	v_sub_nc_u16 v171, v173, v175
	v_lshrrev_b32_e32 v175, 24, v172
	v_mov_b32_e32 v239, 0
	v_or_b32_sdwa v63, v171, v63 dst_sel:WORD_1 dst_unused:UNUSED_PAD src0_sel:BYTE_0 src1_sel:DWORD
	v_or_b32_sdwa v169, v169, v63 dst_sel:DWORD dst_unused:UNUSED_PAD src0_sel:WORD_0 src1_sel:DWORD
	v_ashrrev_i32_e32 v63, s15, v64
	v_dot4c_i32_i8 v206, v169, v38
	v_and_b32_e32 v64, 0x3030303, v63
	v_bfe_u32 v63, v63, 24, 2
	v_lshrrev_b16 v173, 8, v64
	v_lshrrev_b32_e32 v171, 16, v64
	v_sub_nc_u16 v64, v64, v172
	v_sub_nc_u16 v63, v63, v175
	;; [unrolled: 1-line block ×4, first 2 shown]
	v_lshlrev_b16 v63, 8, v63
	v_lshlrev_b16 v172, 8, v172
	v_or_b32_sdwa v63, v171, v63 dst_sel:WORD_1 dst_unused:UNUSED_PAD src0_sel:BYTE_0 src1_sel:DWORD
	v_or_b32_sdwa v64, v64, v172 dst_sel:DWORD dst_unused:UNUSED_PAD src0_sel:BYTE_0 src1_sel:DWORD
	ds_read2_b32 v[172:173], v176 offset0:2 offset1:3
	v_or_b32_sdwa v171, v64, v63 dst_sel:DWORD dst_unused:UNUSED_PAD src0_sel:WORD_0 src1_sel:DWORD
	ds_read2_b32 v[63:64], v197 offset0:2 offset1:3
	v_dot4c_i32_i8 v206, v171, v39
	s_waitcnt lgkmcnt(1)
	v_ashrrev_i32_e32 v172, s1, v172
	v_ashrrev_i32_e32 v173, s1, v173
	s_waitcnt lgkmcnt(0)
	v_ashrrev_i32_e32 v63, s15, v63
	v_lshlrev_b32_e32 v172, 2, v172
	v_lshlrev_b32_e32 v173, 2, v173
	v_and_b32_e32 v174, 0x3030303, v63
	v_and_b32_e32 v172, 0x4040404, v172
	v_bfe_u32 v63, v63, 24, 2
	v_and_b32_e32 v173, 0x4040404, v173
	v_lshrrev_b16 v177, 8, v174
	v_lshrrev_b16 v180, 8, v172
	v_lshrrev_b32_e32 v175, 16, v174
	v_lshrrev_b32_e32 v178, 16, v172
	;; [unrolled: 1-line block ×3, first 2 shown]
	v_sub_nc_u16 v172, v174, v172
	v_sub_nc_u16 v174, v177, v180
	v_lshrrev_b32_e32 v177, 16, v173
	v_sub_nc_u16 v63, v63, v179
	v_lshrrev_b16 v179, 8, v173
	v_lshlrev_b16 v174, 8, v174
	v_lshlrev_b16 v63, 8, v63
	v_or_b32_sdwa v172, v172, v174 dst_sel:DWORD dst_unused:UNUSED_PAD src0_sel:BYTE_0 src1_sel:DWORD
	v_sub_nc_u16 v174, v175, v178
	v_lshrrev_b32_e32 v178, 24, v173
	v_or_b32_sdwa v63, v174, v63 dst_sel:WORD_1 dst_unused:UNUSED_PAD src0_sel:BYTE_0 src1_sel:DWORD
	v_or_b32_sdwa v172, v172, v63 dst_sel:DWORD dst_unused:UNUSED_PAD src0_sel:WORD_0 src1_sel:DWORD
	v_ashrrev_i32_e32 v63, s15, v64
	v_dot4c_i32_i8 v206, v172, v40
	v_and_b32_e32 v64, 0x3030303, v63
	v_bfe_u32 v63, v63, 24, 2
	v_lshrrev_b16 v175, 8, v64
	v_lshrrev_b32_e32 v174, 16, v64
	v_sub_nc_u16 v64, v64, v173
	v_sub_nc_u16 v63, v63, v178
	;; [unrolled: 1-line block ×3, first 2 shown]
	v_lshlrev_b16 v63, 8, v63
	v_lshlrev_b16 v173, 8, v173
	v_or_b32_sdwa v64, v64, v173 dst_sel:DWORD dst_unused:UNUSED_PAD src0_sel:BYTE_0 src1_sel:DWORD
	v_sub_nc_u16 v173, v174, v177
	ds_read2_b32 v[174:175], v176 offset0:4 offset1:5
	v_or_b32_sdwa v63, v173, v63 dst_sel:WORD_1 dst_unused:UNUSED_PAD src0_sel:BYTE_0 src1_sel:DWORD
	v_or_b32_sdwa v173, v64, v63 dst_sel:DWORD dst_unused:UNUSED_PAD src0_sel:WORD_0 src1_sel:DWORD
	ds_read2_b32 v[63:64], v197 offset0:4 offset1:5
	v_dot4c_i32_i8 v206, v173, v41
	s_waitcnt lgkmcnt(1)
	v_ashrrev_i32_e32 v174, s1, v174
	v_ashrrev_i32_e32 v175, s1, v175
	v_lshlrev_b32_e32 v174, 2, v174
	v_lshlrev_b32_e32 v175, 2, v175
	s_waitcnt lgkmcnt(0)
	v_ashrrev_i32_e32 v63, s15, v63
	v_and_b32_e32 v174, 0x4040404, v174
	v_and_b32_e32 v175, 0x4040404, v175
	;; [unrolled: 1-line block ×3, first 2 shown]
	v_bfe_u32 v63, v63, 24, 2
	v_lshrrev_b16 v182, 8, v174
	v_lshrrev_b32_e32 v180, 16, v174
	v_lshrrev_b32_e32 v181, 24, v174
	v_lshrrev_b16 v179, 8, v177
	v_lshrrev_b32_e32 v178, 16, v177
	v_sub_nc_u16 v174, v177, v174
	v_sub_nc_u16 v63, v63, v181
	;; [unrolled: 1-line block ×3, first 2 shown]
	v_lshrrev_b16 v181, 8, v175
	v_lshrrev_b32_e32 v179, 16, v175
	v_lshlrev_b16 v63, 8, v63
	v_lshlrev_b16 v177, 8, v177
	v_or_b32_sdwa v174, v174, v177 dst_sel:DWORD dst_unused:UNUSED_PAD src0_sel:BYTE_0 src1_sel:DWORD
	v_sub_nc_u16 v177, v178, v180
	v_lshrrev_b32_e32 v180, 24, v175
	v_or_b32_sdwa v63, v177, v63 dst_sel:WORD_1 dst_unused:UNUSED_PAD src0_sel:BYTE_0 src1_sel:DWORD
	v_or_b32_sdwa v174, v174, v63 dst_sel:DWORD dst_unused:UNUSED_PAD src0_sel:WORD_0 src1_sel:DWORD
	v_ashrrev_i32_e32 v63, s15, v64
	v_dot4c_i32_i8 v209, v174, v34
	v_and_b32_e32 v64, 0x3030303, v63
	v_bfe_u32 v63, v63, 24, 2
	v_lshrrev_b16 v178, 8, v64
	v_lshrrev_b32_e32 v177, 16, v64
	v_sub_nc_u16 v64, v64, v175
	v_sub_nc_u16 v63, v63, v180
	;; [unrolled: 1-line block ×3, first 2 shown]
	v_lshlrev_b16 v63, 8, v63
	v_lshlrev_b16 v175, 8, v175
	v_or_b32_sdwa v64, v64, v175 dst_sel:DWORD dst_unused:UNUSED_PAD src0_sel:BYTE_0 src1_sel:DWORD
	v_sub_nc_u16 v175, v177, v179
	ds_read2_b32 v[176:177], v176 offset0:6 offset1:7
	v_or_b32_sdwa v63, v175, v63 dst_sel:WORD_1 dst_unused:UNUSED_PAD src0_sel:BYTE_0 src1_sel:DWORD
	v_or_b32_sdwa v175, v64, v63 dst_sel:DWORD dst_unused:UNUSED_PAD src0_sel:WORD_0 src1_sel:DWORD
	ds_read2_b32 v[63:64], v197 offset0:6 offset1:7
	v_dot4c_i32_i8 v209, v175, v35
	s_waitcnt lgkmcnt(1)
	v_ashrrev_i32_e32 v176, s1, v176
	v_ashrrev_i32_e32 v177, s1, v177
	v_lshlrev_b32_e32 v176, 2, v176
	v_lshlrev_b32_e32 v177, 2, v177
	s_waitcnt lgkmcnt(0)
	v_ashrrev_i32_e32 v63, s15, v63
	v_and_b32_e32 v176, 0x4040404, v176
	v_and_b32_e32 v177, 0x4040404, v177
	;; [unrolled: 1-line block ×3, first 2 shown]
	v_bfe_u32 v63, v63, 24, 2
	v_lshrrev_b16 v183, 8, v176
	v_lshrrev_b32_e32 v181, 16, v176
	v_lshrrev_b32_e32 v182, 24, v176
	v_lshrrev_b16 v180, 8, v178
	v_lshrrev_b32_e32 v179, 16, v178
	v_sub_nc_u16 v176, v178, v176
	v_sub_nc_u16 v63, v63, v182
	;; [unrolled: 1-line block ×3, first 2 shown]
	v_lshrrev_b16 v182, 8, v177
	v_lshrrev_b32_e32 v180, 16, v177
	v_lshlrev_b16 v63, 8, v63
	v_lshlrev_b16 v178, 8, v178
	v_or_b32_sdwa v176, v176, v178 dst_sel:DWORD dst_unused:UNUSED_PAD src0_sel:BYTE_0 src1_sel:DWORD
	v_sub_nc_u16 v178, v179, v181
	v_lshrrev_b32_e32 v181, 24, v177
	v_or_b32_sdwa v63, v178, v63 dst_sel:WORD_1 dst_unused:UNUSED_PAD src0_sel:BYTE_0 src1_sel:DWORD
	v_or_b32_sdwa v176, v176, v63 dst_sel:DWORD dst_unused:UNUSED_PAD src0_sel:WORD_0 src1_sel:DWORD
	v_ashrrev_i32_e32 v63, s15, v64
	v_dot4c_i32_i8 v209, v176, v36
	v_and_b32_e32 v64, 0x3030303, v63
	v_bfe_u32 v63, v63, 24, 2
	v_lshrrev_b16 v179, 8, v64
	v_lshrrev_b32_e32 v178, 16, v64
	v_sub_nc_u16 v64, v64, v177
	v_sub_nc_u16 v63, v63, v181
	;; [unrolled: 1-line block ×3, first 2 shown]
	v_lshlrev_b16 v63, 8, v63
	v_lshlrev_b16 v177, 8, v177
	v_or_b32_sdwa v64, v64, v177 dst_sel:DWORD dst_unused:UNUSED_PAD src0_sel:BYTE_0 src1_sel:DWORD
	v_sub_nc_u16 v177, v178, v180
	ds_read2_b32 v[179:180], v184 offset1:1
	v_or_b32_sdwa v63, v177, v63 dst_sel:WORD_1 dst_unused:UNUSED_PAD src0_sel:BYTE_0 src1_sel:DWORD
	v_or_b32_sdwa v178, v64, v63 dst_sel:DWORD dst_unused:UNUSED_PAD src0_sel:WORD_0 src1_sel:DWORD
	v_add3_u32 v63, s17, v166, v167
	v_dot4c_i32_i8 v209, v178, v37
	ds_read_b32 v177, v63
	v_add_nc_u32_e32 v63, 0x1080, v197
	s_waitcnt lgkmcnt(1)
	v_ashrrev_i32_e32 v179, s1, v179
	ds_read2_b32 v[63:64], v63 offset1:1
	v_ashrrev_i32_e32 v180, s1, v180
	v_lshlrev_b32_e32 v179, 2, v179
	v_lshlrev_b32_e32 v180, 2, v180
	v_and_b32_e32 v179, 0x4040404, v179
	v_and_b32_e32 v180, 0x4040404, v180
	v_lshrrev_b16 v187, 8, v179
	v_lshrrev_b32_e32 v185, 16, v179
	v_lshrrev_b32_e32 v186, 24, v179
	s_waitcnt lgkmcnt(0)
	v_ashrrev_i32_e32 v63, s15, v63
	v_and_b32_e32 v181, 0x3030303, v63
	v_bfe_u32 v63, v63, 24, 2
	v_lshrrev_b16 v183, 8, v181
	v_lshrrev_b32_e32 v182, 16, v181
	v_sub_nc_u16 v179, v181, v179
	v_sub_nc_u16 v63, v63, v186
	v_lshrrev_b16 v186, 8, v180
	v_sub_nc_u16 v181, v183, v187
	v_lshrrev_b32_e32 v183, 16, v180
	v_lshlrev_b16 v63, 8, v63
	v_lshlrev_b16 v181, 8, v181
	v_or_b32_sdwa v179, v179, v181 dst_sel:DWORD dst_unused:UNUSED_PAD src0_sel:BYTE_0 src1_sel:DWORD
	v_sub_nc_u16 v181, v182, v185
	v_lshrrev_b32_e32 v185, 24, v180
	v_or_b32_sdwa v63, v181, v63 dst_sel:WORD_1 dst_unused:UNUSED_PAD src0_sel:BYTE_0 src1_sel:DWORD
	v_or_b32_sdwa v181, v179, v63 dst_sel:DWORD dst_unused:UNUSED_PAD src0_sel:WORD_0 src1_sel:DWORD
	v_ashrrev_i32_e32 v63, s15, v64
	v_dot4c_i32_i8 v207, v181, v38
	v_and_b32_e32 v64, 0x3030303, v63
	v_bfe_u32 v63, v63, 24, 2
	v_lshrrev_b16 v182, 8, v64
	v_lshrrev_b32_e32 v179, 16, v64
	v_sub_nc_u16 v64, v64, v180
	v_sub_nc_u16 v63, v63, v185
	;; [unrolled: 1-line block ×4, first 2 shown]
	v_lshlrev_b16 v63, 8, v63
	v_lshlrev_b16 v180, 8, v180
	v_or_b32_sdwa v63, v179, v63 dst_sel:WORD_1 dst_unused:UNUSED_PAD src0_sel:BYTE_0 src1_sel:DWORD
	v_or_b32_sdwa v64, v64, v180 dst_sel:DWORD dst_unused:UNUSED_PAD src0_sel:BYTE_0 src1_sel:DWORD
	ds_read2_b32 v[179:180], v184 offset0:2 offset1:3
	v_or_b32_sdwa v182, v64, v63 dst_sel:DWORD dst_unused:UNUSED_PAD src0_sel:WORD_0 src1_sel:DWORD
	v_add_nc_u32_e32 v63, 0x1088, v197
	v_dot4c_i32_i8 v207, v182, v39
	ds_read2_b32 v[63:64], v63 offset1:1
	s_waitcnt lgkmcnt(1)
	v_ashrrev_i32_e32 v179, s1, v179
	v_ashrrev_i32_e32 v180, s1, v180
	v_lshlrev_b32_e32 v179, 2, v179
	v_lshlrev_b32_e32 v180, 2, v180
	s_waitcnt lgkmcnt(0)
	v_ashrrev_i32_e32 v63, s15, v63
	v_and_b32_e32 v179, 0x4040404, v179
	v_and_b32_e32 v180, 0x4040404, v180
	;; [unrolled: 1-line block ×3, first 2 shown]
	v_bfe_u32 v63, v63, 24, 2
	v_lshrrev_b16 v189, 8, v179
	v_lshrrev_b32_e32 v187, 16, v179
	v_lshrrev_b32_e32 v188, 24, v179
	v_lshrrev_b16 v186, 8, v183
	v_lshrrev_b32_e32 v185, 16, v183
	v_sub_nc_u16 v179, v183, v179
	v_sub_nc_u16 v63, v63, v188
	;; [unrolled: 1-line block ×3, first 2 shown]
	v_lshrrev_b16 v188, 8, v180
	v_lshrrev_b32_e32 v186, 16, v180
	v_lshlrev_b16 v63, 8, v63
	v_lshlrev_b16 v183, 8, v183
	v_or_b32_sdwa v179, v179, v183 dst_sel:DWORD dst_unused:UNUSED_PAD src0_sel:BYTE_0 src1_sel:DWORD
	v_sub_nc_u16 v183, v185, v187
	v_lshrrev_b32_e32 v187, 24, v180
	v_or_b32_sdwa v63, v183, v63 dst_sel:WORD_1 dst_unused:UNUSED_PAD src0_sel:BYTE_0 src1_sel:DWORD
	v_or_b32_sdwa v185, v179, v63 dst_sel:DWORD dst_unused:UNUSED_PAD src0_sel:WORD_0 src1_sel:DWORD
	v_ashrrev_i32_e32 v63, s15, v64
	v_dot4c_i32_i8 v207, v185, v40
	v_and_b32_e32 v64, 0x3030303, v63
	v_bfe_u32 v63, v63, 24, 2
	v_lshrrev_b16 v183, 8, v64
	v_lshrrev_b32_e32 v179, 16, v64
	v_sub_nc_u16 v64, v64, v180
	v_sub_nc_u16 v63, v63, v187
	;; [unrolled: 1-line block ×4, first 2 shown]
	v_lshlrev_b16 v63, 8, v63
	v_lshlrev_b16 v180, 8, v180
	v_or_b32_sdwa v63, v179, v63 dst_sel:WORD_1 dst_unused:UNUSED_PAD src0_sel:BYTE_0 src1_sel:DWORD
	v_or_b32_sdwa v64, v64, v180 dst_sel:DWORD dst_unused:UNUSED_PAD src0_sel:BYTE_0 src1_sel:DWORD
	ds_read2_b32 v[179:180], v184 offset0:4 offset1:5
	v_or_b32_sdwa v187, v64, v63 dst_sel:DWORD dst_unused:UNUSED_PAD src0_sel:WORD_0 src1_sel:DWORD
	v_add_nc_u32_e32 v63, 0x1090, v197
	v_dot4c_i32_i8 v207, v187, v41
	ds_read2_b32 v[63:64], v63 offset1:1
	s_waitcnt lgkmcnt(1)
	v_ashrrev_i32_e32 v179, s1, v179
	v_ashrrev_i32_e32 v180, s1, v180
	v_lshlrev_b32_e32 v179, 2, v179
	v_lshlrev_b32_e32 v180, 2, v180
	s_waitcnt lgkmcnt(0)
	v_ashrrev_i32_e32 v63, s15, v63
	v_and_b32_e32 v179, 0x4040404, v179
	v_and_b32_e32 v180, 0x4040404, v180
	;; [unrolled: 1-line block ×3, first 2 shown]
	v_bfe_u32 v63, v63, 24, 2
	v_lshrrev_b16 v191, 8, v179
	v_lshrrev_b32_e32 v189, 16, v179
	v_lshrrev_b32_e32 v190, 24, v179
	v_lshrrev_b16 v188, 8, v183
	v_lshrrev_b32_e32 v186, 16, v183
	v_sub_nc_u16 v179, v183, v179
	v_sub_nc_u16 v63, v63, v190
	;; [unrolled: 1-line block ×3, first 2 shown]
	v_lshrrev_b16 v190, 8, v180
	v_lshrrev_b32_e32 v188, 16, v180
	v_lshlrev_b16 v63, 8, v63
	v_lshlrev_b16 v183, 8, v183
	v_or_b32_sdwa v179, v179, v183 dst_sel:DWORD dst_unused:UNUSED_PAD src0_sel:BYTE_0 src1_sel:DWORD
	v_sub_nc_u16 v183, v186, v189
	v_lshrrev_b32_e32 v189, 24, v180
	v_or_b32_sdwa v63, v183, v63 dst_sel:WORD_1 dst_unused:UNUSED_PAD src0_sel:BYTE_0 src1_sel:DWORD
	v_or_b32_sdwa v179, v179, v63 dst_sel:DWORD dst_unused:UNUSED_PAD src0_sel:WORD_0 src1_sel:DWORD
	v_ashrrev_i32_e32 v63, s15, v64
	v_dot4c_i32_i8 v211, v179, v34
	v_and_b32_e32 v64, 0x3030303, v63
	v_bfe_u32 v63, v63, 24, 2
	v_lshrrev_b16 v186, 8, v64
	v_lshrrev_b32_e32 v183, 16, v64
	v_sub_nc_u16 v64, v64, v180
	v_sub_nc_u16 v63, v63, v189
	;; [unrolled: 1-line block ×3, first 2 shown]
	v_lshlrev_b16 v63, 8, v63
	v_lshlrev_b16 v180, 8, v180
	v_or_b32_sdwa v64, v64, v180 dst_sel:DWORD dst_unused:UNUSED_PAD src0_sel:BYTE_0 src1_sel:DWORD
	v_sub_nc_u16 v180, v183, v188
	ds_read2_b32 v[183:184], v184 offset0:6 offset1:7
	v_or_b32_sdwa v63, v180, v63 dst_sel:WORD_1 dst_unused:UNUSED_PAD src0_sel:BYTE_0 src1_sel:DWORD
	v_or_b32_sdwa v180, v64, v63 dst_sel:DWORD dst_unused:UNUSED_PAD src0_sel:WORD_0 src1_sel:DWORD
	v_add_nc_u32_e32 v63, 0x1098, v197
	v_dot4c_i32_i8 v211, v180, v35
	ds_read2_b32 v[63:64], v63 offset1:1
	s_waitcnt lgkmcnt(1)
	v_ashrrev_i32_e32 v183, s1, v183
	v_ashrrev_i32_e32 v184, s1, v184
	v_lshlrev_b32_e32 v183, 2, v183
	v_lshlrev_b32_e32 v184, 2, v184
	v_and_b32_e32 v183, 0x4040404, v183
	v_and_b32_e32 v184, 0x4040404, v184
	s_waitcnt lgkmcnt(0)
	v_ashrrev_i32_e32 v63, s15, v63
	v_lshrrev_b16 v192, 8, v183
	v_lshrrev_b32_e32 v190, 16, v183
	v_lshrrev_b32_e32 v191, 24, v183
	v_and_b32_e32 v186, 0x3030303, v63
	v_bfe_u32 v63, v63, 24, 2
	v_lshrrev_b16 v189, 8, v186
	v_lshrrev_b32_e32 v188, 16, v186
	v_sub_nc_u16 v183, v186, v183
	v_sub_nc_u16 v63, v63, v191
	v_lshrrev_b16 v191, 8, v184
	v_sub_nc_u16 v186, v189, v192
	v_lshrrev_b32_e32 v189, 16, v184
	v_lshlrev_b16 v63, 8, v63
	v_lshlrev_b16 v186, 8, v186
	v_or_b32_sdwa v183, v183, v186 dst_sel:DWORD dst_unused:UNUSED_PAD src0_sel:BYTE_0 src1_sel:DWORD
	v_sub_nc_u16 v186, v188, v190
	v_lshrrev_b32_e32 v190, 24, v184
	v_or_b32_sdwa v63, v186, v63 dst_sel:WORD_1 dst_unused:UNUSED_PAD src0_sel:BYTE_0 src1_sel:DWORD
	v_or_b32_sdwa v183, v183, v63 dst_sel:DWORD dst_unused:UNUSED_PAD src0_sel:WORD_0 src1_sel:DWORD
	v_ashrrev_i32_e32 v63, s15, v64
	v_dot4c_i32_i8 v211, v183, v36
	v_and_b32_e32 v64, 0x3030303, v63
	v_bfe_u32 v63, v63, 24, 2
	v_lshrrev_b16 v188, 8, v64
	v_lshrrev_b32_e32 v186, 16, v64
	v_sub_nc_u16 v64, v64, v184
	v_sub_nc_u16 v63, v63, v190
	;; [unrolled: 1-line block ×3, first 2 shown]
	v_lshlrev_b16 v63, 8, v63
	v_lshlrev_b16 v184, 8, v184
	v_or_b32_sdwa v64, v64, v184 dst_sel:DWORD dst_unused:UNUSED_PAD src0_sel:BYTE_0 src1_sel:DWORD
	v_sub_nc_u16 v184, v186, v189
	ds_read2_b32 v[188:189], v194 offset1:1
	v_or_b32_sdwa v63, v184, v63 dst_sel:WORD_1 dst_unused:UNUSED_PAD src0_sel:BYTE_0 src1_sel:DWORD
	v_or_b32_sdwa v186, v64, v63 dst_sel:DWORD dst_unused:UNUSED_PAD src0_sel:WORD_0 src1_sel:DWORD
	v_add3_u32 v63, s17, v160, v121
	v_dot4c_i32_i8 v211, v186, v37
	ds_read_b32 v184, v63
	v_add_nc_u32_e32 v63, 0x2100, v197
	s_waitcnt lgkmcnt(1)
	v_ashrrev_i32_e32 v188, s1, v188
	ds_read2_b32 v[63:64], v63 offset1:1
	v_ashrrev_i32_e32 v189, s1, v189
	v_lshlrev_b32_e32 v188, 2, v188
	v_lshlrev_b32_e32 v189, 2, v189
	v_and_b32_e32 v188, 0x4040404, v188
	v_and_b32_e32 v189, 0x4040404, v189
	v_lshrrev_b16 v196, 8, v188
	v_lshrrev_b32_e32 v193, 16, v188
	v_lshrrev_b32_e32 v195, 24, v188
	s_waitcnt lgkmcnt(0)
	v_ashrrev_i32_e32 v63, s15, v63
	v_and_b32_e32 v190, 0x3030303, v63
	v_bfe_u32 v63, v63, 24, 2
	v_lshrrev_b16 v192, 8, v190
	v_lshrrev_b32_e32 v191, 16, v190
	v_sub_nc_u16 v188, v190, v188
	v_sub_nc_u16 v63, v63, v195
	v_lshrrev_b16 v195, 8, v189
	v_sub_nc_u16 v190, v192, v196
	v_lshrrev_b32_e32 v192, 16, v189
	v_lshlrev_b16 v63, 8, v63
	v_lshlrev_b16 v190, 8, v190
	v_or_b32_sdwa v188, v188, v190 dst_sel:DWORD dst_unused:UNUSED_PAD src0_sel:BYTE_0 src1_sel:DWORD
	v_sub_nc_u16 v190, v191, v193
	v_lshrrev_b32_e32 v193, 24, v189
	v_or_b32_sdwa v63, v190, v63 dst_sel:WORD_1 dst_unused:UNUSED_PAD src0_sel:BYTE_0 src1_sel:DWORD
	v_or_b32_sdwa v188, v188, v63 dst_sel:DWORD dst_unused:UNUSED_PAD src0_sel:WORD_0 src1_sel:DWORD
	v_ashrrev_i32_e32 v63, s15, v64
	v_dot4c_i32_i8 v212, v188, v38
	v_and_b32_e32 v64, 0x3030303, v63
	v_bfe_u32 v63, v63, 24, 2
	v_lshrrev_b16 v191, 8, v64
	v_lshrrev_b32_e32 v190, 16, v64
	v_sub_nc_u16 v64, v64, v189
	v_sub_nc_u16 v63, v63, v193
	v_sub_nc_u16 v189, v191, v195
	v_lshlrev_b16 v63, 8, v63
	v_lshlrev_b16 v189, 8, v189
	v_or_b32_sdwa v64, v64, v189 dst_sel:DWORD dst_unused:UNUSED_PAD src0_sel:BYTE_0 src1_sel:DWORD
	v_sub_nc_u16 v189, v190, v192
	ds_read2_b32 v[190:191], v194 offset0:2 offset1:3
	v_or_b32_sdwa v63, v189, v63 dst_sel:WORD_1 dst_unused:UNUSED_PAD src0_sel:BYTE_0 src1_sel:DWORD
	v_or_b32_sdwa v189, v64, v63 dst_sel:DWORD dst_unused:UNUSED_PAD src0_sel:WORD_0 src1_sel:DWORD
	v_add_nc_u32_e32 v63, 0x2108, v197
	v_dot4c_i32_i8 v212, v189, v39
	ds_read2_b32 v[63:64], v63 offset1:1
	s_waitcnt lgkmcnt(1)
	v_ashrrev_i32_e32 v190, s1, v190
	v_ashrrev_i32_e32 v191, s1, v191
	v_lshlrev_b32_e32 v190, 2, v190
	v_lshlrev_b32_e32 v191, 2, v191
	v_and_b32_e32 v190, 0x4040404, v190
	v_and_b32_e32 v191, 0x4040404, v191
	s_waitcnt lgkmcnt(0)
	v_ashrrev_i32_e32 v63, s15, v63
	v_lshrrev_b16 v199, 8, v190
	v_lshrrev_b32_e32 v196, 16, v190
	v_lshrrev_b32_e32 v198, 24, v190
	v_and_b32_e32 v192, 0x3030303, v63
	v_bfe_u32 v63, v63, 24, 2
	v_lshrrev_b16 v195, 8, v192
	v_lshrrev_b32_e32 v193, 16, v192
	v_sub_nc_u16 v190, v192, v190
	v_sub_nc_u16 v63, v63, v198
	v_lshrrev_b16 v198, 8, v191
	v_sub_nc_u16 v192, v195, v199
	v_lshrrev_b32_e32 v195, 16, v191
	v_lshlrev_b16 v63, 8, v63
	v_lshlrev_b16 v192, 8, v192
	v_or_b32_sdwa v190, v190, v192 dst_sel:DWORD dst_unused:UNUSED_PAD src0_sel:BYTE_0 src1_sel:DWORD
	v_sub_nc_u16 v192, v193, v196
	v_lshrrev_b32_e32 v196, 24, v191
	v_or_b32_sdwa v63, v192, v63 dst_sel:WORD_1 dst_unused:UNUSED_PAD src0_sel:BYTE_0 src1_sel:DWORD
	v_or_b32_sdwa v190, v190, v63 dst_sel:DWORD dst_unused:UNUSED_PAD src0_sel:WORD_0 src1_sel:DWORD
	v_ashrrev_i32_e32 v63, s15, v64
	v_dot4c_i32_i8 v212, v190, v40
	v_and_b32_e32 v64, 0x3030303, v63
	v_bfe_u32 v63, v63, 24, 2
	v_lshrrev_b16 v193, 8, v64
	v_lshrrev_b32_e32 v192, 16, v64
	v_sub_nc_u16 v64, v64, v191
	v_sub_nc_u16 v63, v63, v196
	v_sub_nc_u16 v191, v193, v198
	v_lshlrev_b16 v63, 8, v63
	v_lshlrev_b16 v191, 8, v191
	v_or_b32_sdwa v64, v64, v191 dst_sel:DWORD dst_unused:UNUSED_PAD src0_sel:BYTE_0 src1_sel:DWORD
	v_sub_nc_u16 v191, v192, v195
	ds_read2_b32 v[192:193], v194 offset0:4 offset1:5
	v_or_b32_sdwa v63, v191, v63 dst_sel:WORD_1 dst_unused:UNUSED_PAD src0_sel:BYTE_0 src1_sel:DWORD
	v_or_b32_sdwa v191, v64, v63 dst_sel:DWORD dst_unused:UNUSED_PAD src0_sel:WORD_0 src1_sel:DWORD
	v_add_nc_u32_e32 v63, 0x2110, v197
	v_dot4c_i32_i8 v212, v191, v41
	ds_read2_b32 v[63:64], v63 offset1:1
	s_waitcnt lgkmcnt(1)
	v_ashrrev_i32_e32 v192, s1, v192
	v_ashrrev_i32_e32 v193, s1, v193
	v_lshlrev_b32_e32 v192, 2, v192
	v_lshlrev_b32_e32 v193, 2, v193
	v_and_b32_e32 v192, 0x4040404, v192
	v_and_b32_e32 v193, 0x4040404, v193
	s_waitcnt lgkmcnt(0)
	v_ashrrev_i32_e32 v63, s15, v63
	v_lshrrev_b16 v201, 8, v192
	v_lshrrev_b32_e32 v199, 16, v192
	v_lshrrev_b32_e32 v200, 24, v192
	;; [unrolled: 47-line block ×3, first 2 shown]
	v_and_b32_e32 v196, 0x3030303, v63
	v_bfe_u32 v63, v63, 24, 2
	v_lshrrev_b16 v199, 8, v196
	v_lshrrev_b32_e32 v198, 16, v196
	v_sub_nc_u16 v194, v196, v194
	v_sub_nc_u16 v63, v63, v201
	v_lshrrev_b16 v201, 8, v195
	v_sub_nc_u16 v196, v199, v202
	v_lshrrev_b32_e32 v199, 16, v195
	v_lshlrev_b16 v63, 8, v63
	v_lshlrev_b16 v196, 8, v196
	v_or_b32_sdwa v194, v194, v196 dst_sel:DWORD dst_unused:UNUSED_PAD src0_sel:BYTE_0 src1_sel:DWORD
	v_sub_nc_u16 v196, v198, v200
	v_lshrrev_b32_e32 v200, 24, v195
	v_or_b32_sdwa v63, v196, v63 dst_sel:WORD_1 dst_unused:UNUSED_PAD src0_sel:BYTE_0 src1_sel:DWORD
	v_or_b32_sdwa v194, v194, v63 dst_sel:DWORD dst_unused:UNUSED_PAD src0_sel:WORD_0 src1_sel:DWORD
	v_ashrrev_i32_e32 v63, s15, v64
	v_dot4c_i32_i8 v214, v194, v36
	v_and_b32_e32 v64, 0x3030303, v63
	v_bfe_u32 v63, v63, 24, 2
	v_lshrrev_b16 v198, 8, v64
	v_lshrrev_b32_e32 v196, 16, v64
	v_sub_nc_u16 v64, v64, v195
	v_sub_nc_u16 v63, v63, v200
	;; [unrolled: 1-line block ×3, first 2 shown]
	v_add3_u32 v201, s18, v163, v124
	v_lshlrev_b16 v63, 8, v63
	v_lshlrev_b16 v195, 8, v195
	ds_read2_b32 v[202:203], v201 offset1:1
	v_or_b32_sdwa v64, v64, v195 dst_sel:DWORD dst_unused:UNUSED_PAD src0_sel:BYTE_0 src1_sel:DWORD
	v_sub_nc_u16 v195, v196, v199
	v_or_b32_sdwa v63, v195, v63 dst_sel:WORD_1 dst_unused:UNUSED_PAD src0_sel:BYTE_0 src1_sel:DWORD
	v_or_b32_sdwa v196, v64, v63 dst_sel:DWORD dst_unused:UNUSED_PAD src0_sel:WORD_0 src1_sel:DWORD
	v_add3_u32 v63, s17, v162, v123
	v_dot4c_i32_i8 v214, v196, v37
	ds_read_b32 v195, v63
	v_add_nc_u32_e32 v63, 0x3180, v197
	s_waitcnt lgkmcnt(1)
	v_ashrrev_i32_e32 v202, s1, v202
	ds_read2_b32 v[63:64], v63 offset1:1
	v_lshlrev_b32_e32 v202, 2, v202
	v_and_b32_e32 v202, 0x4040404, v202
	v_lshrrev_b32_e32 v205, 24, v202
	v_lshrrev_b16 v215, 8, v202
	v_lshrrev_b32_e32 v204, 16, v202
	s_waitcnt lgkmcnt(0)
	v_ashrrev_i32_e32 v198, s15, v63
	v_and_b32_e32 v199, 0x3030303, v198
	v_bfe_u32 v198, v198, 24, 2
	v_lshrrev_b16 v200, 8, v199
	v_lshrrev_b32_e32 v63, 16, v199
	v_sub_nc_u16 v198, v198, v205
	v_sub_nc_u16 v199, v199, v202
	;; [unrolled: 1-line block ×4, first 2 shown]
	v_lshlrev_b16 v198, 8, v198
	v_lshlrev_b16 v200, 8, v200
	v_or_b32_sdwa v63, v63, v198 dst_sel:WORD_1 dst_unused:UNUSED_PAD src0_sel:BYTE_0 src1_sel:DWORD
	v_or_b32_sdwa v199, v199, v200 dst_sel:DWORD dst_unused:UNUSED_PAD src0_sel:BYTE_0 src1_sel:DWORD
	v_ashrrev_i32_e32 v200, s1, v203
	v_or_b32_sdwa v202, v199, v63 dst_sel:DWORD dst_unused:UNUSED_PAD src0_sel:WORD_0 src1_sel:DWORD
	v_ashrrev_i32_e32 v63, s15, v64
	v_lshlrev_b32_e32 v200, 2, v200
	v_and_b32_e32 v64, 0x3030303, v63
	v_and_b32_e32 v200, 0x4040404, v200
	v_bfe_u32 v63, v63, 24, 2
	v_lshrrev_b16 v199, 8, v64
	v_lshrrev_b32_e32 v204, 24, v200
	v_lshrrev_b16 v205, 8, v200
	v_lshrrev_b32_e32 v198, 16, v64
	v_lshrrev_b32_e32 v203, 16, v200
	v_sub_nc_u16 v64, v64, v200
	v_sub_nc_u16 v63, v63, v204
	;; [unrolled: 1-line block ×4, first 2 shown]
	v_lshlrev_b16 v63, 8, v63
	v_lshlrev_b16 v199, 8, v199
	v_or_b32_sdwa v63, v198, v63 dst_sel:WORD_1 dst_unused:UNUSED_PAD src0_sel:BYTE_0 src1_sel:DWORD
	v_or_b32_sdwa v64, v64, v199 dst_sel:DWORD dst_unused:UNUSED_PAD src0_sel:BYTE_0 src1_sel:DWORD
	ds_read2_b32 v[198:199], v201 offset0:2 offset1:3
	v_or_b32_sdwa v203, v64, v63 dst_sel:DWORD dst_unused:UNUSED_PAD src0_sel:WORD_0 src1_sel:DWORD
	v_add_nc_u32_e32 v63, 0x3188, v197
	ds_read2_b32 v[63:64], v63 offset1:1
	s_waitcnt lgkmcnt(1)
	v_ashrrev_i32_e32 v198, s1, v198
	v_ashrrev_i32_e32 v199, s1, v199
	v_lshlrev_b32_e32 v198, 2, v198
	v_lshlrev_b32_e32 v199, 2, v199
	s_waitcnt lgkmcnt(0)
	v_ashrrev_i32_e32 v63, s15, v63
	v_and_b32_e32 v198, 0x4040404, v198
	v_and_b32_e32 v199, 0x4040404, v199
	;; [unrolled: 1-line block ×3, first 2 shown]
	v_lshrrev_b16 v217, 8, v198
	v_bfe_u32 v63, v63, 24, 2
	v_lshrrev_b32_e32 v215, 16, v198
	v_lshrrev_b32_e32 v216, 24, v198
	v_lshrrev_b16 v205, 8, v200
	v_lshrrev_b32_e32 v204, 16, v200
	v_sub_nc_u16 v198, v200, v198
	v_sub_nc_u16 v63, v63, v216
	;; [unrolled: 1-line block ×3, first 2 shown]
	v_lshrrev_b16 v216, 8, v199
	v_lshrrev_b32_e32 v205, 16, v199
	v_lshlrev_b16 v63, 8, v63
	v_lshlrev_b16 v200, 8, v200
	v_or_b32_sdwa v198, v198, v200 dst_sel:DWORD dst_unused:UNUSED_PAD src0_sel:BYTE_0 src1_sel:DWORD
	v_sub_nc_u16 v200, v204, v215
	v_lshrrev_b32_e32 v215, 24, v199
	v_or_b32_sdwa v63, v200, v63 dst_sel:WORD_1 dst_unused:UNUSED_PAD src0_sel:BYTE_0 src1_sel:DWORD
	v_or_b32_sdwa v204, v198, v63 dst_sel:DWORD dst_unused:UNUSED_PAD src0_sel:WORD_0 src1_sel:DWORD
	v_ashrrev_i32_e32 v63, s15, v64
	v_and_b32_e32 v64, 0x3030303, v63
	v_bfe_u32 v63, v63, 24, 2
	v_lshrrev_b16 v200, 8, v64
	v_lshrrev_b32_e32 v198, 16, v64
	v_sub_nc_u16 v64, v64, v199
	v_sub_nc_u16 v63, v63, v215
	;; [unrolled: 1-line block ×4, first 2 shown]
	v_lshlrev_b16 v63, 8, v63
	v_lshlrev_b16 v199, 8, v199
	v_or_b32_sdwa v63, v198, v63 dst_sel:WORD_1 dst_unused:UNUSED_PAD src0_sel:BYTE_0 src1_sel:DWORD
	v_or_b32_sdwa v64, v64, v199 dst_sel:DWORD dst_unused:UNUSED_PAD src0_sel:BYTE_0 src1_sel:DWORD
	ds_read2_b32 v[198:199], v201 offset0:4 offset1:5
	v_or_b32_sdwa v205, v64, v63 dst_sel:DWORD dst_unused:UNUSED_PAD src0_sel:WORD_0 src1_sel:DWORD
	v_add_nc_u32_e32 v63, 0x3190, v197
	ds_read2_b32 v[63:64], v63 offset1:1
	s_waitcnt lgkmcnt(1)
	v_ashrrev_i32_e32 v198, s1, v198
	v_ashrrev_i32_e32 v199, s1, v199
	v_lshlrev_b32_e32 v198, 2, v198
	v_lshlrev_b32_e32 v199, 2, v199
	s_waitcnt lgkmcnt(0)
	v_ashrrev_i32_e32 v63, s15, v63
	v_and_b32_e32 v198, 0x4040404, v198
	v_and_b32_e32 v199, 0x4040404, v199
	;; [unrolled: 1-line block ×3, first 2 shown]
	v_bfe_u32 v63, v63, 24, 2
	v_lshrrev_b16 v219, 8, v198
	v_lshrrev_b32_e32 v217, 16, v198
	v_lshrrev_b32_e32 v218, 24, v198
	v_lshrrev_b16 v216, 8, v200
	v_lshrrev_b32_e32 v215, 16, v200
	v_sub_nc_u16 v198, v200, v198
	v_sub_nc_u16 v63, v63, v218
	;; [unrolled: 1-line block ×3, first 2 shown]
	v_lshrrev_b16 v218, 8, v199
	v_lshrrev_b32_e32 v216, 16, v199
	v_lshlrev_b16 v63, 8, v63
	v_lshlrev_b16 v200, 8, v200
	v_or_b32_sdwa v198, v198, v200 dst_sel:DWORD dst_unused:UNUSED_PAD src0_sel:BYTE_0 src1_sel:DWORD
	v_sub_nc_u16 v200, v215, v217
	v_lshrrev_b32_e32 v217, 24, v199
	v_or_b32_sdwa v63, v200, v63 dst_sel:WORD_1 dst_unused:UNUSED_PAD src0_sel:BYTE_0 src1_sel:DWORD
	v_or_b32_sdwa v198, v198, v63 dst_sel:DWORD dst_unused:UNUSED_PAD src0_sel:WORD_0 src1_sel:DWORD
	v_ashrrev_i32_e32 v63, s15, v64
	v_and_b32_e32 v64, 0x3030303, v63
	v_bfe_u32 v63, v63, 24, 2
	v_lshrrev_b16 v215, 8, v64
	v_lshrrev_b32_e32 v200, 16, v64
	v_sub_nc_u16 v64, v64, v199
	v_sub_nc_u16 v63, v63, v217
	;; [unrolled: 1-line block ×3, first 2 shown]
	v_lshlrev_b16 v63, 8, v63
	v_lshlrev_b16 v199, 8, v199
	v_or_b32_sdwa v64, v64, v199 dst_sel:DWORD dst_unused:UNUSED_PAD src0_sel:BYTE_0 src1_sel:DWORD
	v_sub_nc_u16 v199, v200, v216
	ds_read2_b32 v[200:201], v201 offset0:6 offset1:7
	v_or_b32_sdwa v63, v199, v63 dst_sel:WORD_1 dst_unused:UNUSED_PAD src0_sel:BYTE_0 src1_sel:DWORD
	v_or_b32_sdwa v199, v64, v63 dst_sel:DWORD dst_unused:UNUSED_PAD src0_sel:WORD_0 src1_sel:DWORD
	v_add_nc_u32_e32 v63, 0x3198, v197
	ds_read2_b32 v[63:64], v63 offset1:1
	s_waitcnt lgkmcnt(1)
	v_ashrrev_i32_e32 v200, s1, v200
	v_ashrrev_i32_e32 v201, s1, v201
	s_add_i32 s1, s1, 1
	v_lshlrev_b32_e32 v200, 2, v200
	v_lshlrev_b32_e32 v201, 2, v201
	v_and_b32_e32 v200, 0x4040404, v200
	v_and_b32_e32 v201, 0x4040404, v201
	s_waitcnt lgkmcnt(0)
	v_ashrrev_i32_e32 v63, s15, v63
	v_lshrrev_b16 v219, 8, v200
	v_lshrrev_b32_e32 v217, 16, v200
	v_lshrrev_b32_e32 v218, 24, v200
	v_and_b32_e32 v197, 0x3030303, v63
	v_bfe_u32 v63, v63, 24, 2
	v_lshrrev_b16 v216, 8, v197
	v_lshrrev_b32_e32 v215, 16, v197
	v_sub_nc_u16 v197, v197, v200
	v_sub_nc_u16 v63, v63, v218
	v_lshrrev_b16 v218, 8, v201
	v_sub_nc_u16 v200, v216, v219
	v_lshrrev_b32_e32 v216, 16, v201
	v_mov_b32_e32 v219, 0
	v_lshlrev_b16 v63, 8, v63
	v_lshlrev_b16 v200, 8, v200
	v_or_b32_sdwa v197, v197, v200 dst_sel:DWORD dst_unused:UNUSED_PAD src0_sel:BYTE_0 src1_sel:DWORD
	v_sub_nc_u16 v200, v215, v217
	v_lshrrev_b32_e32 v217, 24, v201
	v_or_b32_sdwa v63, v200, v63 dst_sel:WORD_1 dst_unused:UNUSED_PAD src0_sel:BYTE_0 src1_sel:DWORD
	v_or_b32_sdwa v200, v197, v63 dst_sel:DWORD dst_unused:UNUSED_PAD src0_sel:WORD_0 src1_sel:DWORD
	v_ashrrev_i32_e32 v63, s15, v64
	v_and_b32_e32 v64, 0x3030303, v63
	v_bfe_u32 v63, v63, 24, 2
	v_lshrrev_b32_e32 v197, 16, v64
	v_lshrrev_b16 v215, 8, v64
	v_sub_nc_u16 v64, v64, v201
	v_sub_nc_u16 v63, v63, v217
	v_add_nc_u32_e32 v217, s16, v132
	v_sub_nc_u16 v197, v197, v216
	v_sub_nc_u16 v201, v215, v218
	v_mov_b32_e32 v216, 0
	v_mov_b32_e32 v218, 0
	v_lshlrev_b16 v63, 8, v63
	s_mov_b32 s16, s11
	v_lshlrev_b16 v201, 8, v201
	v_dot4c_i32_i8 v216, v202, v38
	v_dot4c_i32_i8 v218, v198, v34
	v_or_b32_sdwa v63, v197, v63 dst_sel:WORD_1 dst_unused:UNUSED_PAD src0_sel:BYTE_0 src1_sel:DWORD
	v_or_b32_sdwa v64, v64, v201 dst_sel:DWORD dst_unused:UNUSED_PAD src0_sel:BYTE_0 src1_sel:DWORD
	v_dot4c_i32_i8 v216, v203, v39
	v_dot4c_i32_i8 v218, v199, v35
	v_or_b32_sdwa v201, v64, v63 dst_sel:DWORD dst_unused:UNUSED_PAD src0_sel:WORD_0 src1_sel:DWORD
	v_add3_u32 v63, s17, v164, v125
	v_dot4c_i32_i8 v216, v204, v40
	v_dot4c_i32_i8 v218, v200, v36
	ds_read_b32 v197, v63
	v_dot4c_i32_i8 v216, v205, v41
	v_dot4c_i32_i8 v218, v201, v37
	ds_read_b128 v[34:37], v168 offset:1024
	ds_read_b128 v[38:41], v168 offset:1040
	s_waitcnt lgkmcnt(1)
	v_dot4c_i32_i8 v231, v169, v34
	s_waitcnt lgkmcnt(0)
	v_dot4c_i32_i8 v237, v174, v38
	v_dot4c_i32_i8 v226, v181, v34
	;; [unrolled: 1-line block ×31, first 2 shown]
	ds_read2_b32 v[63:64], v170 offset0:64 offset1:96
	ds_read_b128 v[34:37], v168 offset:2048
	ds_read_b128 v[38:41], v168 offset:2064
	s_waitcnt lgkmcnt(1)
	v_dot4c_i32_i8 v234, v169, v34
	s_waitcnt lgkmcnt(0)
	v_dot4c_i32_i8 v233, v174, v38
	v_dot4c_i32_i8 v229, v181, v34
	;; [unrolled: 1-line block ×31, first 2 shown]
	ds_read_b128 v[38:41], v168 offset:3072
	ds_read_b128 v[34:37], v168 offset:3088
	ds_read_u16 v215, v208 offset:33522
	s_waitcnt lgkmcnt(2)
	v_dot4c_i32_i8 v232, v169, v38
	s_waitcnt lgkmcnt(1)
	v_dot4c_i32_i8 v235, v174, v34
	s_waitcnt lgkmcnt(0)
	v_lshrrev_b16 v208, 8, v215
	v_bfe_i32 v215, v215, 0, 8
	v_dot4c_i32_i8 v232, v171, v39
	v_dot4c_i32_i8 v235, v175, v35
	v_bfe_i32 v208, v208, 0, 8
	v_mul_lo_u32 v231, v231, v215
	v_dot4c_i32_i8 v232, v172, v40
	v_dot4c_i32_i8 v235, v176, v36
	v_mul_lo_u32 v233, v233, v208
	v_mul_lo_u32 v209, v209, v208
	v_dot4c_i32_i8 v232, v173, v41
	v_dot4c_i32_i8 v235, v178, v37
	v_mul_lo_u32 v232, v232, v215
	v_mad_u64_u32 v[233:234], null, v234, v215, v[233:234]
	v_mad_u64_u32 v[234:235], null, v235, v208, v[232:233]
                                        ; kill: def $vgpr232 killed $sgpr0 killed $exec
	v_mad_u64_u32 v[235:236], null, v206, v215, v[209:210]
	v_mad_u64_u32 v[231:232], null, v237, v208, v[231:232]
	ds_read_u16 v210, v210 offset:34546
	v_mul_f32_e32 v206, v177, v62
	v_mul_f32_e32 v209, v177, v61
	;; [unrolled: 1-line block ×3, first 2 shown]
	v_cvt_f32_i32_e32 v235, v235
	v_mul_f32_e32 v232, v177, v64
	v_cvt_f32_i32_e32 v231, v231
	v_cvt_f32_i32_e32 v234, v234
	;; [unrolled: 1-line block ×3, first 2 shown]
	v_fma_f32 v7, v209, v235, v7
	v_mov_b32_e32 v235, 0
	v_fmac_f32_e32 v6, v206, v231
	v_mov_b32_e32 v206, 0
	v_mov_b32_e32 v231, 0
	v_fma_f32 v9, v236, v233, v9
	v_fma_f32 v8, v232, v234, v8
	v_mov_b32_e32 v232, 0
	v_dot4c_i32_i8 v206, v181, v38
	v_dot4c_i32_i8 v231, v179, v34
	v_mov_b32_e32 v233, 0
	s_waitcnt lgkmcnt(0)
	v_lshrrev_b16 v209, 8, v210
	v_bfe_i32 v210, v210, 0, 8
	v_dot4c_i32_i8 v206, v182, v39
	v_dot4c_i32_i8 v231, v180, v35
	v_mov_b32_e32 v234, 0
	v_bfe_i32 v209, v209, 0, 8
	v_mul_lo_u32 v226, v226, v210
	v_dot4c_i32_i8 v206, v185, v40
	v_dot4c_i32_i8 v231, v183, v36
	v_mov_b32_e32 v236, 0
	v_mul_lo_u32 v230, v230, v209
	v_mul_lo_u32 v211, v211, v209
	v_dot4c_i32_i8 v206, v187, v41
	v_dot4c_i32_i8 v231, v186, v37
	v_mad_u64_u32 v[225:226], null, v225, v209, v[226:227]
	v_mul_f32_e32 v226, v184, v64
	v_mul_lo_u32 v206, v206, v210
	v_mad_u64_u32 v[229:230], null, v229, v210, v[230:231]
	v_mov_b32_e32 v237, 0
	v_cvt_f32_i32_e32 v225, v225
	v_mad_u64_u32 v[230:231], null, v231, v209, v[206:207]
	v_mad_u64_u32 v[206:207], null, v207, v210, v[211:212]
	v_mul_f32_e32 v211, v184, v61
	v_mul_f32_e32 v207, v184, v62
	;; [unrolled: 1-line block ×3, first 2 shown]
	v_cvt_f32_i32_e32 v229, v229
	v_cvt_f32_i32_e32 v230, v230
	;; [unrolled: 1-line block ×3, first 2 shown]
	v_fmac_f32_e32 v30, v207, v225
	v_mov_b32_e32 v225, 0
	v_fma_f32 v32, v226, v230, v32
	v_mov_b32_e32 v226, 0
	v_fma_f32 v31, v211, v206, v31
	ds_read_u16 v206, v213 offset:35570
	v_dot4c_i32_i8 v225, v188, v38
	v_fma_f32 v33, v231, v229, v33
	v_dot4c_i32_i8 v226, v192, v34
	v_mov_b32_e32 v230, 0
	v_mov_b32_e32 v231, 0
	v_dot4c_i32_i8 v225, v189, v39
	v_dot4c_i32_i8 v226, v193, v35
	;; [unrolled: 1-line block ×6, first 2 shown]
	s_waitcnt lgkmcnt(0)
	v_lshrrev_b16 v207, 8, v206
	v_bfe_i32 v213, v206, 0, 8
	v_bfe_i32 v211, v207, 0, 8
	v_mul_lo_u32 v206, v224, v213
	v_mul_lo_u32 v224, v228, v211
	;; [unrolled: 1-line block ×4, first 2 shown]
                                        ; kill: def $vgpr225 killed $sgpr0 killed $exec
	v_mad_u64_u32 v[224:225], null, v227, v213, v[224:225]
	v_mad_u64_u32 v[225:226], null, v226, v211, v[214:215]
	;; [unrolled: 1-line block ×3, first 2 shown]
	v_mul_f32_e32 v212, v195, v61
                                        ; kill: def $vgpr207 killed $sgpr0 killed $exec
	v_mul_f32_e32 v214, v195, v64
	v_mad_u64_u32 v[206:207], null, v223, v211, v[206:207]
	v_mul_f32_e32 v207, v195, v62
	v_mul_f32_e32 v223, v195, v63
	v_cvt_f32_i32_e32 v226, v226
	v_cvt_f32_i32_e32 v225, v225
	v_cvt_f32_i32_e32 v224, v224
	v_cvt_f32_i32_e32 v206, v206
	v_fma_f32 v27, v212, v226, v27
	v_mov_b32_e32 v212, 0
	v_fma_f32 v28, v214, v225, v28
	v_mov_b32_e32 v225, 0
	v_fmac_f32_e32 v26, v207, v206
	v_fma_f32 v29, v223, v224, v29
	v_dot4c_i32_i8 v212, v202, v38
                                        ; kill: def $vgpr38 killed $sgpr0 killed $exec
	v_mov_b32_e32 v223, 0
	v_mov_b32_e32 v224, 0
	;; [unrolled: 1-line block ×3, first 2 shown]
	v_dot4c_i32_i8 v212, v203, v39
	v_mov_b32_e32 v39, 0
	v_dot4c_i32_i8 v212, v204, v40
	v_dot4c_i32_i8 v39, v198, v34
	ds_read_u16 v34, v217 offset:36594
	v_mov_b32_e32 v217, 0
	v_dot4c_i32_i8 v212, v205, v41
	v_dot4c_i32_i8 v39, v199, v35
	v_mul_f32_e32 v41, v197, v63
	v_mov_b32_e32 v63, 0
	v_dot4c_i32_i8 v39, v200, v36
	v_dot4c_i32_i8 v39, v201, v37
	s_waitcnt lgkmcnt(0)
	v_lshrrev_b16 v35, 8, v34
	v_bfe_i32 v207, v34, 0, 8
	v_bfe_i32 v206, v35, 0, 8
	v_mul_lo_u32 v36, v212, v207
	v_mul_lo_u32 v34, v220, v207
	v_mov_b32_e32 v212, 0
	v_mov_b32_e32 v220, 0
	v_mul_lo_u32 v37, v222, v206
	v_mul_lo_u32 v35, v218, v206
	v_mov_b32_e32 v218, 0
	v_mov_b32_e32 v222, 0
	v_mad_u64_u32 v[37:38], null, v221, v207, v[37:38]
	v_mov_b32_e32 v221, 0
	v_mad_u64_u32 v[38:39], null, v39, v206, v[36:37]
                                        ; kill: def $vgpr36 killed $sgpr0 killed $exec
	v_cvt_f32_i32_e32 v37, v37
	v_mad_u64_u32 v[35:36], null, v216, v207, v[35:36]
	v_mul_f32_e32 v36, v197, v61
	v_mov_b32_e32 v216, 0
	v_fma_f32 v25, v41, v37, v25
	v_cvt_f32_i32_e32 v38, v38
	v_mad_u64_u32 v[39:40], null, v219, v206, v[34:35]
	v_mul_f32_e32 v34, v197, v62
	v_mul_f32_e32 v40, v197, v64
	v_cvt_f32_i32_e32 v35, v35
	v_mov_b32_e32 v219, 0
	v_mov_b32_e32 v64, 0
	v_cvt_f32_i32_e32 v39, v39
	v_fma_f32 v24, v40, v38, v24
	v_fma_f32 v23, v36, v35, v23
	v_fmac_f32_e32 v22, v34, v39
	ds_read2_b32 v[61:62], v170 offset0:128 offset1:160
	ds_read_b128 v[38:41], v168 offset:4096
	ds_read_b128 v[34:37], v168 offset:4112
	s_waitcnt lgkmcnt(1)
	v_dot4c_i32_i8 v212, v169, v38
	v_dot4c_i32_i8 v218, v181, v38
	;; [unrolled: 1-line block ×4, first 2 shown]
	s_waitcnt lgkmcnt(0)
	v_dot4c_i32_i8 v225, v174, v34
	v_dot4c_i32_i8 v212, v171, v39
	;; [unrolled: 1-line block ×10, first 2 shown]
	v_mov_b32_e32 v40, 0
	v_dot4c_i32_i8 v219, v192, v34
	v_dot4c_i32_i8 v225, v175, v35
	;; [unrolled: 1-line block ×17, first 2 shown]
	v_mov_b32_e32 v41, 0
	v_dot4c_i32_i8 v40, v201, v37
	ds_read_b128 v[34:37], v168 offset:5120
	ds_read_b128 v[226:229], v168 offset:5136
	s_waitcnt lgkmcnt(1)
	v_dot4c_i32_i8 v230, v169, v34
	s_waitcnt lgkmcnt(0)
	v_dot4c_i32_i8 v231, v174, v226
	v_dot4c_i32_i8 v223, v181, v34
	;; [unrolled: 1-line block ×31, first 2 shown]
	ds_read2_b32 v[38:39], v170 offset0:192 offset1:224
	ds_read_b128 v[34:37], v168 offset:6144
	ds_read_b128 v[226:229], v168 offset:6160
	v_mul_lo_u32 v41, v41, v207
	s_waitcnt lgkmcnt(1)
	v_dot4c_i32_i8 v232, v169, v34
	s_waitcnt lgkmcnt(0)
	v_dot4c_i32_i8 v233, v174, v226
	v_dot4c_i32_i8 v234, v181, v34
	;; [unrolled: 1-line block ×31, first 2 shown]
	ds_read_b128 v[226:229], v168 offset:7168
	ds_read_b128 v[34:37], v168 offset:7184
	v_add_nc_u32_e32 v168, 32, v168
	s_waitcnt lgkmcnt(1)
	v_dot4c_i32_i8 v238, v169, v226
	s_waitcnt lgkmcnt(0)
	v_dot4c_i32_i8 v239, v174, v34
                                        ; kill: def $vgpr174 killed $sgpr0 killed $exec
	v_mul_lo_u32 v169, v230, v215
	v_dot4c_i32_i8 v238, v171, v227
	v_dot4c_i32_i8 v239, v175, v35
	v_mul_lo_u32 v171, v225, v208
	v_dot4c_i32_i8 v238, v172, v228
	v_dot4c_i32_i8 v239, v176, v36
	;; [unrolled: 1-line block ×3, first 2 shown]
	v_mul_lo_u32 v173, v233, v208
	v_dot4c_i32_i8 v239, v178, v37
	v_mul_lo_u32 v172, v238, v215
	v_mad_u64_u32 v[173:174], null, v232, v215, v[173:174]
	v_mad_u64_u32 v[174:175], null, v239, v208, v[172:173]
                                        ; kill: def $vgpr172 killed $sgpr0 killed $exec
	v_mad_u64_u32 v[175:176], null, v231, v208, v[169:170]
	v_mad_u64_u32 v[171:172], null, v212, v215, v[171:172]
	v_mul_f32_e32 v172, v177, v61
	v_mul_f32_e32 v169, v177, v62
	;; [unrolled: 1-line block ×4, first 2 shown]
	v_cvt_f32_i32_e32 v175, v175
	v_cvt_f32_i32_e32 v173, v173
	;; [unrolled: 1-line block ×4, first 2 shown]
	v_fmac_f32_e32 v18, v169, v175
	v_mov_b32_e32 v175, 0
	v_fma_f32 v19, v172, v171, v19
	v_mov_b32_e32 v172, 0
	v_fma_f32 v21, v177, v173, v21
	v_mul_lo_u32 v173, v235, v209
	v_dot4c_i32_i8 v175, v179, v34
	v_fma_f32 v20, v176, v174, v20
	v_dot4c_i32_i8 v172, v181, v226
                                        ; kill: def $vgpr174 killed $sgpr0 killed $exec
	v_mul_lo_u32 v171, v220, v209
	v_mul_lo_u32 v169, v223, v210
	v_dot4c_i32_i8 v175, v180, v35
	v_mul_f32_e32 v177, v184, v38
	v_dot4c_i32_i8 v172, v182, v227
	v_mad_u64_u32 v[173:174], null, v234, v210, v[173:174]
	v_dot4c_i32_i8 v175, v183, v36
	v_dot4c_i32_i8 v172, v185, v228
	;; [unrolled: 1-line block ×4, first 2 shown]
	v_mul_lo_u32 v172, v172, v210
	v_mad_u64_u32 v[174:175], null, v175, v209, v[172:173]
                                        ; kill: def $vgpr172 killed $sgpr0 killed $exec
	v_mad_u64_u32 v[175:176], null, v224, v209, v[169:170]
	v_mad_u64_u32 v[171:172], null, v218, v210, v[171:172]
	v_mul_f32_e32 v172, v184, v61
	v_mul_f32_e32 v169, v184, v62
	v_cvt_f32_i32_e32 v173, v173
	v_mul_f32_e32 v176, v184, v39
	v_cvt_f32_i32_e32 v175, v175
	v_cvt_f32_i32_e32 v174, v174
	;; [unrolled: 1-line block ×3, first 2 shown]
	v_fma_f32 v17, v177, v173, v17
	v_mul_lo_u32 v173, v237, v211
	v_fmac_f32_e32 v14, v169, v175
	v_mov_b32_e32 v175, 0
	v_fma_f32 v15, v172, v171, v15
	v_mov_b32_e32 v172, 0
	v_fma_f32 v16, v176, v174, v16
                                        ; kill: def $vgpr174 killed $sgpr0 killed $exec
	v_mul_lo_u32 v169, v222, v213
	v_dot4c_i32_i8 v175, v192, v34
	v_mad_u64_u32 v[173:174], null, v236, v213, v[173:174]
	v_dot4c_i32_i8 v172, v188, v226
	v_mul_lo_u32 v171, v219, v211
	v_dot4c_i32_i8 v175, v193, v35
	v_mul_f32_e32 v177, v195, v38
	v_dot4c_i32_i8 v172, v189, v227
	v_dot4c_i32_i8 v175, v194, v36
	v_dot4c_i32_i8 v172, v190, v228
	v_dot4c_i32_i8 v175, v196, v37
	v_dot4c_i32_i8 v172, v191, v229
	v_mul_lo_u32 v172, v172, v213
	v_mad_u64_u32 v[174:175], null, v175, v211, v[172:173]
	v_mad_u64_u32 v[175:176], null, v221, v211, v[169:170]
                                        ; kill: def $vgpr172 killed $sgpr0 killed $exec
	v_mul_f32_e32 v169, v195, v62
	v_mad_u64_u32 v[171:172], null, v217, v213, v[171:172]
	v_mul_f32_e32 v172, v195, v61
	v_mul_f32_e32 v176, v195, v39
	v_cvt_f32_i32_e32 v174, v174
	v_cvt_f32_i32_e32 v175, v175
	;; [unrolled: 1-line block ×3, first 2 shown]
	v_mul_f32_e32 v39, v197, v39
	v_cvt_f32_i32_e32 v171, v171
	v_fma_f32 v12, v176, v174, v12
	v_fmac_f32_e32 v10, v169, v175
	v_mov_b32_e32 v169, 0
	v_fma_f32 v13, v177, v173, v13
	v_fma_f32 v11, v172, v171, v11
	v_mov_b32_e32 v171, 0
	v_add_nc_u32_e32 v170, 4, v170
	v_dot4c_i32_i8 v169, v202, v226
	v_dot4c_i32_i8 v171, v198, v34
	v_mul_lo_u32 v34, v216, v206
	v_dot4c_i32_i8 v169, v203, v227
	v_dot4c_i32_i8 v171, v199, v35
                                        ; kill: def $vgpr35 killed $sgpr0 killed $exec
	s_add_i32 s0, s0, 2
	v_dot4c_i32_i8 v169, v204, v228
	s_cmp_lt_u32 s11, 30
	v_mad_u64_u32 v[34:35], null, v214, v207, v[34:35]
	v_dot4c_i32_i8 v171, v200, v36
	v_dot4c_i32_i8 v169, v205, v229
	;; [unrolled: 1-line block ×3, first 2 shown]
	v_mul_lo_u32 v37, v40, v206
	v_mul_lo_u32 v36, v169, v207
	v_mad_u64_u32 v[40:41], null, v64, v206, v[41:42]
	v_mul_f32_e32 v41, v197, v61
	v_cvt_f32_i32_e32 v34, v34
	v_mad_u64_u32 v[35:36], null, v171, v206, v[36:37]
	v_mad_u64_u32 v[36:37], null, v63, v207, v[37:38]
	v_mul_f32_e32 v37, v197, v62
	v_mul_f32_e32 v38, v197, v38
	v_cvt_f32_i32_e32 v40, v40
	v_cvt_f32_i32_e32 v35, v35
	;; [unrolled: 1-line block ×3, first 2 shown]
	v_fma_f32 v5, v38, v34, v5
	v_fmac_f32_e32 v2, v37, v40
	v_fma_f32 v4, v39, v35, v4
	v_fma_f32 v3, v41, v36, v3
	s_cbranch_scc1 .LBB170_14
; %bb.15:                               ;   in Loop: Header=BB170_6 Depth=1
	s_barrier
	buffer_gl0_inv
	s_branch .LBB170_5
.LBB170_16:
	v_mov_b32_e32 v34, v65
.LBB170_17:
	s_mov_b32 s0, exec_lo
	v_cmpx_gt_u32_e64 s10, v34
	s_cbranch_execz .LBB170_68
; %bb.18:
	v_add_nc_u32_e32 v0, s6, v0
	v_mul_lo_u32 v34, v34, s14
	v_cmp_gt_u32_e64 s0, s14, v0
	s_and_saveexec_b32 s1, s0
	s_cbranch_execz .LBB170_20
; %bb.19:
	v_add_nc_u32_e32 v35, v0, v34
	v_mov_b32_e32 v36, 0
	v_bfe_u32 v37, v7, 16, 1
	v_cmp_o_f32_e32 vcc_lo, v7, v7
	v_mov_b32_e32 v38, 0x7fc0
	v_lshlrev_b64 v[35:36], 1, v[35:36]
	v_add3_u32 v7, v7, v37, 0x7fff
	v_cndmask_b32_sdwa v7, v38, v7, vcc_lo dst_sel:DWORD dst_unused:UNUSED_PAD src0_sel:DWORD src1_sel:WORD_1
	s_waitcnt lgkmcnt(0)
	v_add_co_u32 v35, vcc_lo, s12, v35
	v_add_co_ci_u32_e64 v36, null, s13, v36, vcc_lo
	global_store_short v[35:36], v7, off
.LBB170_20:
	s_or_b32 exec_lo, exec_lo, s1
	v_add_nc_u32_e32 v7, 32, v0
	v_cmp_gt_u32_e64 s1, s14, v7
	s_and_saveexec_b32 s2, s1
	s_cbranch_execz .LBB170_22
; %bb.21:
	v_add_nc_u32_e32 v35, v7, v34
	v_mov_b32_e32 v36, 0
	v_bfe_u32 v37, v31, 16, 1
	v_cmp_o_f32_e32 vcc_lo, v31, v31
	v_mov_b32_e32 v38, 0x7fc0
	v_lshlrev_b64 v[35:36], 1, v[35:36]
	v_add3_u32 v31, v31, v37, 0x7fff
	v_cndmask_b32_sdwa v31, v38, v31, vcc_lo dst_sel:DWORD dst_unused:UNUSED_PAD src0_sel:DWORD src1_sel:WORD_1
	s_waitcnt lgkmcnt(0)
	v_add_co_u32 v35, vcc_lo, s12, v35
	v_add_co_ci_u32_e64 v36, null, s13, v36, vcc_lo
	global_store_short v[35:36], v31, off
.LBB170_22:
	s_or_b32 exec_lo, exec_lo, s2
	v_add_nc_u32_e32 v31, 64, v0
	;; [unrolled: 19-line block ×3, first 2 shown]
	v_cmp_gt_u32_e64 s3, s14, v27
	s_and_saveexec_b32 s4, s3
	s_cbranch_execz .LBB170_26
; %bb.25:
	v_add_nc_u32_e32 v34, v27, v34
	v_mov_b32_e32 v35, 0
	v_bfe_u32 v36, v23, 16, 1
	v_cmp_o_f32_e32 vcc_lo, v23, v23
	v_mov_b32_e32 v37, 0x7fc0
	v_lshlrev_b64 v[34:35], 1, v[34:35]
	v_add3_u32 v23, v23, v36, 0x7fff
	v_cndmask_b32_sdwa v23, v37, v23, vcc_lo dst_sel:DWORD dst_unused:UNUSED_PAD src0_sel:DWORD src1_sel:WORD_1
	s_waitcnt lgkmcnt(0)
	v_add_co_u32 v34, vcc_lo, s12, v34
	v_add_co_ci_u32_e64 v35, null, s13, v35, vcc_lo
	global_store_short v[34:35], v23, off
.LBB170_26:
	s_or_b32 exec_lo, exec_lo, s4
	v_add3_u32 v23, v1, s7, 8
	v_cmp_gt_u32_e32 vcc_lo, s10, v23
	s_and_b32 exec_lo, exec_lo, vcc_lo
	s_cbranch_execz .LBB170_68
; %bb.27:
	v_mul_lo_u32 v23, v23, s14
	s_and_saveexec_b32 s4, s0
	s_cbranch_execnz .LBB170_69
; %bb.28:
	s_or_b32 exec_lo, exec_lo, s4
	s_and_saveexec_b32 s4, s1
	s_cbranch_execnz .LBB170_70
.LBB170_29:
	s_or_b32 exec_lo, exec_lo, s4
	s_and_saveexec_b32 s4, s2
	s_cbranch_execnz .LBB170_71
.LBB170_30:
	s_or_b32 exec_lo, exec_lo, s4
	s_and_saveexec_b32 s4, s3
	s_cbranch_execz .LBB170_32
.LBB170_31:
	v_bfe_u32 v6, v22, 16, 1
	v_add_nc_u32_e32 v34, v23, v27
	v_mov_b32_e32 v35, 0
	v_cmp_o_f32_e32 vcc_lo, v22, v22
	v_mov_b32_e32 v26, 0x7fc0
	v_add3_u32 v6, v22, v6, 0x7fff
	v_lshlrev_b64 v[22:23], 1, v[34:35]
	v_cndmask_b32_sdwa v6, v26, v6, vcc_lo dst_sel:DWORD dst_unused:UNUSED_PAD src0_sel:DWORD src1_sel:WORD_1
	s_waitcnt lgkmcnt(0)
	v_add_co_u32 v22, vcc_lo, s12, v22
	v_add_co_ci_u32_e64 v23, null, s13, v23, vcc_lo
	global_store_short v[22:23], v6, off
.LBB170_32:
	s_or_b32 exec_lo, exec_lo, s4
	v_add3_u32 v6, v1, s7, 16
	v_cmp_gt_u32_e32 vcc_lo, s10, v6
	s_and_b32 exec_lo, exec_lo, vcc_lo
	s_cbranch_execz .LBB170_68
; %bb.33:
	v_mul_lo_u32 v6, v6, s14
	s_and_saveexec_b32 s4, s0
	s_cbranch_execnz .LBB170_72
; %bb.34:
	s_or_b32 exec_lo, exec_lo, s4
	s_and_saveexec_b32 s4, s1
	s_cbranch_execnz .LBB170_73
.LBB170_35:
	s_or_b32 exec_lo, exec_lo, s4
	s_and_saveexec_b32 s4, s2
	s_cbranch_execnz .LBB170_74
.LBB170_36:
	s_or_b32 exec_lo, exec_lo, s4
	s_and_saveexec_b32 s4, s3
	s_cbranch_execz .LBB170_38
.LBB170_37:
	v_add_nc_u32_e32 v22, v6, v27
	v_mov_b32_e32 v23, 0
	v_bfe_u32 v9, v25, 16, 1
	v_cmp_o_f32_e32 vcc_lo, v25, v25
	v_mov_b32_e32 v6, 0x7fc0
	v_lshlrev_b64 v[22:23], 1, v[22:23]
	v_add3_u32 v9, v25, v9, 0x7fff
	v_cndmask_b32_sdwa v6, v6, v9, vcc_lo dst_sel:DWORD dst_unused:UNUSED_PAD src0_sel:DWORD src1_sel:WORD_1
	s_waitcnt lgkmcnt(0)
	v_add_co_u32 v22, vcc_lo, s12, v22
	v_add_co_ci_u32_e64 v23, null, s13, v23, vcc_lo
	global_store_short v[22:23], v6, off
.LBB170_38:
	s_or_b32 exec_lo, exec_lo, s4
	v_add3_u32 v6, v1, s7, 24
	v_cmp_gt_u32_e32 vcc_lo, s10, v6
	s_and_b32 exec_lo, exec_lo, vcc_lo
	s_cbranch_execz .LBB170_68
; %bb.39:
	v_mul_lo_u32 v6, v6, s14
	s_and_saveexec_b32 s4, s0
	s_cbranch_execnz .LBB170_75
; %bb.40:
	s_or_b32 exec_lo, exec_lo, s4
	s_and_saveexec_b32 s4, s1
	s_cbranch_execnz .LBB170_76
.LBB170_41:
	s_or_b32 exec_lo, exec_lo, s4
	s_and_saveexec_b32 s4, s2
	s_cbranch_execnz .LBB170_77
.LBB170_42:
	s_or_b32 exec_lo, exec_lo, s4
	s_and_saveexec_b32 s4, s3
	s_cbranch_execz .LBB170_44
.LBB170_43:
	v_add_nc_u32_e32 v8, v6, v27
	v_mov_b32_e32 v9, 0
	v_bfe_u32 v22, v24, 16, 1
	v_cmp_o_f32_e32 vcc_lo, v24, v24
	v_mov_b32_e32 v6, 0x7fc0
	v_lshlrev_b64 v[8:9], 1, v[8:9]
	v_add3_u32 v22, v24, v22, 0x7fff
	v_cndmask_b32_sdwa v6, v6, v22, vcc_lo dst_sel:DWORD dst_unused:UNUSED_PAD src0_sel:DWORD src1_sel:WORD_1
	s_waitcnt lgkmcnt(0)
	v_add_co_u32 v8, vcc_lo, s12, v8
	v_add_co_ci_u32_e64 v9, null, s13, v9, vcc_lo
	global_store_short v[8:9], v6, off
.LBB170_44:
	s_or_b32 exec_lo, exec_lo, s4
	v_add3_u32 v6, v1, s7, 32
	v_cmp_gt_u32_e32 vcc_lo, s10, v6
	s_and_b32 exec_lo, exec_lo, vcc_lo
	s_cbranch_execz .LBB170_68
; %bb.45:
	v_mul_lo_u32 v6, v6, s14
	s_and_saveexec_b32 s4, s0
	s_cbranch_execnz .LBB170_78
; %bb.46:
	s_or_b32 exec_lo, exec_lo, s4
	s_and_saveexec_b32 s4, s1
	s_cbranch_execnz .LBB170_79
.LBB170_47:
	s_or_b32 exec_lo, exec_lo, s4
	s_and_saveexec_b32 s4, s2
	s_cbranch_execnz .LBB170_80
.LBB170_48:
	s_or_b32 exec_lo, exec_lo, s4
	s_and_saveexec_b32 s4, s3
	s_cbranch_execz .LBB170_50
.LBB170_49:
	v_add_nc_u32_e32 v8, v6, v27
	v_mov_b32_e32 v9, 0
	v_bfe_u32 v11, v3, 16, 1
	v_cmp_o_f32_e32 vcc_lo, v3, v3
	v_mov_b32_e32 v6, 0x7fc0
	v_lshlrev_b64 v[8:9], 1, v[8:9]
	v_add3_u32 v3, v3, v11, 0x7fff
	v_cndmask_b32_sdwa v3, v6, v3, vcc_lo dst_sel:DWORD dst_unused:UNUSED_PAD src0_sel:DWORD src1_sel:WORD_1
	s_waitcnt lgkmcnt(0)
	v_add_co_u32 v8, vcc_lo, s12, v8
	v_add_co_ci_u32_e64 v9, null, s13, v9, vcc_lo
	global_store_short v[8:9], v3, off
.LBB170_50:
	s_or_b32 exec_lo, exec_lo, s4
	v_add3_u32 v3, v1, s7, 40
	v_cmp_gt_u32_e32 vcc_lo, s10, v3
	s_and_b32 exec_lo, exec_lo, vcc_lo
	s_cbranch_execz .LBB170_68
; %bb.51:
	v_mul_lo_u32 v3, v3, s14
	s_and_saveexec_b32 s4, s0
	s_cbranch_execnz .LBB170_81
; %bb.52:
	s_or_b32 exec_lo, exec_lo, s4
	s_and_saveexec_b32 s4, s1
	s_cbranch_execnz .LBB170_82
.LBB170_53:
	s_or_b32 exec_lo, exec_lo, s4
	s_and_saveexec_b32 s4, s2
	s_cbranch_execnz .LBB170_83
.LBB170_54:
	s_or_b32 exec_lo, exec_lo, s4
	s_and_saveexec_b32 s4, s3
	s_cbranch_execz .LBB170_56
.LBB170_55:
	v_bfe_u32 v6, v2, 16, 1
	v_add_nc_u32_e32 v8, v3, v27
	v_mov_b32_e32 v9, 0
	v_cmp_o_f32_e32 vcc_lo, v2, v2
	v_mov_b32_e32 v10, 0x7fc0
	v_add3_u32 v6, v2, v6, 0x7fff
	v_lshlrev_b64 v[2:3], 1, v[8:9]
	v_cndmask_b32_sdwa v6, v10, v6, vcc_lo dst_sel:DWORD dst_unused:UNUSED_PAD src0_sel:DWORD src1_sel:WORD_1
	s_waitcnt lgkmcnt(0)
	v_add_co_u32 v2, vcc_lo, s12, v2
	v_add_co_ci_u32_e64 v3, null, s13, v3, vcc_lo
	global_store_short v[2:3], v6, off
.LBB170_56:
	s_or_b32 exec_lo, exec_lo, s4
	v_add3_u32 v2, v1, s7, 48
	v_cmp_gt_u32_e32 vcc_lo, s10, v2
	s_and_b32 exec_lo, exec_lo, vcc_lo
	s_cbranch_execz .LBB170_68
; %bb.57:
	v_mul_lo_u32 v2, v2, s14
	s_and_saveexec_b32 s4, s0
	s_cbranch_execnz .LBB170_84
; %bb.58:
	s_or_b32 exec_lo, exec_lo, s4
	s_and_saveexec_b32 s4, s1
	s_cbranch_execnz .LBB170_85
.LBB170_59:
	s_or_b32 exec_lo, exec_lo, s4
	s_and_saveexec_b32 s4, s2
	s_cbranch_execnz .LBB170_86
.LBB170_60:
	s_or_b32 exec_lo, exec_lo, s4
	s_and_saveexec_b32 s4, s3
	s_cbranch_execz .LBB170_62
.LBB170_61:
	v_add_nc_u32_e32 v2, v2, v27
	v_mov_b32_e32 v3, 0
	v_bfe_u32 v6, v5, 16, 1
	v_cmp_o_f32_e32 vcc_lo, v5, v5
	v_mov_b32_e32 v8, 0x7fc0
	v_lshlrev_b64 v[2:3], 1, v[2:3]
	v_add3_u32 v5, v5, v6, 0x7fff
	v_cndmask_b32_sdwa v5, v8, v5, vcc_lo dst_sel:DWORD dst_unused:UNUSED_PAD src0_sel:DWORD src1_sel:WORD_1
	s_waitcnt lgkmcnt(0)
	v_add_co_u32 v2, vcc_lo, s12, v2
	v_add_co_ci_u32_e64 v3, null, s13, v3, vcc_lo
	global_store_short v[2:3], v5, off
.LBB170_62:
	s_or_b32 exec_lo, exec_lo, s4
	v_add3_u32 v1, v1, s7, 56
	v_cmp_gt_u32_e32 vcc_lo, s10, v1
	s_and_b32 exec_lo, exec_lo, vcc_lo
	s_cbranch_execz .LBB170_68
; %bb.63:
	v_mul_lo_u32 v1, v1, s14
	s_and_saveexec_b32 s4, s0
	s_cbranch_execnz .LBB170_87
; %bb.64:
	s_or_b32 exec_lo, exec_lo, s4
	s_and_saveexec_b32 s0, s1
	s_cbranch_execnz .LBB170_88
.LBB170_65:
	s_or_b32 exec_lo, exec_lo, s0
	s_and_saveexec_b32 s0, s2
	s_cbranch_execnz .LBB170_89
.LBB170_66:
	s_or_b32 exec_lo, exec_lo, s0
	s_and_b32 exec_lo, exec_lo, s3
	s_cbranch_execz .LBB170_68
.LBB170_67:
	v_add_nc_u32_e32 v0, v1, v27
	v_mov_b32_e32 v1, 0
	v_bfe_u32 v2, v4, 16, 1
	v_cmp_o_f32_e32 vcc_lo, v4, v4
	v_mov_b32_e32 v3, 0x7fc0
	v_lshlrev_b64 v[0:1], 1, v[0:1]
	v_add3_u32 v2, v4, v2, 0x7fff
	v_cndmask_b32_sdwa v2, v3, v2, vcc_lo dst_sel:DWORD dst_unused:UNUSED_PAD src0_sel:DWORD src1_sel:WORD_1
	s_waitcnt lgkmcnt(0)
	v_add_co_u32 v0, vcc_lo, s12, v0
	v_add_co_ci_u32_e64 v1, null, s13, v1, vcc_lo
	global_store_short v[0:1], v2, off
.LBB170_68:
	s_endpgm
.LBB170_69:
	v_add_nc_u32_e32 v34, v23, v0
	v_mov_b32_e32 v35, 0
	v_bfe_u32 v36, v6, 16, 1
	v_cmp_o_f32_e32 vcc_lo, v6, v6
	v_mov_b32_e32 v37, 0x7fc0
	v_lshlrev_b64 v[34:35], 1, v[34:35]
	v_add3_u32 v6, v6, v36, 0x7fff
	v_cndmask_b32_sdwa v6, v37, v6, vcc_lo dst_sel:DWORD dst_unused:UNUSED_PAD src0_sel:DWORD src1_sel:WORD_1
	s_waitcnt lgkmcnt(0)
	v_add_co_u32 v34, vcc_lo, s12, v34
	v_add_co_ci_u32_e64 v35, null, s13, v35, vcc_lo
	global_store_short v[34:35], v6, off
	s_or_b32 exec_lo, exec_lo, s4
	s_and_saveexec_b32 s4, s1
	s_cbranch_execz .LBB170_29
.LBB170_70:
	v_add_nc_u32_e32 v34, v23, v7
	v_mov_b32_e32 v35, 0
	v_bfe_u32 v6, v30, 16, 1
	v_cmp_o_f32_e32 vcc_lo, v30, v30
	v_mov_b32_e32 v36, 0x7fc0
	v_lshlrev_b64 v[34:35], 1, v[34:35]
	v_add3_u32 v6, v30, v6, 0x7fff
	v_cndmask_b32_sdwa v6, v36, v6, vcc_lo dst_sel:DWORD dst_unused:UNUSED_PAD src0_sel:DWORD src1_sel:WORD_1
	s_waitcnt lgkmcnt(0)
	v_add_co_u32 v34, vcc_lo, s12, v34
	v_add_co_ci_u32_e64 v35, null, s13, v35, vcc_lo
	global_store_short v[34:35], v6, off
	s_or_b32 exec_lo, exec_lo, s4
	s_and_saveexec_b32 s4, s2
	s_cbranch_execz .LBB170_30
.LBB170_71:
	v_add_nc_u32_e32 v34, v23, v31
	v_mov_b32_e32 v35, 0
	v_bfe_u32 v6, v26, 16, 1
	v_cmp_o_f32_e32 vcc_lo, v26, v26
	v_mov_b32_e32 v30, 0x7fc0
	v_lshlrev_b64 v[34:35], 1, v[34:35]
	v_add3_u32 v6, v26, v6, 0x7fff
	v_cndmask_b32_sdwa v6, v30, v6, vcc_lo dst_sel:DWORD dst_unused:UNUSED_PAD src0_sel:DWORD src1_sel:WORD_1
	s_waitcnt lgkmcnt(0)
	v_add_co_u32 v34, vcc_lo, s12, v34
	v_add_co_ci_u32_e64 v35, null, s13, v35, vcc_lo
	global_store_short v[34:35], v6, off
	s_or_b32 exec_lo, exec_lo, s4
	s_and_saveexec_b32 s4, s3
	s_cbranch_execnz .LBB170_31
	s_branch .LBB170_32
.LBB170_72:
	v_add_nc_u32_e32 v22, v6, v0
	v_mov_b32_e32 v23, 0
	v_bfe_u32 v26, v9, 16, 1
	v_cmp_o_f32_e32 vcc_lo, v9, v9
	v_mov_b32_e32 v30, 0x7fc0
	v_lshlrev_b64 v[22:23], 1, v[22:23]
	v_add3_u32 v9, v9, v26, 0x7fff
	v_cndmask_b32_sdwa v9, v30, v9, vcc_lo dst_sel:DWORD dst_unused:UNUSED_PAD src0_sel:DWORD src1_sel:WORD_1
	s_waitcnt lgkmcnt(0)
	v_add_co_u32 v22, vcc_lo, s12, v22
	v_add_co_ci_u32_e64 v23, null, s13, v23, vcc_lo
	global_store_short v[22:23], v9, off
	s_or_b32 exec_lo, exec_lo, s4
	s_and_saveexec_b32 s4, s1
	s_cbranch_execz .LBB170_35
.LBB170_73:
	v_add_nc_u32_e32 v22, v6, v7
	v_mov_b32_e32 v23, 0
	v_bfe_u32 v9, v33, 16, 1
	v_cmp_o_f32_e32 vcc_lo, v33, v33
	v_mov_b32_e32 v26, 0x7fc0
	v_lshlrev_b64 v[22:23], 1, v[22:23]
	v_add3_u32 v9, v33, v9, 0x7fff
	v_cndmask_b32_sdwa v9, v26, v9, vcc_lo dst_sel:DWORD dst_unused:UNUSED_PAD src0_sel:DWORD src1_sel:WORD_1
	s_waitcnt lgkmcnt(0)
	v_add_co_u32 v22, vcc_lo, s12, v22
	v_add_co_ci_u32_e64 v23, null, s13, v23, vcc_lo
	global_store_short v[22:23], v9, off
	s_or_b32 exec_lo, exec_lo, s4
	s_and_saveexec_b32 s4, s2
	s_cbranch_execz .LBB170_36
.LBB170_74:
	v_add_nc_u32_e32 v22, v6, v31
	v_mov_b32_e32 v23, 0
	v_bfe_u32 v9, v29, 16, 1
	v_cmp_o_f32_e32 vcc_lo, v29, v29
	v_mov_b32_e32 v26, 0x7fc0
	v_lshlrev_b64 v[22:23], 1, v[22:23]
	v_add3_u32 v9, v29, v9, 0x7fff
	v_cndmask_b32_sdwa v9, v26, v9, vcc_lo dst_sel:DWORD dst_unused:UNUSED_PAD src0_sel:DWORD src1_sel:WORD_1
	s_waitcnt lgkmcnt(0)
	v_add_co_u32 v22, vcc_lo, s12, v22
	v_add_co_ci_u32_e64 v23, null, s13, v23, vcc_lo
	global_store_short v[22:23], v9, off
	s_or_b32 exec_lo, exec_lo, s4
	s_and_saveexec_b32 s4, s3
	s_cbranch_execnz .LBB170_37
	s_branch .LBB170_38
.LBB170_75:
	v_bfe_u32 v9, v8, 16, 1
	v_add_nc_u32_e32 v22, v6, v0
	v_mov_b32_e32 v23, 0
	v_cmp_o_f32_e32 vcc_lo, v8, v8
	v_mov_b32_e32 v25, 0x7fc0
	v_add3_u32 v26, v8, v9, 0x7fff
	v_lshlrev_b64 v[8:9], 1, v[22:23]
	v_cndmask_b32_sdwa v22, v25, v26, vcc_lo dst_sel:DWORD dst_unused:UNUSED_PAD src0_sel:DWORD src1_sel:WORD_1
	s_waitcnt lgkmcnt(0)
	v_add_co_u32 v8, vcc_lo, s12, v8
	v_add_co_ci_u32_e64 v9, null, s13, v9, vcc_lo
	global_store_short v[8:9], v22, off
	s_or_b32 exec_lo, exec_lo, s4
	s_and_saveexec_b32 s4, s1
	s_cbranch_execz .LBB170_41
.LBB170_76:
	v_add_nc_u32_e32 v8, v6, v7
	v_mov_b32_e32 v9, 0
	v_bfe_u32 v22, v32, 16, 1
	v_cmp_o_f32_e32 vcc_lo, v32, v32
	v_mov_b32_e32 v23, 0x7fc0
	v_lshlrev_b64 v[8:9], 1, v[8:9]
	v_add3_u32 v22, v32, v22, 0x7fff
	v_cndmask_b32_sdwa v22, v23, v22, vcc_lo dst_sel:DWORD dst_unused:UNUSED_PAD src0_sel:DWORD src1_sel:WORD_1
	s_waitcnt lgkmcnt(0)
	v_add_co_u32 v8, vcc_lo, s12, v8
	v_add_co_ci_u32_e64 v9, null, s13, v9, vcc_lo
	global_store_short v[8:9], v22, off
	s_or_b32 exec_lo, exec_lo, s4
	s_and_saveexec_b32 s4, s2
	s_cbranch_execz .LBB170_42
.LBB170_77:
	v_add_nc_u32_e32 v8, v6, v31
	v_mov_b32_e32 v9, 0
	v_bfe_u32 v22, v28, 16, 1
	v_cmp_o_f32_e32 vcc_lo, v28, v28
	v_mov_b32_e32 v23, 0x7fc0
	v_lshlrev_b64 v[8:9], 1, v[8:9]
	v_add3_u32 v22, v28, v22, 0x7fff
	v_cndmask_b32_sdwa v22, v23, v22, vcc_lo dst_sel:DWORD dst_unused:UNUSED_PAD src0_sel:DWORD src1_sel:WORD_1
	s_waitcnt lgkmcnt(0)
	v_add_co_u32 v8, vcc_lo, s12, v8
	v_add_co_ci_u32_e64 v9, null, s13, v9, vcc_lo
	global_store_short v[8:9], v22, off
	s_or_b32 exec_lo, exec_lo, s4
	s_and_saveexec_b32 s4, s3
	s_cbranch_execnz .LBB170_43
	s_branch .LBB170_44
.LBB170_78:
	v_add_nc_u32_e32 v8, v6, v0
	v_mov_b32_e32 v9, 0
	v_bfe_u32 v22, v19, 16, 1
	v_cmp_o_f32_e32 vcc_lo, v19, v19
	v_mov_b32_e32 v23, 0x7fc0
	v_lshlrev_b64 v[8:9], 1, v[8:9]
	v_add3_u32 v19, v19, v22, 0x7fff
	v_cndmask_b32_sdwa v19, v23, v19, vcc_lo dst_sel:DWORD dst_unused:UNUSED_PAD src0_sel:DWORD src1_sel:WORD_1
	s_waitcnt lgkmcnt(0)
	v_add_co_u32 v8, vcc_lo, s12, v8
	v_add_co_ci_u32_e64 v9, null, s13, v9, vcc_lo
	global_store_short v[8:9], v19, off
	s_or_b32 exec_lo, exec_lo, s4
	s_and_saveexec_b32 s4, s1
	s_cbranch_execz .LBB170_47
.LBB170_79:
	v_add_nc_u32_e32 v8, v6, v7
	v_mov_b32_e32 v9, 0
	v_bfe_u32 v19, v15, 16, 1
	v_cmp_o_f32_e32 vcc_lo, v15, v15
	v_mov_b32_e32 v22, 0x7fc0
	v_lshlrev_b64 v[8:9], 1, v[8:9]
	v_add3_u32 v15, v15, v19, 0x7fff
	v_cndmask_b32_sdwa v15, v22, v15, vcc_lo dst_sel:DWORD dst_unused:UNUSED_PAD src0_sel:DWORD src1_sel:WORD_1
	s_waitcnt lgkmcnt(0)
	v_add_co_u32 v8, vcc_lo, s12, v8
	v_add_co_ci_u32_e64 v9, null, s13, v9, vcc_lo
	global_store_short v[8:9], v15, off
	s_or_b32 exec_lo, exec_lo, s4
	s_and_saveexec_b32 s4, s2
	s_cbranch_execz .LBB170_48
.LBB170_80:
	v_add_nc_u32_e32 v8, v6, v31
	v_mov_b32_e32 v9, 0
	v_bfe_u32 v15, v11, 16, 1
	v_cmp_o_f32_e32 vcc_lo, v11, v11
	v_mov_b32_e32 v19, 0x7fc0
	v_lshlrev_b64 v[8:9], 1, v[8:9]
	v_add3_u32 v11, v11, v15, 0x7fff
	v_cndmask_b32_sdwa v11, v19, v11, vcc_lo dst_sel:DWORD dst_unused:UNUSED_PAD src0_sel:DWORD src1_sel:WORD_1
	s_waitcnt lgkmcnt(0)
	v_add_co_u32 v8, vcc_lo, s12, v8
	v_add_co_ci_u32_e64 v9, null, s13, v9, vcc_lo
	global_store_short v[8:9], v11, off
	s_or_b32 exec_lo, exec_lo, s4
	s_and_saveexec_b32 s4, s3
	s_cbranch_execnz .LBB170_49
	s_branch .LBB170_50
.LBB170_81:
	v_add_nc_u32_e32 v8, v3, v0
	v_mov_b32_e32 v9, 0
	v_bfe_u32 v6, v18, 16, 1
	v_cmp_o_f32_e32 vcc_lo, v18, v18
	v_mov_b32_e32 v11, 0x7fc0
	v_lshlrev_b64 v[8:9], 1, v[8:9]
	v_add3_u32 v6, v18, v6, 0x7fff
	v_cndmask_b32_sdwa v6, v11, v6, vcc_lo dst_sel:DWORD dst_unused:UNUSED_PAD src0_sel:DWORD src1_sel:WORD_1
	s_waitcnt lgkmcnt(0)
	v_add_co_u32 v8, vcc_lo, s12, v8
	v_add_co_ci_u32_e64 v9, null, s13, v9, vcc_lo
	global_store_short v[8:9], v6, off
	s_or_b32 exec_lo, exec_lo, s4
	s_and_saveexec_b32 s4, s1
	s_cbranch_execz .LBB170_53
.LBB170_82:
	v_add_nc_u32_e32 v8, v3, v7
	v_mov_b32_e32 v9, 0
	v_bfe_u32 v6, v14, 16, 1
	v_cmp_o_f32_e32 vcc_lo, v14, v14
	v_mov_b32_e32 v11, 0x7fc0
	v_lshlrev_b64 v[8:9], 1, v[8:9]
	v_add3_u32 v6, v14, v6, 0x7fff
	v_cndmask_b32_sdwa v6, v11, v6, vcc_lo dst_sel:DWORD dst_unused:UNUSED_PAD src0_sel:DWORD src1_sel:WORD_1
	s_waitcnt lgkmcnt(0)
	v_add_co_u32 v8, vcc_lo, s12, v8
	v_add_co_ci_u32_e64 v9, null, s13, v9, vcc_lo
	global_store_short v[8:9], v6, off
	s_or_b32 exec_lo, exec_lo, s4
	s_and_saveexec_b32 s4, s2
	s_cbranch_execz .LBB170_54
.LBB170_83:
	v_add_nc_u32_e32 v8, v3, v31
	v_mov_b32_e32 v9, 0
	v_bfe_u32 v6, v10, 16, 1
	v_cmp_o_f32_e32 vcc_lo, v10, v10
	v_mov_b32_e32 v11, 0x7fc0
	v_lshlrev_b64 v[8:9], 1, v[8:9]
	v_add3_u32 v6, v10, v6, 0x7fff
	v_cndmask_b32_sdwa v6, v11, v6, vcc_lo dst_sel:DWORD dst_unused:UNUSED_PAD src0_sel:DWORD src1_sel:WORD_1
	s_waitcnt lgkmcnt(0)
	v_add_co_u32 v8, vcc_lo, s12, v8
	v_add_co_ci_u32_e64 v9, null, s13, v9, vcc_lo
	global_store_short v[8:9], v6, off
	s_or_b32 exec_lo, exec_lo, s4
	s_and_saveexec_b32 s4, s3
	s_cbranch_execnz .LBB170_55
	s_branch .LBB170_56
.LBB170_84:
	v_add_nc_u32_e32 v8, v2, v0
	v_mov_b32_e32 v9, 0
	v_bfe_u32 v3, v21, 16, 1
	v_cmp_o_f32_e32 vcc_lo, v21, v21
	v_mov_b32_e32 v6, 0x7fc0
	v_lshlrev_b64 v[8:9], 1, v[8:9]
	v_add3_u32 v3, v21, v3, 0x7fff
	v_cndmask_b32_sdwa v3, v6, v3, vcc_lo dst_sel:DWORD dst_unused:UNUSED_PAD src0_sel:DWORD src1_sel:WORD_1
	s_waitcnt lgkmcnt(0)
	v_add_co_u32 v8, vcc_lo, s12, v8
	v_add_co_ci_u32_e64 v9, null, s13, v9, vcc_lo
	global_store_short v[8:9], v3, off
	s_or_b32 exec_lo, exec_lo, s4
	s_and_saveexec_b32 s4, s1
	s_cbranch_execz .LBB170_59
.LBB170_85:
	v_add_nc_u32_e32 v8, v2, v7
	v_mov_b32_e32 v9, 0
	v_bfe_u32 v3, v17, 16, 1
	v_cmp_o_f32_e32 vcc_lo, v17, v17
	v_mov_b32_e32 v6, 0x7fc0
	v_lshlrev_b64 v[8:9], 1, v[8:9]
	v_add3_u32 v3, v17, v3, 0x7fff
	v_cndmask_b32_sdwa v3, v6, v3, vcc_lo dst_sel:DWORD dst_unused:UNUSED_PAD src0_sel:DWORD src1_sel:WORD_1
	s_waitcnt lgkmcnt(0)
	v_add_co_u32 v8, vcc_lo, s12, v8
	v_add_co_ci_u32_e64 v9, null, s13, v9, vcc_lo
	global_store_short v[8:9], v3, off
	s_or_b32 exec_lo, exec_lo, s4
	s_and_saveexec_b32 s4, s2
	s_cbranch_execz .LBB170_60
.LBB170_86:
	v_add_nc_u32_e32 v8, v2, v31
	v_mov_b32_e32 v9, 0
	v_bfe_u32 v3, v13, 16, 1
	v_cmp_o_f32_e32 vcc_lo, v13, v13
	v_mov_b32_e32 v6, 0x7fc0
	v_lshlrev_b64 v[8:9], 1, v[8:9]
	v_add3_u32 v3, v13, v3, 0x7fff
	v_cndmask_b32_sdwa v3, v6, v3, vcc_lo dst_sel:DWORD dst_unused:UNUSED_PAD src0_sel:DWORD src1_sel:WORD_1
	s_waitcnt lgkmcnt(0)
	v_add_co_u32 v8, vcc_lo, s12, v8
	v_add_co_ci_u32_e64 v9, null, s13, v9, vcc_lo
	global_store_short v[8:9], v3, off
	s_or_b32 exec_lo, exec_lo, s4
	s_and_saveexec_b32 s4, s3
	s_cbranch_execnz .LBB170_61
	s_branch .LBB170_62
.LBB170_87:
	v_add_nc_u32_e32 v2, v1, v0
	v_mov_b32_e32 v3, 0
	v_bfe_u32 v5, v20, 16, 1
	v_cmp_o_f32_e32 vcc_lo, v20, v20
	v_mov_b32_e32 v0, 0x7fc0
	v_lshlrev_b64 v[2:3], 1, v[2:3]
	v_add3_u32 v5, v20, v5, 0x7fff
	v_cndmask_b32_sdwa v0, v0, v5, vcc_lo dst_sel:DWORD dst_unused:UNUSED_PAD src0_sel:DWORD src1_sel:WORD_1
	s_waitcnt lgkmcnt(0)
	v_add_co_u32 v2, vcc_lo, s12, v2
	v_add_co_ci_u32_e64 v3, null, s13, v3, vcc_lo
	global_store_short v[2:3], v0, off
	s_or_b32 exec_lo, exec_lo, s4
	s_and_saveexec_b32 s0, s1
	s_cbranch_execz .LBB170_65
.LBB170_88:
	v_add_nc_u32_e32 v2, v1, v7
	v_mov_b32_e32 v3, 0
	v_bfe_u32 v0, v16, 16, 1
	v_cmp_o_f32_e32 vcc_lo, v16, v16
	v_mov_b32_e32 v5, 0x7fc0
	v_lshlrev_b64 v[2:3], 1, v[2:3]
	v_add3_u32 v0, v16, v0, 0x7fff
	v_cndmask_b32_sdwa v0, v5, v0, vcc_lo dst_sel:DWORD dst_unused:UNUSED_PAD src0_sel:DWORD src1_sel:WORD_1
	s_waitcnt lgkmcnt(0)
	v_add_co_u32 v2, vcc_lo, s12, v2
	v_add_co_ci_u32_e64 v3, null, s13, v3, vcc_lo
	global_store_short v[2:3], v0, off
	s_or_b32 exec_lo, exec_lo, s0
	s_and_saveexec_b32 s0, s2
	s_cbranch_execz .LBB170_66
.LBB170_89:
	v_add_nc_u32_e32 v2, v1, v31
	v_mov_b32_e32 v3, 0
	v_bfe_u32 v0, v12, 16, 1
	v_cmp_o_f32_e32 vcc_lo, v12, v12
	v_mov_b32_e32 v5, 0x7fc0
	v_lshlrev_b64 v[2:3], 1, v[2:3]
	v_add3_u32 v0, v12, v0, 0x7fff
	v_cndmask_b32_sdwa v0, v5, v0, vcc_lo dst_sel:DWORD dst_unused:UNUSED_PAD src0_sel:DWORD src1_sel:WORD_1
	s_waitcnt lgkmcnt(0)
	v_add_co_u32 v2, vcc_lo, s12, v2
	v_add_co_ci_u32_e64 v3, null, s13, v3, vcc_lo
	global_store_short v[2:3], v0, off
	s_or_b32 exec_lo, exec_lo, s0
	s_and_b32 exec_lo, exec_lo, s3
	s_cbranch_execnz .LBB170_67
	s_branch .LBB170_68
	.section	.rodata,"a",@progbits
	.p2align	6, 0x0
	.amdhsa_kernel _ZL12mul_mat_q3_KIN3c108BFloat16ELb1EEvPKvS3_PT_iiiii
		.amdhsa_group_segment_fixed_size 39840
		.amdhsa_private_segment_fixed_size 0
		.amdhsa_kernarg_size 44
		.amdhsa_user_sgpr_count 6
		.amdhsa_user_sgpr_private_segment_buffer 1
		.amdhsa_user_sgpr_dispatch_ptr 0
		.amdhsa_user_sgpr_queue_ptr 0
		.amdhsa_user_sgpr_kernarg_segment_ptr 1
		.amdhsa_user_sgpr_dispatch_id 0
		.amdhsa_user_sgpr_flat_scratch_init 0
		.amdhsa_user_sgpr_private_segment_size 0
		.amdhsa_wavefront_size32 1
		.amdhsa_uses_dynamic_stack 0
		.amdhsa_system_sgpr_private_segment_wavefront_offset 0
		.amdhsa_system_sgpr_workgroup_id_x 1
		.amdhsa_system_sgpr_workgroup_id_y 1
		.amdhsa_system_sgpr_workgroup_id_z 0
		.amdhsa_system_sgpr_workgroup_info 0
		.amdhsa_system_vgpr_workitem_id 1
		.amdhsa_next_free_vgpr 242
		.amdhsa_next_free_sgpr 21
		.amdhsa_reserve_vcc 1
		.amdhsa_reserve_flat_scratch 0
		.amdhsa_float_round_mode_32 0
		.amdhsa_float_round_mode_16_64 0
		.amdhsa_float_denorm_mode_32 3
		.amdhsa_float_denorm_mode_16_64 3
		.amdhsa_dx10_clamp 1
		.amdhsa_ieee_mode 1
		.amdhsa_fp16_overflow 0
		.amdhsa_workgroup_processor_mode 1
		.amdhsa_memory_ordered 1
		.amdhsa_forward_progress 1
		.amdhsa_shared_vgpr_count 0
		.amdhsa_exception_fp_ieee_invalid_op 0
		.amdhsa_exception_fp_denorm_src 0
		.amdhsa_exception_fp_ieee_div_zero 0
		.amdhsa_exception_fp_ieee_overflow 0
		.amdhsa_exception_fp_ieee_underflow 0
		.amdhsa_exception_fp_ieee_inexact 0
		.amdhsa_exception_int_div_zero 0
	.end_amdhsa_kernel
	.section	.text._ZL12mul_mat_q3_KIN3c108BFloat16ELb1EEvPKvS3_PT_iiiii,"axG",@progbits,_ZL12mul_mat_q3_KIN3c108BFloat16ELb1EEvPKvS3_PT_iiiii,comdat
.Lfunc_end170:
	.size	_ZL12mul_mat_q3_KIN3c108BFloat16ELb1EEvPKvS3_PT_iiiii, .Lfunc_end170-_ZL12mul_mat_q3_KIN3c108BFloat16ELb1EEvPKvS3_PT_iiiii
                                        ; -- End function
	.set _ZL12mul_mat_q3_KIN3c108BFloat16ELb1EEvPKvS3_PT_iiiii.num_vgpr, 242
	.set _ZL12mul_mat_q3_KIN3c108BFloat16ELb1EEvPKvS3_PT_iiiii.num_agpr, 0
	.set _ZL12mul_mat_q3_KIN3c108BFloat16ELb1EEvPKvS3_PT_iiiii.numbered_sgpr, 21
	.set _ZL12mul_mat_q3_KIN3c108BFloat16ELb1EEvPKvS3_PT_iiiii.num_named_barrier, 0
	.set _ZL12mul_mat_q3_KIN3c108BFloat16ELb1EEvPKvS3_PT_iiiii.private_seg_size, 0
	.set _ZL12mul_mat_q3_KIN3c108BFloat16ELb1EEvPKvS3_PT_iiiii.uses_vcc, 1
	.set _ZL12mul_mat_q3_KIN3c108BFloat16ELb1EEvPKvS3_PT_iiiii.uses_flat_scratch, 0
	.set _ZL12mul_mat_q3_KIN3c108BFloat16ELb1EEvPKvS3_PT_iiiii.has_dyn_sized_stack, 0
	.set _ZL12mul_mat_q3_KIN3c108BFloat16ELb1EEvPKvS3_PT_iiiii.has_recursion, 0
	.set _ZL12mul_mat_q3_KIN3c108BFloat16ELb1EEvPKvS3_PT_iiiii.has_indirect_call, 0
	.section	.AMDGPU.csdata,"",@progbits
; Kernel info:
; codeLenInByte = 39916
; TotalNumSgprs: 23
; NumVgprs: 242
; ScratchSize: 0
; MemoryBound: 0
; FloatMode: 240
; IeeeMode: 1
; LDSByteSize: 39840 bytes/workgroup (compile time only)
; SGPRBlocks: 0
; VGPRBlocks: 30
; NumSGPRsForWavesPerEU: 23
; NumVGPRsForWavesPerEU: 242
; Occupancy: 4
; WaveLimiterHint : 0
; COMPUTE_PGM_RSRC2:SCRATCH_EN: 0
; COMPUTE_PGM_RSRC2:USER_SGPR: 6
; COMPUTE_PGM_RSRC2:TRAP_HANDLER: 0
; COMPUTE_PGM_RSRC2:TGID_X_EN: 1
; COMPUTE_PGM_RSRC2:TGID_Y_EN: 1
; COMPUTE_PGM_RSRC2:TGID_Z_EN: 0
; COMPUTE_PGM_RSRC2:TIDIG_COMP_CNT: 1
	.section	.text._ZL12mul_mat_q4_KIN3c108BFloat16ELb0EEvPKvS3_PT_iiiii,"axG",@progbits,_ZL12mul_mat_q4_KIN3c108BFloat16ELb0EEvPKvS3_PT_iiiii,comdat
	.globl	_ZL12mul_mat_q4_KIN3c108BFloat16ELb0EEvPKvS3_PT_iiiii ; -- Begin function _ZL12mul_mat_q4_KIN3c108BFloat16ELb0EEvPKvS3_PT_iiiii
	.p2align	8
	.type	_ZL12mul_mat_q4_KIN3c108BFloat16ELb0EEvPKvS3_PT_iiiii,@function
_ZL12mul_mat_q4_KIN3c108BFloat16ELb0EEvPKvS3_PT_iiiii: ; @_ZL12mul_mat_q4_KIN3c108BFloat16ELb0EEvPKvS3_PT_iiiii
; %bb.0:
	s_clause 0x1
	s_load_dword s14, s[4:5], 0x18
	s_load_dwordx4 s[8:11], s[4:5], 0x20
	s_lshl_b32 s7, s7, 6
	v_add_nc_u32_e32 v35, s7, v1
	s_waitcnt lgkmcnt(0)
	s_cmpk_gt_i32 s14, 0xff
	s_cbranch_scc1 .LBB171_2
; %bb.1:
	v_add_nc_u32_e32 v2, s7, v1
	s_mov_b32 s0, 0
	s_branch .LBB171_3
.LBB171_2:
	s_mov_b32 s0, -1
                                        ; implicit-def: $vgpr2
.LBB171_3:
	s_load_dwordx2 s[12:13], s[4:5], 0x10
	v_mov_b32_e32 v17, 0
	v_mov_b32_e32 v21, 0
	;; [unrolled: 1-line block ×32, first 2 shown]
	s_andn2_b32 vcc_lo, exec_lo, s0
	s_lshl_b32 s6, s6, 7
	s_cbranch_vccnz .LBB171_11
; %bb.4:
	s_load_dwordx4 s[0:3], s[4:5], 0x0
	s_ashr_i32 s4, s14, 31
	s_ashr_i32 s5, s9, 31
	s_lshr_b32 s4, s4, 24
	s_lshr_b32 s5, s5, 27
	s_add_i32 s14, s14, s4
	s_add_i32 s5, s9, s5
	s_ashr_i32 s4, s14, 8
	s_ashr_i32 s14, s5, 5
	s_mul_i32 s9, s4, s6
	v_add_nc_u32_e32 v9, 24, v35
	s_mul_i32 s5, s9, 0x90
	s_mul_hi_i32 s9, s9, 0x90
	v_add_nc_u32_e32 v11, 32, v35
	v_add_nc_u32_e32 v13, 40, v35
	;; [unrolled: 1-line block ×3, first 2 shown]
	v_cvt_f64_u32_e32 v[3:4], v35
	v_add_nc_u32_e32 v7, 16, v35
	v_add_nc_u32_e32 v5, 8, v35
	v_cvt_f64_u32_e32 v[9:10], v9
	s_waitcnt lgkmcnt(0)
	s_add_u32 s5, s0, s5
	s_addc_u32 s9, s1, s9
	s_add_i32 s16, s8, -1
	v_cvt_f64_u32_e32 v[11:12], v11
	v_cvt_f64_i32_e32 v[19:20], s16
	v_cvt_f64_u32_e32 v[13:14], v13
	v_cvt_f64_u32_e32 v[15:16], v15
	v_add_nc_u32_e32 v17, 56, v35
	v_cvt_f64_u32_e32 v[7:8], v7
	v_cvt_f64_u32_e32 v[5:6], v5
	s_lshl_b32 s15, s4, 3
	v_lshlrev_b32_e32 v29, 3, v1
	v_cvt_f64_u32_e32 v[17:18], v17
	v_mad_i32_i24 v43, s4, v1, s15
	v_lshrrev_b32_e32 v30, 2, v0
	v_lshlrev_b32_e32 v46, 5, v1
	v_and_b32_e32 v2, 3, v0
	v_lshlrev_b32_e32 v21, 2, v0
	v_add_nc_u32_e32 v44, s15, v43
	v_add_nc_u32_e32 v32, v30, v29
	;; [unrolled: 1-line block ×4, first 2 shown]
	v_cmp_gt_u32_e32 vcc_lo, 2, v2
	v_add_nc_u32_e32 v47, s15, v44
	v_add_nc_u16 v29, v30, v29
	v_lshrrev_b32_e32 v36, 3, v31
	v_min_f64 v[3:4], v[3:4], v[19:20]
	v_min_f64 v[9:10], v[9:10], v[19:20]
	;; [unrolled: 1-line block ×7, first 2 shown]
	v_add_nc_u32_e32 v50, s15, v47
	v_min_f64 v[17:18], v[17:18], v[19:20]
	v_and_b32_e32 v31, 0x7f, v31
	v_and_b32_e32 v33, 0xff, v33
	;; [unrolled: 1-line block ×3, first 2 shown]
	v_add_nc_u32_e32 v52, s15, v50
	v_and_b32_e32 v30, 0x7f, v32
	v_lshlrev_b32_e32 v37, 2, v31
	v_mul_i32_i24_e32 v83, s4, v31
	v_cndmask_b32_e32 v31, v33, v2, vcc_lo
	v_add_nc_u32_e32 v55, s15, v52
	v_cmp_ne_u32_e32 vcc_lo, 0, v2
	v_and_b32_e32 v34, 4, v21
	v_add3_u32 v84, v37, v36, 0x6e40
	v_xor_b32_e32 v36, 64, v30
	v_cvt_i32_f64_e32 v3, v[3:4]
	v_add_nc_u32_e32 v56, s15, v55
	v_cvt_i32_f64_e32 v9, v[9:10]
	v_cvt_i32_f64_e32 v10, v[11:12]
	;; [unrolled: 1-line block ×6, first 2 shown]
	v_and_b32_e32 v5, 63, v32
	v_add_nc_u32_e32 v58, s15, v56
	v_cvt_i32_f64_e32 v15, v[17:18]
	v_and_b32_e32 v6, 31, v0
	v_add_co_ci_u32_e64 v33, null, 0, v31, vcc_lo
	v_or_b32_e32 v7, s7, v5
	v_add_nc_u32_e32 v63, s15, v58
	v_lshl_or_b32 v14, v6, 2, 0x4200
	v_cmp_lt_u32_e32 vcc_lo, 1, v2
	v_lshrrev_b32_e32 v39, 1, v36
	v_min_i32_e32 v6, s16, v7
	v_add_nc_u32_e32 v68, s15, v63
	v_lshrrev_b32_e32 v40, 5, v0
	v_cndmask_b32_e32 v86, 0, v34, vcc_lo
	v_lshlrev_b32_e32 v34, 2, v2
	v_mad_u64_u32 v[6:7], null, v6, s14, v[2:3]
	v_add_nc_u32_e32 v73, s15, v68
	v_add_nc_u32_e32 v7, 32, v0
	v_mul_lo_u32 v101, s14, v13
	v_add_nc_u32_e32 v13, 0x60, v0
	v_lshl_or_b32 v19, v36, 4, v34
	v_add_nc_u32_e32 v76, s15, v73
	v_and_b32_e32 v20, 60, v39
	v_mul_lo_u32 v97, s14, v8
	v_add_nc_u32_e32 v8, 64, v0
	v_lshrrev_b32_e32 v103, 3, v7
	v_lshrrev_b32_e32 v18, 3, v13
	v_add_nc_u32_e32 v22, 8, v1
	v_add_nc_u32_e32 v23, 16, v1
	;; [unrolled: 1-line block ×8, first 2 shown]
	v_lshrrev_b16 v29, 1, v29
	v_add3_u32 v92, v19, v20, 0x6200
	v_lshl_or_b32 v5, v5, 4, v34
	v_mul_lo_u32 v102, s14, v15
	v_lshlrev_b32_e32 v15, 2, v40
	v_lshrrev_b32_e32 v16, 3, v8
	v_and_b32_e32 v19, 60, v103
	v_and_b32_e32 v12, 28, v21
	v_lshlrev_b32_e32 v20, 2, v7
	v_and_b32_e32 v7, 60, v18
	v_mad_u32_u24 v54, 0x84, v1, v21
	v_add_nc_u32_e32 v82, s15, v79
	v_cndmask_b32_e64 v37, 0, 1, vcc_lo
	v_lshl_or_b32 v38, v30, 4, v34
	v_and_b32_e32 v29, 60, v29
	v_add_nc_u32_e32 v93, 0x6a40, v5
	v_lshrrev_b32_e32 v94, 3, v0
	v_mul_lo_u32 v95, s14, v3
	v_lshlrev_b32_e32 v2, 7, v1
	v_mul_lo_u32 v96, s14, v4
	v_lshlrev_b32_e32 v3, 7, v22
	v_lshlrev_b32_e32 v4, 7, v23
	v_mul_lo_u32 v98, s14, v9
	v_lshlrev_b32_e32 v5, 7, v24
	v_mul_lo_u32 v99, s14, v10
	v_lshlrev_b32_e32 v9, 7, v25
	v_mul_lo_u32 v100, s14, v11
	v_lshlrev_b32_e32 v10, 7, v26
	v_lshlrev_b32_e32 v11, 7, v27
	;; [unrolled: 1-line block ×3, first 2 shown]
	v_add3_u32 v104, v21, v15, 0x6e40
	v_and_b32_e32 v15, 60, v16
	v_add3_u32 v105, v21, v19, 0x6e40
	v_lshlrev_b32_e32 v19, 2, v8
	v_lshlrev_b32_e32 v13, 2, v13
	s_movk_i32 s0, 0x2100
	s_movk_i32 s11, 0x1080
	;; [unrolled: 1-line block ×3, first 2 shown]
	v_add3_u32 v107, v21, v7, 0x6e40
	v_mad_u32_u24 v117, 0x84, v0, s0
	v_add_co_u32 v7, s0, s2, v12
	v_and_b32_e32 v53, 0x7c, v21
	v_mul_i32_i24_e32 v60, s4, v1
	v_add_nc_u32_e32 v61, 0x420, v54
	v_add_nc_u32_e32 v62, 0x840, v54
	;; [unrolled: 1-line block ×16, first 2 shown]
	v_lshlrev_b32_e32 v87, 1, v31
	v_mul_i32_i24_e32 v89, s4, v30
	v_add3_u32 v90, v38, v29, 0x6200
	v_mul_i32_i24_e32 v91, s4, v36
	v_add3_u32 v106, v21, v15, 0x6e40
	v_lshlrev_b32_e32 v108, 5, v22
	v_lshlrev_b32_e32 v109, 5, v23
	;; [unrolled: 1-line block ×7, first 2 shown]
	v_mul_u32_u24_e32 v115, 0x84, v0
	v_mad_u32_u24 v116, 0x84, v0, s11
	v_mad_u32_u24 v118, 0x84, v0, s1
	v_add_co_ci_u32_e64 v8, null, s3, 0, s0
	v_mad_u32_u24 v119, 0x84, v0, 64
	v_lshl_add_u32 v120, v1, 4, 0x6a40
	v_add_nc_u32_e32 v121, 0x4200, v2
	v_lshlrev_b32_e32 v122, 4, v0
	v_lshlrev_b32_e32 v123, 2, v18
	;; [unrolled: 1-line block ×7, first 2 shown]
	v_add_nc_u32_e32 v129, v14, v2
	v_add_nc_u32_e32 v130, v14, v3
	;; [unrolled: 1-line block ×8, first 2 shown]
	v_lshlrev_b32_e32 v137, 2, v21
	v_lshlrev_b32_e32 v138, 2, v20
	;; [unrolled: 1-line block ×4, first 2 shown]
	v_mov_b32_e32 v141, 0xffff
	v_mov_b32_e32 v88, 0
	;; [unrolled: 1-line block ×33, first 2 shown]
	s_mov_b32 s11, 0
.LBB171_5:                              ; =>This Loop Header: Depth=1
                                        ;     Child Loop BB171_6 Depth 2
                                        ;     Child Loop BB171_8 Depth 2
	s_mul_i32 s0, s11, 0x90
	s_mul_hi_u32 s1, s11, 0x90
	s_add_u32 s0, s5, s0
	s_addc_u32 s1, s9, s1
	s_mov_b32 s14, 0
	v_mad_u64_u32 v[2:3], null, 0x90, v40, s[0:1]
	v_mad_u64_u32 v[4:5], null, 0x90, v60, v[2:3]
	v_add_co_u32 v4, vcc_lo, v4, v53
	v_add_co_ci_u32_e64 v5, null, 0, v5, vcc_lo
	global_load_dword v4, v[4:5], off offset:16
	s_waitcnt vmcnt(0)
	ds_write_b32 v54, v4
	v_mad_u64_u32 v[4:5], null, 0x90, v43, v[2:3]
	v_add_co_u32 v4, vcc_lo, v4, v53
	v_add_co_ci_u32_e64 v5, null, 0, v5, vcc_lo
	global_load_dword v4, v[4:5], off offset:16
	s_waitcnt vmcnt(0)
	ds_write_b32 v61, v4
	v_mad_u64_u32 v[4:5], null, 0x90, v44, v[2:3]
	v_add_co_u32 v4, vcc_lo, v4, v53
	v_add_co_ci_u32_e64 v5, null, 0, v5, vcc_lo
	global_load_dword v4, v[4:5], off offset:16
	s_waitcnt vmcnt(0)
	ds_write_b32 v62, v4
	v_mad_u64_u32 v[4:5], null, 0x90, v47, v[2:3]
	v_add_co_u32 v4, vcc_lo, v4, v53
	v_add_co_ci_u32_e64 v5, null, 0, v5, vcc_lo
	global_load_dword v4, v[4:5], off offset:16
	s_waitcnt vmcnt(0)
	ds_write_b32 v64, v4
	v_mad_u64_u32 v[4:5], null, 0x90, v50, v[2:3]
	v_add_co_u32 v4, vcc_lo, v4, v53
	v_add_co_ci_u32_e64 v5, null, 0, v5, vcc_lo
	global_load_dword v4, v[4:5], off offset:16
	s_waitcnt vmcnt(0)
	ds_write_b32 v65, v4
	v_mad_u64_u32 v[4:5], null, 0x90, v52, v[2:3]
	v_add_co_u32 v4, vcc_lo, v4, v53
	v_add_co_ci_u32_e64 v5, null, 0, v5, vcc_lo
	global_load_dword v4, v[4:5], off offset:16
	s_waitcnt vmcnt(0)
	ds_write_b32 v66, v4
	v_mad_u64_u32 v[4:5], null, 0x90, v55, v[2:3]
	v_add_co_u32 v4, vcc_lo, v4, v53
	v_add_co_ci_u32_e64 v5, null, 0, v5, vcc_lo
	global_load_dword v4, v[4:5], off offset:16
	s_waitcnt vmcnt(0)
	ds_write_b32 v67, v4
	v_mad_u64_u32 v[4:5], null, 0x90, v56, v[2:3]
	v_add_co_u32 v4, vcc_lo, v4, v53
	v_add_co_ci_u32_e64 v5, null, 0, v5, vcc_lo
	global_load_dword v4, v[4:5], off offset:16
	s_waitcnt vmcnt(0)
	ds_write_b32 v69, v4
	v_mad_u64_u32 v[4:5], null, 0x90, v58, v[2:3]
	v_add_co_u32 v4, vcc_lo, v4, v53
	v_add_co_ci_u32_e64 v5, null, 0, v5, vcc_lo
	global_load_dword v4, v[4:5], off offset:16
	s_waitcnt vmcnt(0)
	ds_write_b32 v70, v4
	v_mad_u64_u32 v[4:5], null, 0x90, v63, v[2:3]
	v_add_co_u32 v4, vcc_lo, v4, v53
	v_add_co_ci_u32_e64 v5, null, 0, v5, vcc_lo
	global_load_dword v4, v[4:5], off offset:16
	s_waitcnt vmcnt(0)
	ds_write_b32 v71, v4
	v_mad_u64_u32 v[4:5], null, 0x90, v68, v[2:3]
	v_add_co_u32 v4, vcc_lo, v4, v53
	v_add_co_ci_u32_e64 v5, null, 0, v5, vcc_lo
	global_load_dword v4, v[4:5], off offset:16
	s_waitcnt vmcnt(0)
	ds_write_b32 v72, v4
	v_mad_u64_u32 v[4:5], null, 0x90, v73, v[2:3]
	v_add_co_u32 v4, vcc_lo, v4, v53
	v_add_co_ci_u32_e64 v5, null, 0, v5, vcc_lo
	global_load_dword v4, v[4:5], off offset:16
	s_waitcnt vmcnt(0)
	ds_write_b32 v74, v4
	v_mad_u64_u32 v[4:5], null, 0x90, v76, v[2:3]
	v_add_co_u32 v4, vcc_lo, v4, v53
	v_add_co_ci_u32_e64 v5, null, 0, v5, vcc_lo
	global_load_dword v4, v[4:5], off offset:16
	s_waitcnt vmcnt(0)
	ds_write_b32 v75, v4
	v_mad_u64_u32 v[4:5], null, 0x90, v79, v[2:3]
	v_add_co_u32 v4, vcc_lo, v4, v53
	v_add_co_ci_u32_e64 v5, null, 0, v5, vcc_lo
	global_load_dword v4, v[4:5], off offset:16
	s_waitcnt vmcnt(0)
	ds_write_b32 v77, v4
	v_mad_u64_u32 v[4:5], null, 0x90, v82, v[2:3]
	v_mad_u64_u32 v[2:3], null, 0x90, v85, v[2:3]
	v_add_co_u32 v4, vcc_lo, v4, v53
	v_add_co_ci_u32_e64 v5, null, 0, v5, vcc_lo
	v_add_co_u32 v2, vcc_lo, v2, v53
	v_add_co_ci_u32_e64 v3, null, 0, v3, vcc_lo
	s_clause 0x1
	global_load_dword v4, v[4:5], off offset:16
	global_load_dword v2, v[2:3], off offset:16
	s_waitcnt vmcnt(0)
	ds_write_b32 v80, v2
	v_mad_u64_u32 v[2:3], null, 0x90, v83, s[0:1]
	global_load_dword v2, v[2:3], off
	ds_write_b32 v78, v4
	s_waitcnt vmcnt(0)
	ds_write_b32 v84, v2
	v_mad_u64_u32 v[2:3], null, 0x90, v89, s[0:1]
	v_add_co_u32 v4, vcc_lo, v2, v127
	v_add_co_ci_u32_e64 v5, null, 0, v3, vcc_lo
	v_add_co_u32 v2, vcc_lo, v2, v128
	v_add_co_ci_u32_e64 v3, null, 0, v3, vcc_lo
	s_clause 0x1
	global_load_dword v4, v[4:5], off offset:4
	global_load_dword v2, v[2:3], off offset:4
	s_waitcnt vmcnt(1)
	v_ashrrev_i32_e32 v4, v86, v4
	s_waitcnt vmcnt(0)
	v_ashrrev_i32_e32 v2, v87, v2
	v_and_b32_e32 v4, 0xf0f0f0f, v4
	v_and_or_b32 v2, 0x30303030, v2, v4
	ds_write_b32 v90, v2
	v_mad_u64_u32 v[2:3], null, 0x90, v91, s[0:1]
	s_lshl_b32 s0, s11, 3
	s_mov_b32 s1, -1
	v_add_co_u32 v4, vcc_lo, v2, v127
	v_add_co_ci_u32_e64 v5, null, 0, v3, vcc_lo
	v_add_co_u32 v2, vcc_lo, v2, v128
	v_add_co_ci_u32_e64 v3, null, 0, v3, vcc_lo
	s_clause 0x1
	global_load_dword v4, v[4:5], off offset:4
	global_load_dword v2, v[2:3], off offset:4
	v_add_nc_u32_e32 v5, s0, v94
	v_add_nc_u32_e32 v3, v5, v95
	s_waitcnt vmcnt(1)
	v_ashrrev_i32_e32 v4, v86, v4
	s_waitcnt vmcnt(0)
	v_ashrrev_i32_e32 v2, v87, v2
	v_and_b32_e32 v4, 0xf0f0f0f, v4
	v_and_or_b32 v2, 0x30303030, v2, v4
	v_mad_i64_i32 v[3:4], null, v3, 36, v[7:8]
	ds_write_b32 v92, v2
	v_add_nc_u32_e32 v2, s0, v6
	global_load_dword v3, v[3:4], off offset:4
	s_waitcnt vmcnt(0)
	ds_write_b32 v129, v3
	v_add_nc_u32_e32 v3, v5, v96
	v_mad_i64_i32 v[3:4], null, v3, 36, v[7:8]
	global_load_dword v3, v[3:4], off offset:4
	s_waitcnt vmcnt(0)
	ds_write_b32 v130, v3
	v_add_nc_u32_e32 v3, v5, v97
	v_mad_i64_i32 v[3:4], null, v3, 36, v[7:8]
	global_load_dword v3, v[3:4], off offset:4
	s_waitcnt vmcnt(0)
	ds_write_b32 v131, v3
	v_add_nc_u32_e32 v3, v5, v98
	v_mad_i64_i32 v[3:4], null, v3, 36, v[7:8]
	global_load_dword v3, v[3:4], off offset:4
	s_waitcnt vmcnt(0)
	ds_write_b32 v132, v3
	v_add_nc_u32_e32 v3, v5, v99
	v_mad_i64_i32 v[3:4], null, v3, 36, v[7:8]
	global_load_dword v3, v[3:4], off offset:4
	s_waitcnt vmcnt(0)
	ds_write_b32 v133, v3
	v_add_nc_u32_e32 v3, v5, v100
	v_mad_i64_i32 v[3:4], null, v3, 36, v[7:8]
	global_load_dword v3, v[3:4], off offset:4
	s_waitcnt vmcnt(0)
	ds_write_b32 v134, v3
	v_add_nc_u32_e32 v3, v5, v101
	v_mad_i64_i32 v[3:4], null, v3, 36, v[7:8]
	global_load_dword v3, v[3:4], off offset:4
	s_waitcnt vmcnt(0)
	ds_write_b32 v135, v3
	v_add_nc_u32_e32 v3, v5, v102
	v_mad_i64_i32 v[3:4], null, v3, 36, v[7:8]
	global_load_dword v3, v[3:4], off offset:4
	s_waitcnt vmcnt(0)
	ds_write_b32 v136, v3
	v_mad_u64_u32 v[3:4], null, v2, 36, s[2:3]
	global_load_dword v3, v[3:4], off
	s_waitcnt vmcnt(0)
	ds_write_b32 v93, v3
	s_waitcnt lgkmcnt(0)
	s_barrier
	buffer_gl0_inv
	ds_read_b32 v4, v104
	ds_read_b32 v9, v105 offset:128
	ds_read_b32 v11, v106 offset:256
	;; [unrolled: 1-line block ×3, first 2 shown]
	s_waitcnt lgkmcnt(3)
	v_cvt_f32_f16_e32 v3, v4
	v_cvt_f32_f16_sdwa v4, v4 dst_sel:DWORD dst_unused:UNUSED_PAD src0_sel:WORD_1
	s_waitcnt lgkmcnt(2)
	v_cvt_f32_f16_sdwa v5, v9 dst_sel:DWORD dst_unused:UNUSED_PAD src0_sel:WORD_1
	v_cvt_f32_f16_e32 v9, v9
	s_waitcnt lgkmcnt(1)
	v_cvt_f32_f16_sdwa v10, v11 dst_sel:DWORD dst_unused:UNUSED_PAD src0_sel:WORD_1
	v_cvt_f32_f16_e32 v11, v11
	;; [unrolled: 3-line block ×3, first 2 shown]
.LBB171_6:                              ;   Parent Loop BB171_5 Depth=1
                                        ; =>  This Inner Loop Header: Depth=2
	s_lshl_b32 s15, s14, 1
	s_lshl_b32 s16, s14, 2
	v_or_b32_e32 v198, s15, v46
	v_add_nc_u32_e32 v231, s16, v115
	v_add_nc_u32_e32 v233, s16, v116
	;; [unrolled: 1-line block ×4, first 2 shown]
	v_lshlrev_b32_e32 v211, 2, v198
	ds_read2_b32 v[151:152], v231 offset1:1
	ds_read2_b32 v[172:173], v233 offset1:1
	;; [unrolled: 1-line block ×3, first 2 shown]
	ds_read2_b32 v[190:191], v233 offset0:2 offset1:3
	ds_read2_b32 v[188:189], v231 offset0:2 offset1:3
	ds_read2_b32 v[186:187], v237 offset1:1
	ds_read2_b32 v[199:200], v237 offset0:2 offset1:3
	ds_read2_b32 v[192:193], v235 offset0:2 offset1:3
	ds_read_b128 v[142:145], v211 offset:16896
	v_mov_b32_e32 v197, 0
	v_mov_b32_e32 v196, 0
	;; [unrolled: 1-line block ×4, first 2 shown]
	v_or_b32_e32 v185, s15, v108
	v_mov_b32_e32 v184, 0
	v_mov_b32_e32 v183, 0
	;; [unrolled: 1-line block ×4, first 2 shown]
	v_lshlrev_b32_e32 v212, 2, v185
	v_or_b32_e32 v181, s15, v109
	s_waitcnt lgkmcnt(8)
	v_and_b32_e32 v15, 0xf0f0f0f, v151
	s_waitcnt lgkmcnt(7)
	v_and_b32_e32 v16, 0xf0f0f0f, v172
	;; [unrolled: 2-line block ×3, first 2 shown]
	v_and_b32_e32 v201, 0xf0f0f0f, v152
	v_and_b32_e32 v202, 0xf0f0f0f, v173
	s_waitcnt lgkmcnt(3)
	v_and_b32_e32 v156, 0xf0f0f0f, v186
	v_and_b32_e32 v203, 0xf0f0f0f, v175
	;; [unrolled: 1-line block ×3, first 2 shown]
	s_waitcnt lgkmcnt(0)
	v_dot4c_i32_i8 v197, v15, v142
	v_dot4c_i32_i8 v196, v16, v142
	;; [unrolled: 1-line block ×4, first 2 shown]
	v_and_b32_e32 v205, 0xf0f0f0f, v188
	v_dot4c_i32_i8 v197, v201, v143
	v_dot4c_i32_i8 v196, v202, v143
	;; [unrolled: 1-line block ×4, first 2 shown]
	v_and_b32_e32 v206, 0xf0f0f0f, v190
	v_and_b32_e32 v207, 0xf0f0f0f, v192
	v_and_b32_e32 v208, 0xf0f0f0f, v199
	v_dot4c_i32_i8 v197, v205, v144
	v_and_b32_e32 v209, 0xf0f0f0f, v189
	v_dot4c_i32_i8 v196, v206, v144
	v_dot4c_i32_i8 v195, v207, v144
	;; [unrolled: 1-line block ×3, first 2 shown]
	v_and_b32_e32 v210, 0xf0f0f0f, v191
	v_and_b32_e32 v219, 0xf0f0f0f, v193
	;; [unrolled: 1-line block ×3, first 2 shown]
	v_dot4c_i32_i8 v197, v209, v145
	v_lshlrev_b32_e32 v213, 2, v181
	v_dot4c_i32_i8 v196, v210, v145
	v_dot4c_i32_i8 v195, v219, v145
	;; [unrolled: 1-line block ×3, first 2 shown]
	ds_read_b128 v[142:145], v212 offset:16896
	v_mov_b32_e32 v179, 0
	v_mov_b32_e32 v178, 0
	;; [unrolled: 1-line block ×4, first 2 shown]
	v_or_b32_e32 v171, s15, v110
	v_mov_b32_e32 v170, 0
	v_mov_b32_e32 v169, 0
	;; [unrolled: 1-line block ×4, first 2 shown]
	v_lshlrev_b32_e32 v214, 2, v171
	v_or_b32_e32 v167, s15, v111
	v_mov_b32_e32 v165, 0
	v_mov_b32_e32 v164, 0
	v_mov_b32_e32 v163, 0
	v_mov_b32_e32 v162, 0
	v_lshlrev_b32_e32 v215, 2, v167
	v_or_b32_e32 v161, s15, v112
	v_mov_b32_e32 v160, 0
	v_mov_b32_e32 v159, 0
	s_waitcnt lgkmcnt(0)
	v_dot4c_i32_i8 v184, v15, v142
	v_dot4c_i32_i8 v183, v16, v142
	;; [unrolled: 1-line block ×4, first 2 shown]
	v_lshlrev_b32_e32 v216, 2, v161
	v_dot4c_i32_i8 v184, v201, v143
	v_dot4c_i32_i8 v183, v202, v143
	;; [unrolled: 1-line block ×4, first 2 shown]
	v_mov_b32_e32 v158, 0
	v_dot4c_i32_i8 v184, v205, v144
	v_dot4c_i32_i8 v183, v206, v144
	v_dot4c_i32_i8 v182, v207, v144
	v_dot4c_i32_i8 v180, v208, v144
	v_mov_b32_e32 v157, 0
	v_dot4c_i32_i8 v184, v209, v145
	v_dot4c_i32_i8 v183, v210, v145
	v_dot4c_i32_i8 v182, v219, v145
	v_dot4c_i32_i8 v180, v220, v145
	ds_read_b128 v[142:145], v213 offset:16896
	v_or_b32_e32 v155, s15, v113
	v_mov_b32_e32 v154, 0
	v_mov_b32_e32 v150, 0
	;; [unrolled: 1-line block ×4, first 2 shown]
	v_lshlrev_b32_e32 v217, 2, v155
	v_or_b32_e32 v148, s15, v114
	v_mov_b32_e32 v14, 0
	v_lshrrev_b32_e32 v186, 4, v186
	v_lshrrev_b32_e32 v187, 4, v187
	s_lshr_b32 s14, s14, 2
	v_lshlrev_b32_e32 v218, 2, v148
	s_addk_i32 s14, 0x6200
	v_and_b32_e32 v239, 0xf0f0f0f, v186
	v_and_b32_e32 v240, 0xf0f0f0f, v187
	v_mov_b32_e32 v187, 0
	v_mov_b32_e32 v186, 0
	v_lshrrev_b32_e32 v185, 1, v185
	v_lshrrev_b32_e32 v181, 1, v181
	s_waitcnt lgkmcnt(0)
	v_dot4c_i32_i8 v179, v15, v142
	v_dot4c_i32_i8 v178, v16, v142
	v_dot4c_i32_i8 v177, v153, v142
	v_dot4c_i32_i8 v176, v156, v142
	v_lshrrev_b32_e32 v171, 1, v171
	v_dot4c_i32_i8 v179, v201, v143
	v_dot4c_i32_i8 v178, v202, v143
	v_dot4c_i32_i8 v177, v203, v143
	v_dot4c_i32_i8 v176, v204, v143
	v_lshrrev_b32_e32 v167, 1, v167
	;; [unrolled: 5-line block ×3, first 2 shown]
	v_dot4c_i32_i8 v179, v209, v145
	v_dot4c_i32_i8 v178, v210, v145
	;; [unrolled: 1-line block ×4, first 2 shown]
	ds_read_b128 v[142:145], v214 offset:16896
	v_lshrrev_b32_e32 v155, 1, v155
	s_and_b32 vcc_lo, exec_lo, s1
	s_mov_b32 s1, 0
	s_waitcnt lgkmcnt(0)
	v_dot4c_i32_i8 v170, v15, v142
	v_dot4c_i32_i8 v169, v16, v142
	v_dot4c_i32_i8 v168, v153, v142
	v_dot4c_i32_i8 v166, v156, v142
	v_dot4c_i32_i8 v170, v201, v143
	v_dot4c_i32_i8 v169, v202, v143
	v_dot4c_i32_i8 v168, v203, v143
	v_dot4c_i32_i8 v166, v204, v143
	v_dot4c_i32_i8 v170, v205, v144
	v_dot4c_i32_i8 v169, v206, v144
	v_dot4c_i32_i8 v168, v207, v144
	v_dot4c_i32_i8 v166, v208, v144
	v_dot4c_i32_i8 v170, v209, v145
	v_dot4c_i32_i8 v169, v210, v145
	v_dot4c_i32_i8 v168, v219, v145
	v_dot4c_i32_i8 v166, v220, v145
	ds_read_b128 v[142:145], v215 offset:16896
	s_waitcnt lgkmcnt(0)
	v_dot4c_i32_i8 v165, v15, v142
	v_dot4c_i32_i8 v164, v16, v142
	v_dot4c_i32_i8 v163, v153, v142
	v_dot4c_i32_i8 v162, v156, v142
	v_dot4c_i32_i8 v165, v201, v143
	v_dot4c_i32_i8 v164, v202, v143
	v_dot4c_i32_i8 v163, v203, v143
	v_dot4c_i32_i8 v162, v204, v143
	v_dot4c_i32_i8 v165, v205, v144
	v_dot4c_i32_i8 v164, v206, v144
	v_dot4c_i32_i8 v163, v207, v144
	v_dot4c_i32_i8 v162, v208, v144
	v_dot4c_i32_i8 v165, v209, v145
	v_dot4c_i32_i8 v164, v210, v145
	v_dot4c_i32_i8 v163, v219, v145
	v_dot4c_i32_i8 v162, v220, v145
	ds_read_b128 v[142:145], v216 offset:16896
	;; [unrolled: 18-line block ×3, first 2 shown]
	s_waitcnt lgkmcnt(0)
	v_dot4c_i32_i8 v154, v15, v142
	v_dot4c_i32_i8 v150, v16, v142
	;; [unrolled: 1-line block ×4, first 2 shown]
	v_mov_b32_e32 v142, 0
	v_dot4c_i32_i8 v154, v201, v143
	v_dot4c_i32_i8 v150, v202, v143
	;; [unrolled: 1-line block ×12, first 2 shown]
	ds_read_b128 v[143:146], v218 offset:16896
	s_waitcnt lgkmcnt(0)
	v_dot4c_i32_i8 v14, v15, v143
	v_mov_b32_e32 v15, 0
	v_dot4c_i32_i8 v142, v156, v143
	v_lshrrev_b32_e32 v156, 4, v191
	v_mov_b32_e32 v191, 0
	v_dot4c_i32_i8 v14, v201, v144
	v_dot4c_i32_i8 v15, v16, v143
	v_mov_b32_e32 v16, 0
	v_dot4c_i32_i8 v142, v204, v144
	v_and_b32_e32 v230, 0xf0f0f0f, v156
	v_dot4c_i32_i8 v14, v205, v145
	v_dot4c_i32_i8 v15, v202, v144
	;; [unrolled: 1-line block ×4, first 2 shown]
	v_lshrrev_b32_e32 v143, 4, v151
	v_dot4c_i32_i8 v14, v209, v146
	v_dot4c_i32_i8 v15, v206, v145
	;; [unrolled: 1-line block ×4, first 2 shown]
	v_lshrrev_b32_e32 v144, 4, v152
	v_and_b32_e32 v223, 0xf0f0f0f, v143
	v_dot4c_i32_i8 v15, v210, v146
	v_dot4c_i32_i8 v16, v207, v145
	v_lshrrev_b32_e32 v145, 4, v188
	v_and_b32_e32 v224, 0xf0f0f0f, v144
	v_lshrrev_b32_e32 v151, 4, v172
	v_lshrrev_b32_e32 v172, 4, v174
	v_dot4c_i32_i8 v16, v219, v146
	v_lshrrev_b32_e32 v146, 4, v189
	v_and_b32_e32 v225, 0xf0f0f0f, v145
	v_lshrrev_b32_e32 v152, 4, v173
	v_lshrrev_b32_e32 v173, 4, v175
	v_and_b32_e32 v227, 0xf0f0f0f, v151
	v_and_b32_e32 v226, 0xf0f0f0f, v146
	ds_read_b128 v[143:146], v211 offset:16928
	ds_read_b128 v[219:222], v218 offset:16928
	v_and_b32_e32 v232, 0xf0f0f0f, v172
	v_mov_b32_e32 v210, 0
	v_mov_b32_e32 v209, 0
	v_mov_b32_e32 v208, 0
	v_mov_b32_e32 v207, 0
	v_lshrrev_b32_e32 v153, 4, v190
	v_lshrrev_b32_e32 v174, 4, v192
	;; [unrolled: 1-line block ×3, first 2 shown]
	v_and_b32_e32 v228, 0xf0f0f0f, v152
	v_and_b32_e32 v234, 0xf0f0f0f, v173
	v_lshrrev_b32_e32 v175, 4, v193
	v_lshrrev_b32_e32 v189, 4, v200
	v_and_b32_e32 v229, 0xf0f0f0f, v153
	v_and_b32_e32 v236, 0xf0f0f0f, v174
	;; [unrolled: 1-line block ×5, first 2 shown]
	v_mov_b32_e32 v206, 0
	s_waitcnt lgkmcnt(1)
	v_dot4c_i32_i8 v210, v223, v143
	v_dot4c_i32_i8 v209, v227, v143
	v_dot4c_i32_i8 v208, v232, v143
	v_dot4c_i32_i8 v207, v239, v143
	v_mov_b32_e32 v205, 0
	v_dot4c_i32_i8 v210, v224, v144
	v_dot4c_i32_i8 v209, v228, v144
	v_dot4c_i32_i8 v208, v234, v144
	v_dot4c_i32_i8 v207, v240, v144
	v_mov_b32_e32 v204, 0
	;; [unrolled: 5-line block ×3, first 2 shown]
	v_dot4c_i32_i8 v210, v226, v146
	v_dot4c_i32_i8 v209, v230, v146
	;; [unrolled: 1-line block ×4, first 2 shown]
	ds_read_b128 v[143:146], v212 offset:16928
	v_mov_b32_e32 v202, 0
	v_mov_b32_e32 v201, 0
	v_mov_b32_e32 v200, 0
	v_mov_b32_e32 v199, 0
	v_mov_b32_e32 v193, 0
	v_mov_b32_e32 v192, 0
	v_mov_b32_e32 v190, 0
	v_mov_b32_e32 v189, 0
	v_mov_b32_e32 v188, 0
	v_mov_b32_e32 v175, 0
	v_mov_b32_e32 v174, 0
	v_mov_b32_e32 v173, 0
	v_mov_b32_e32 v172, 0
	v_mov_b32_e32 v156, 0
	v_mov_b32_e32 v153, 0
	v_mov_b32_e32 v152, 0
	v_mov_b32_e32 v151, 0
	s_waitcnt lgkmcnt(0)
	v_dot4c_i32_i8 v206, v223, v143
	v_dot4c_i32_i8 v205, v227, v143
	v_dot4c_i32_i8 v204, v232, v143
	v_dot4c_i32_i8 v203, v239, v143
	v_dot4c_i32_i8 v206, v224, v144
	v_dot4c_i32_i8 v205, v228, v144
	v_dot4c_i32_i8 v204, v234, v144
	v_dot4c_i32_i8 v203, v240, v144
	v_dot4c_i32_i8 v206, v225, v145
	v_dot4c_i32_i8 v205, v229, v145
	v_dot4c_i32_i8 v204, v236, v145
	v_dot4c_i32_i8 v203, v241, v145
	v_dot4c_i32_i8 v206, v226, v146
	v_dot4c_i32_i8 v205, v230, v146
	v_dot4c_i32_i8 v204, v238, v146
	v_dot4c_i32_i8 v203, v242, v146
	ds_read_b128 v[143:146], v213 offset:16928
	s_waitcnt lgkmcnt(0)
	v_dot4c_i32_i8 v202, v223, v143
	v_dot4c_i32_i8 v201, v227, v143
	v_dot4c_i32_i8 v200, v232, v143
	v_dot4c_i32_i8 v199, v239, v143
	v_dot4c_i32_i8 v202, v224, v144
	v_dot4c_i32_i8 v201, v228, v144
	v_dot4c_i32_i8 v200, v234, v144
	v_dot4c_i32_i8 v199, v240, v144
	v_dot4c_i32_i8 v202, v225, v145
	v_dot4c_i32_i8 v201, v229, v145
	v_dot4c_i32_i8 v200, v236, v145
	v_dot4c_i32_i8 v199, v241, v145
	v_dot4c_i32_i8 v202, v226, v146
	v_dot4c_i32_i8 v201, v230, v146
	v_dot4c_i32_i8 v200, v238, v146
	v_dot4c_i32_i8 v199, v242, v146
	ds_read_b128 v[143:146], v214 offset:16928
	;; [unrolled: 18-line block ×5, first 2 shown]
	s_waitcnt lgkmcnt(0)
	v_dot4c_i32_i8 v156, v223, v143
	v_dot4c_i32_i8 v153, v227, v143
	;; [unrolled: 1-line block ×4, first 2 shown]
	v_mov_b32_e32 v143, 0
	v_dot4c_i32_i8 v156, v224, v144
	v_dot4c_i32_i8 v153, v228, v144
	;; [unrolled: 1-line block ×4, first 2 shown]
	v_mov_b32_e32 v144, 0
	v_dot4c_i32_i8 v156, v225, v145
	v_dot4c_i32_i8 v153, v229, v145
	;; [unrolled: 1-line block ×10, first 2 shown]
	v_mov_b32_e32 v145, 0
	v_mov_b32_e32 v146, 0
	v_dot4c_i32_i8 v143, v224, v220
	ds_read2_b32 v[223:224], v231 offset0:4 offset1:5
	v_dot4c_i32_i8 v144, v228, v220
	v_dot4c_i32_i8 v145, v232, v219
	v_dot4c_i32_i8 v146, v239, v219
	v_dot4c_i32_i8 v143, v225, v221
	ds_read2_b32 v[227:228], v235 offset0:4 offset1:5
	v_dot4c_i32_i8 v144, v229, v221
	v_dot4c_i32_i8 v145, v234, v220
	v_dot4c_i32_i8 v146, v240, v220
	;; [unrolled: 5-line block ×3, first 2 shown]
	ds_read2_b32 v[229:230], v237 offset0:4 offset1:5
	ds_read2_b32 v[235:236], v235 offset0:6 offset1:7
	v_dot4c_i32_i8 v145, v238, v222
	v_dot4c_i32_i8 v146, v242, v222
	ds_read_b128 v[219:222], v211 offset:16912
	ds_read2_b32 v[231:232], v231 offset0:6 offset1:7
	ds_read2_b32 v[233:234], v233 offset0:6 offset1:7
	;; [unrolled: 1-line block ×3, first 2 shown]
	s_waitcnt lgkmcnt(8)
	v_and_b32_e32 v239, 0xf0f0f0f, v223
	v_and_b32_e32 v243, 0xf0f0f0f, v224
	s_waitcnt lgkmcnt(7)
	v_and_b32_e32 v241, 0xf0f0f0f, v227
	v_and_b32_e32 v245, 0xf0f0f0f, v228
	v_lshrrev_b32_e32 v227, 4, v227
	v_lshrrev_b32_e32 v228, 4, v228
	s_waitcnt lgkmcnt(6)
	v_and_b32_e32 v240, 0xf0f0f0f, v225
	v_and_b32_e32 v244, 0xf0f0f0f, v226
	;; [unrolled: 1-line block ×4, first 2 shown]
	s_waitcnt lgkmcnt(5)
	v_and_b32_e32 v242, 0xf0f0f0f, v229
	v_and_b32_e32 v246, 0xf0f0f0f, v230
	s_waitcnt lgkmcnt(4)
	v_and_b32_e32 v249, 0xf0f0f0f, v235
	v_and_b32_e32 v253, 0xf0f0f0f, v236
	v_lshrrev_b32_e32 v229, 4, v229
	s_waitcnt lgkmcnt(3)
	v_dot4c_i32_i8 v197, v239, v219
	v_dot4c_i32_i8 v196, v240, v219
	v_dot4c_i32_i8 v195, v241, v219
	v_dot4c_i32_i8 v194, v242, v219
	s_waitcnt lgkmcnt(2)
	v_and_b32_e32 v247, 0xf0f0f0f, v231
	v_dot4c_i32_i8 v197, v243, v220
	v_dot4c_i32_i8 v196, v244, v220
	;; [unrolled: 1-line block ×4, first 2 shown]
	s_waitcnt lgkmcnt(1)
	v_and_b32_e32 v248, 0xf0f0f0f, v233
	s_waitcnt lgkmcnt(0)
	v_and_b32_e32 v250, 0xf0f0f0f, v237
	v_dot4c_i32_i8 v197, v247, v221
	v_dot4c_i32_i8 v195, v249, v221
	v_and_b32_e32 v251, 0xf0f0f0f, v232
	v_dot4c_i32_i8 v196, v248, v221
	v_dot4c_i32_i8 v194, v250, v221
	v_and_b32_e32 v252, 0xf0f0f0f, v234
	v_and_b32_e32 v254, 0xf0f0f0f, v238
	v_dot4c_i32_i8 v197, v251, v222
	v_dot4c_i32_i8 v195, v253, v222
	v_lshrrev_b32_e32 v230, 4, v230
	v_dot4c_i32_i8 v196, v252, v222
	v_dot4c_i32_i8 v194, v254, v222
	ds_read_b128 v[219:222], v212 offset:16912
	v_and_b32_e32 v229, 0xf0f0f0f, v229
	v_and_b32_e32 v230, 0xf0f0f0f, v230
	s_waitcnt lgkmcnt(0)
	v_dot4c_i32_i8 v184, v239, v219
	v_dot4c_i32_i8 v183, v240, v219
	v_dot4c_i32_i8 v182, v241, v219
	v_dot4c_i32_i8 v180, v242, v219
	v_dot4c_i32_i8 v184, v243, v220
	v_dot4c_i32_i8 v183, v244, v220
	v_dot4c_i32_i8 v182, v245, v220
	v_dot4c_i32_i8 v180, v246, v220
	v_dot4c_i32_i8 v184, v247, v221
	v_dot4c_i32_i8 v183, v248, v221
	v_dot4c_i32_i8 v182, v249, v221
	v_dot4c_i32_i8 v180, v250, v221
	v_dot4c_i32_i8 v184, v251, v222
	v_dot4c_i32_i8 v183, v252, v222
	v_dot4c_i32_i8 v182, v253, v222
	v_dot4c_i32_i8 v180, v254, v222
	ds_read_b128 v[219:222], v213 offset:16912
	s_waitcnt lgkmcnt(0)
	v_dot4c_i32_i8 v179, v239, v219
	v_dot4c_i32_i8 v178, v240, v219
	v_dot4c_i32_i8 v177, v241, v219
	v_dot4c_i32_i8 v176, v242, v219
	v_dot4c_i32_i8 v179, v243, v220
	v_dot4c_i32_i8 v178, v244, v220
	v_dot4c_i32_i8 v177, v245, v220
	v_dot4c_i32_i8 v176, v246, v220
	v_dot4c_i32_i8 v179, v247, v221
	v_dot4c_i32_i8 v178, v248, v221
	v_dot4c_i32_i8 v177, v249, v221
	v_dot4c_i32_i8 v176, v250, v221
	v_dot4c_i32_i8 v179, v251, v222
	v_dot4c_i32_i8 v178, v252, v222
	v_dot4c_i32_i8 v177, v253, v222
	v_dot4c_i32_i8 v176, v254, v222
	ds_read_b128 v[219:222], v214 offset:16912
	;; [unrolled: 18-line block ×6, first 2 shown]
	s_waitcnt lgkmcnt(0)
	v_dot4c_i32_i8 v14, v239, v219
	v_dot4c_i32_i8 v15, v240, v219
	v_dot4c_i32_i8 v16, v241, v219
	v_dot4c_i32_i8 v142, v242, v219
	v_lshrrev_b32_e32 v219, 4, v223
	v_dot4c_i32_i8 v14, v243, v220
	v_dot4c_i32_i8 v15, v244, v220
	v_dot4c_i32_i8 v16, v245, v220
	v_dot4c_i32_i8 v142, v246, v220
	v_lshrrev_b32_e32 v220, 4, v224
	;; [unrolled: 5-line block ×4, first 2 shown]
	v_lshrrev_b32_e32 v223, 4, v225
	v_lshrrev_b32_e32 v224, 4, v226
	;; [unrolled: 1-line block ×8, first 2 shown]
	v_and_b32_e32 v235, 0xf0f0f0f, v219
	v_and_b32_e32 v236, 0xf0f0f0f, v220
	;; [unrolled: 1-line block ×4, first 2 shown]
	ds_read_b128 v[219:222], v211 offset:16944
	v_and_b32_e32 v223, 0xf0f0f0f, v223
	v_and_b32_e32 v224, 0xf0f0f0f, v224
	;; [unrolled: 1-line block ×8, first 2 shown]
	s_waitcnt lgkmcnt(0)
	v_dot4c_i32_i8 v210, v235, v219
	v_dot4c_i32_i8 v209, v223, v219
	;; [unrolled: 1-line block ×16, first 2 shown]
	ds_read_b128 v[219:222], v212 offset:16944
	s_waitcnt lgkmcnt(0)
	v_dot4c_i32_i8 v206, v235, v219
	v_dot4c_i32_i8 v205, v223, v219
	;; [unrolled: 1-line block ×16, first 2 shown]
	ds_read_b128 v[219:222], v213 offset:16944
	ds_read_b128 v[211:214], v214 offset:16944
	s_waitcnt lgkmcnt(1)
	v_dot4c_i32_i8 v201, v223, v219
	s_waitcnt lgkmcnt(0)
	v_dot4c_i32_i8 v193, v235, v211
	v_dot4c_i32_i8 v192, v223, v211
	;; [unrolled: 1-line block ×19, first 2 shown]
	ds_read_b128 v[211:214], v215 offset:16944
	v_add3_u32 v215, s14, v126, v137
	v_dot4c_i32_i8 v201, v226, v222
	v_dot4c_i32_i8 v202, v235, v219
	v_dot4c_i32_i8 v199, v229, v219
	v_dot4c_i32_i8 v200, v228, v220
	v_dot4c_i32_i8 v202, v236, v220
	v_dot4c_i32_i8 v199, v230, v220
	v_dot4c_i32_i8 v200, v231, v221
	v_dot4c_i32_i8 v202, v237, v221
	v_dot4c_i32_i8 v199, v233, v221
	v_dot4c_i32_i8 v200, v232, v222
	v_dot4c_i32_i8 v202, v238, v222
	v_dot4c_i32_i8 v199, v234, v222
	s_waitcnt lgkmcnt(0)
	v_dot4c_i32_i8 v189, v235, v211
	v_dot4c_i32_i8 v188, v223, v211
	v_dot4c_i32_i8 v187, v227, v211
	v_dot4c_i32_i8 v186, v229, v211
	v_dot4c_i32_i8 v189, v236, v212
	v_dot4c_i32_i8 v188, v224, v212
	v_dot4c_i32_i8 v187, v228, v212
	v_dot4c_i32_i8 v186, v230, v212
	v_dot4c_i32_i8 v189, v237, v213
	v_dot4c_i32_i8 v188, v225, v213
	v_dot4c_i32_i8 v187, v231, v213
	v_dot4c_i32_i8 v186, v233, v213
	v_dot4c_i32_i8 v189, v238, v214
	v_dot4c_i32_i8 v188, v226, v214
	v_dot4c_i32_i8 v187, v232, v214
	v_dot4c_i32_i8 v186, v234, v214
	ds_read_b128 v[211:214], v216 offset:16944
	v_add3_u32 v216, s14, v125, v138
	s_waitcnt lgkmcnt(0)
	v_dot4c_i32_i8 v175, v235, v211
	v_dot4c_i32_i8 v174, v223, v211
	v_dot4c_i32_i8 v173, v227, v211
	v_dot4c_i32_i8 v172, v229, v211
	v_dot4c_i32_i8 v175, v236, v212
	v_dot4c_i32_i8 v174, v224, v212
	v_dot4c_i32_i8 v173, v228, v212
	v_dot4c_i32_i8 v172, v230, v212
	v_dot4c_i32_i8 v175, v237, v213
	v_dot4c_i32_i8 v174, v225, v213
	v_dot4c_i32_i8 v173, v231, v213
	v_dot4c_i32_i8 v172, v233, v213
	v_dot4c_i32_i8 v175, v238, v214
	v_dot4c_i32_i8 v174, v226, v214
	v_dot4c_i32_i8 v173, v232, v214
	v_dot4c_i32_i8 v172, v234, v214
	ds_read_b128 v[211:214], v217 offset:16944
	v_add3_u32 v217, s14, v124, v139
	;; [unrolled: 19-line block ×3, first 2 shown]
	s_mov_b32 s14, 8
	s_waitcnt lgkmcnt(0)
	v_dot4c_i32_i8 v143, v235, v211
	v_dot4c_i32_i8 v144, v223, v211
	;; [unrolled: 1-line block ×8, first 2 shown]
	v_lshrrev_b32_e32 v212, 1, v198
	ds_read_u16 v198, v215
	v_dot4c_i32_i8 v144, v225, v213
	v_dot4c_i32_i8 v143, v237, v213
	;; [unrolled: 1-line block ×5, first 2 shown]
	ds_read_b64 v[226:227], v212 offset:27200
	v_dot4c_i32_i8 v143, v238, v214
	v_dot4c_i32_i8 v145, v232, v214
	;; [unrolled: 1-line block ×3, first 2 shown]
	s_waitcnt lgkmcnt(1)
	v_and_b32_e32 v211, 0xff, v198
	v_and_b32_sdwa v198, v141, v198 dst_sel:DWORD dst_unused:UNUSED_PAD src0_sel:DWORD src1_sel:BYTE_1
	v_mul_lo_u32 v197, v197, v211
	v_mul_lo_u32 v210, v210, v198
	;; [unrolled: 1-line block ×8, first 2 shown]
	v_cvt_f32_i32_e32 v197, v197
	v_cvt_f32_i32_e32 v210, v210
	v_cvt_f32_i32_e32 v184, v184
	v_mul_lo_u32 v165, v165, v211
	v_cvt_f32_i32_e32 v179, v179
	s_waitcnt lgkmcnt(0)
	v_fma_mix_f32 v197, v226, v197, 0 op_sel_hi:[1,0,0]
	v_cvt_f32_i32_e32 v170, v170
	v_mul_lo_u32 v189, v189, v198
	v_mul_lo_u32 v175, v175, v198
	;; [unrolled: 1-line block ×3, first 2 shown]
	v_fma_mix_f32 v197, v227, v210, v197 op_sel_hi:[1,0,0]
	ds_read_u16 v210, v216
	v_cvt_f32_i32_e32 v165, v165
	v_mul_lo_u32 v160, v160, v211
	v_mul_lo_u32 v156, v156, v198
	;; [unrolled: 1-line block ×4, first 2 shown]
	v_cvt_f32_i32_e32 v160, v160
	v_cvt_f32_i32_e32 v156, v156
	;; [unrolled: 1-line block ×4, first 2 shown]
	s_waitcnt lgkmcnt(0)
	v_and_b32_e32 v212, 0xff, v210
	v_and_b32_sdwa v210, v141, v210 dst_sel:DWORD dst_unused:UNUSED_PAD src0_sel:DWORD src1_sel:BYTE_1
	v_mul_lo_u32 v196, v196, v212
	v_mul_lo_u32 v209, v209, v210
	;; [unrolled: 1-line block ×8, first 2 shown]
	v_cvt_f32_i32_e32 v196, v196
	v_cvt_f32_i32_e32 v209, v209
	;; [unrolled: 1-line block ×5, first 2 shown]
	v_fma_mix_f32 v196, v226, v196, 0 op_sel_hi:[1,0,0]
	v_cvt_f32_i32_e32 v164, v164
	v_cvt_f32_i32_e32 v150, v150
	;; [unrolled: 1-line block ×3, first 2 shown]
	v_mul_lo_u32 v159, v159, v212
	v_fma_mix_f32 v196, v227, v209, v196 op_sel_hi:[1,0,0]
	ds_read_u16 v209, v217
	v_mul_lo_u32 v15, v15, v212
	v_mul_lo_u32 v144, v144, v210
	v_cvt_f32_i32_e32 v159, v159
	v_cvt_f32_i32_e32 v15, v15
	s_waitcnt lgkmcnt(0)
	v_and_b32_e32 v213, 0xff, v209
	v_and_b32_sdwa v209, v141, v209 dst_sel:DWORD dst_unused:UNUSED_PAD src0_sel:DWORD src1_sel:BYTE_1
	v_mul_lo_u32 v195, v195, v213
	v_mul_lo_u32 v208, v208, v209
	;; [unrolled: 1-line block ×8, first 2 shown]
	v_cvt_f32_i32_e32 v195, v195
	v_cvt_f32_i32_e32 v208, v208
	;; [unrolled: 1-line block ×5, first 2 shown]
	v_fma_mix_f32 v195, v226, v195, 0 op_sel_hi:[1,0,0]
	v_cvt_f32_i32_e32 v163, v163
	v_cvt_f32_i32_e32 v149, v149
	;; [unrolled: 1-line block ×3, first 2 shown]
	v_mul_lo_u32 v158, v158, v213
	v_fma_mix_f32 v195, v227, v208, v195 op_sel_hi:[1,0,0]
	ds_read_u16 v208, v218
	v_mul_lo_u32 v16, v16, v213
	v_mul_lo_u32 v145, v145, v209
	v_cvt_f32_i32_e32 v158, v158
	v_cvt_f32_i32_e32 v16, v16
	s_waitcnt lgkmcnt(0)
	v_and_b32_e32 v214, 0xff, v208
	v_and_b32_sdwa v208, v141, v208 dst_sel:DWORD dst_unused:UNUSED_PAD src0_sel:DWORD src1_sel:BYTE_1
	v_mul_lo_u32 v194, v194, v214
	v_mul_lo_u32 v207, v207, v208
	;; [unrolled: 1-line block ×8, first 2 shown]
	v_cvt_f32_i32_e32 v194, v194
	v_cvt_f32_i32_e32 v207, v207
	;; [unrolled: 1-line block ×5, first 2 shown]
	v_fma_mix_f32 v194, v226, v194, 0 op_sel_hi:[1,0,0]
	v_cvt_f32_i32_e32 v162, v162
	v_cvt_f32_i32_e32 v147, v147
	;; [unrolled: 1-line block ×3, first 2 shown]
	v_mul_lo_u32 v157, v157, v214
	v_fma_mix_f32 v194, v227, v207, v194 op_sel_hi:[1,0,0]
	ds_read_u8 v207, v215 offset:8
	ds_read_u8 v215, v215 offset:9
	ds_read_u16 v216, v216 offset:8
	ds_read_u16 v217, v217 offset:8
	;; [unrolled: 1-line block ×3, first 2 shown]
	v_mul_lo_u32 v142, v142, v214
	v_mul_lo_u32 v146, v146, v208
	v_cvt_f32_i32_e32 v157, v157
	v_cvt_f32_i32_e32 v142, v142
	s_waitcnt lgkmcnt(4)
	v_cvt_f32_ubyte0_e32 v219, v207
	s_waitcnt lgkmcnt(3)
	v_cvt_f32_ubyte0_e32 v220, v215
	;; [unrolled: 2-line block ×5, first 2 shown]
	v_cvt_f32_ubyte1_e32 v222, v216
	v_cvt_f32_ubyte1_e32 v224, v217
	;; [unrolled: 1-line block ×3, first 2 shown]
	v_fma_mix_f32 v207, v226, v219, 0 op_sel:[1,0,0] op_sel_hi:[1,0,0]
	v_fma_mix_f32 v215, v226, v221, 0 op_sel:[1,0,0] op_sel_hi:[1,0,0]
	;; [unrolled: 1-line block ×8, first 2 shown]
	ds_read_b64 v[226:227], v185 offset:27200
	v_cvt_f32_i32_e32 v185, v206
	s_waitcnt lgkmcnt(0)
	v_fma_mix_f32 v184, v184, v226, 0 op_sel_hi:[0,1,0]
	v_fma_mix_f32 v183, v183, v226, 0 op_sel_hi:[0,1,0]
	;; [unrolled: 1-line block ×5, first 2 shown]
	v_mul_lo_u32 v185, v205, v210
	v_fma_mix_f32 v205, v225, v226, 0 op_sel:[0,1,0] op_sel_hi:[0,1,0]
	v_fma_mix_f32 v205, v218, v227, v205 op_sel:[0,1,0] op_sel_hi:[0,1,0]
	v_cvt_f32_i32_e32 v185, v185
	v_fma_mix_f32 v183, v185, v227, v183 op_sel_hi:[0,1,0]
	v_mul_lo_u32 v185, v204, v209
	v_fma_mix_f32 v204, v223, v226, 0 op_sel:[0,1,0] op_sel_hi:[0,1,0]
	v_fma_mix_f32 v204, v224, v227, v204 op_sel:[0,1,0] op_sel_hi:[0,1,0]
	v_cvt_f32_i32_e32 v185, v185
	v_fma_mix_f32 v182, v185, v227, v182 op_sel_hi:[0,1,0]
	;; [unrolled: 5-line block ×3, first 2 shown]
	v_fma_mix_f32 v185, v219, v226, 0 op_sel:[0,1,0] op_sel_hi:[0,1,0]
	v_fma_mix_f32 v185, v220, v227, v185 op_sel:[0,1,0] op_sel_hi:[0,1,0]
	ds_read_b64 v[226:227], v181 offset:27200
	v_cvt_f32_i32_e32 v181, v202
	s_waitcnt lgkmcnt(0)
	v_fma_mix_f32 v179, v179, v226, 0 op_sel_hi:[0,1,0]
	v_fma_mix_f32 v178, v178, v226, 0 op_sel_hi:[0,1,0]
	;; [unrolled: 1-line block ×5, first 2 shown]
	v_mul_lo_u32 v181, v201, v210
	v_fma_mix_f32 v201, v225, v226, 0 op_sel:[0,1,0] op_sel_hi:[0,1,0]
	v_fma_mix_f32 v201, v218, v227, v201 op_sel:[0,1,0] op_sel_hi:[0,1,0]
	v_cvt_f32_i32_e32 v181, v181
	v_fma_mix_f32 v178, v181, v227, v178 op_sel_hi:[0,1,0]
	v_mul_lo_u32 v181, v200, v209
	v_fma_mix_f32 v200, v223, v226, 0 op_sel:[0,1,0] op_sel_hi:[0,1,0]
	v_fma_mix_f32 v200, v224, v227, v200 op_sel:[0,1,0] op_sel_hi:[0,1,0]
	v_cvt_f32_i32_e32 v181, v181
	v_fma_mix_f32 v177, v181, v227, v177 op_sel_hi:[0,1,0]
	;; [unrolled: 5-line block ×3, first 2 shown]
	v_fma_mix_f32 v181, v219, v226, 0 op_sel:[0,1,0] op_sel_hi:[0,1,0]
	v_fma_mix_f32 v181, v220, v227, v181 op_sel:[0,1,0] op_sel_hi:[0,1,0]
	ds_read_b64 v[226:227], v171 offset:27200
	v_cvt_f32_i32_e32 v171, v193
	v_mul_f32_e32 v181, v181, v4
	v_fma_f32 v179, v179, v3, -v181
	v_mul_f32_e32 v181, v199, v5
	v_add_f32_e32 v42, v42, v179
	v_fma_f32 v178, v178, v9, -v181
	v_mul_f32_e32 v181, v200, v10
	s_waitcnt lgkmcnt(0)
	v_fma_mix_f32 v170, v170, v226, 0 op_sel_hi:[0,1,0]
	v_fma_mix_f32 v169, v169, v226, 0 op_sel_hi:[0,1,0]
	;; [unrolled: 1-line block ×4, first 2 shown]
	v_fma_f32 v177, v177, v11, -v181
	v_fma_mix_f32 v170, v171, v227, v170 op_sel_hi:[0,1,0]
	v_mul_lo_u32 v171, v192, v210
	v_fma_mix_f32 v192, v225, v226, 0 op_sel:[0,1,0] op_sel_hi:[0,1,0]
	v_mul_f32_e32 v181, v201, v12
	v_add_f32_e32 v41, v41, v178
	v_add_f32_e32 v39, v39, v177
	v_fma_mix_f32 v192, v218, v227, v192 op_sel:[0,1,0] op_sel_hi:[0,1,0]
	v_fma_f32 v176, v176, v13, -v181
	v_cvt_f32_i32_e32 v171, v171
	v_add_f32_e32 v38, v38, v176
	v_fma_mix_f32 v169, v171, v227, v169 op_sel_hi:[0,1,0]
	v_mul_lo_u32 v171, v191, v209
	v_fma_mix_f32 v191, v223, v226, 0 op_sel:[0,1,0] op_sel_hi:[0,1,0]
	v_fma_mix_f32 v191, v224, v227, v191 op_sel:[0,1,0] op_sel_hi:[0,1,0]
	v_cvt_f32_i32_e32 v171, v171
	v_fma_mix_f32 v168, v171, v227, v168 op_sel_hi:[0,1,0]
	v_mul_lo_u32 v171, v190, v208
	v_fma_mix_f32 v190, v221, v226, 0 op_sel:[0,1,0] op_sel_hi:[0,1,0]
	v_fma_mix_f32 v190, v222, v227, v190 op_sel:[0,1,0] op_sel_hi:[0,1,0]
	v_cvt_f32_i32_e32 v171, v171
	v_fma_mix_f32 v166, v171, v227, v166 op_sel_hi:[0,1,0]
	v_fma_mix_f32 v171, v219, v226, 0 op_sel:[0,1,0] op_sel_hi:[0,1,0]
	v_fma_mix_f32 v171, v220, v227, v171 op_sel:[0,1,0] op_sel_hi:[0,1,0]
	ds_read_b64 v[226:227], v167 offset:27200
	v_cvt_f32_i32_e32 v167, v189
	v_mul_f32_e32 v171, v171, v4
	v_fma_f32 v170, v170, v3, -v171
	v_mul_f32_e32 v171, v190, v5
	v_add_f32_e32 v37, v37, v170
	v_fma_f32 v169, v169, v9, -v171
	v_mul_f32_e32 v171, v191, v10
	s_waitcnt lgkmcnt(0)
	v_fma_mix_f32 v165, v165, v226, 0 op_sel_hi:[0,1,0]
	v_fma_mix_f32 v164, v164, v226, 0 op_sel_hi:[0,1,0]
	;; [unrolled: 1-line block ×4, first 2 shown]
	v_fma_f32 v168, v168, v11, -v171
	v_fma_mix_f32 v165, v167, v227, v165 op_sel_hi:[0,1,0]
	v_mul_lo_u32 v167, v188, v210
	v_fma_mix_f32 v188, v225, v226, 0 op_sel:[0,1,0] op_sel_hi:[0,1,0]
	v_mul_f32_e32 v171, v192, v12
	v_add_f32_e32 v36, v36, v169
	v_add_f32_e32 v34, v34, v168
	v_fma_mix_f32 v188, v218, v227, v188 op_sel:[0,1,0] op_sel_hi:[0,1,0]
	v_fma_f32 v166, v166, v13, -v171
	v_cvt_f32_i32_e32 v167, v167
	v_add_f32_e32 v33, v33, v166
	v_fma_mix_f32 v164, v167, v227, v164 op_sel_hi:[0,1,0]
	v_mul_lo_u32 v167, v187, v209
	v_fma_mix_f32 v187, v223, v226, 0 op_sel:[0,1,0] op_sel_hi:[0,1,0]
	v_fma_mix_f32 v187, v224, v227, v187 op_sel:[0,1,0] op_sel_hi:[0,1,0]
	v_cvt_f32_i32_e32 v167, v167
	v_fma_mix_f32 v163, v167, v227, v163 op_sel_hi:[0,1,0]
	v_mul_lo_u32 v167, v186, v208
	v_fma_mix_f32 v186, v221, v226, 0 op_sel:[0,1,0] op_sel_hi:[0,1,0]
	v_fma_mix_f32 v186, v222, v227, v186 op_sel:[0,1,0] op_sel_hi:[0,1,0]
	v_cvt_f32_i32_e32 v167, v167
	v_fma_mix_f32 v162, v167, v227, v162 op_sel_hi:[0,1,0]
	v_fma_mix_f32 v167, v219, v226, 0 op_sel:[0,1,0] op_sel_hi:[0,1,0]
	v_fma_mix_f32 v167, v220, v227, v167 op_sel:[0,1,0] op_sel_hi:[0,1,0]
	ds_read_b64 v[226:227], v161 offset:27200
	v_cvt_f32_i32_e32 v161, v175
	v_cvt_f32_i32_e32 v175, v154
	ds_read_b64 v[154:155], v155 offset:27200
	v_mul_f32_e32 v167, v167, v4
	v_fma_f32 v165, v165, v3, -v167
	v_mul_f32_e32 v167, v186, v5
	v_add_f32_e32 v32, v32, v165
	v_fma_f32 v164, v164, v9, -v167
	v_mul_f32_e32 v167, v187, v10
	s_waitcnt lgkmcnt(1)
	v_fma_mix_f32 v160, v160, v226, 0 op_sel_hi:[0,1,0]
	v_fma_mix_f32 v159, v159, v226, 0 op_sel_hi:[0,1,0]
	;; [unrolled: 1-line block ×3, first 2 shown]
	s_waitcnt lgkmcnt(0)
	v_fma_mix_f32 v147, v147, v154, 0 op_sel_hi:[0,1,0]
	v_fma_mix_f32 v149, v149, v154, 0 op_sel_hi:[0,1,0]
	;; [unrolled: 1-line block ×6, first 2 shown]
	v_fma_mix_f32 v147, v219, v154, 0 op_sel:[0,1,0] op_sel_hi:[0,1,0]
	v_fma_mix_f32 v149, v152, v155, v149 op_sel_hi:[0,1,0]
	v_fma_mix_f32 v150, v153, v155, v150 op_sel_hi:[0,1,0]
	v_mul_lo_u32 v161, v174, v210
	v_fma_mix_f32 v156, v156, v155, v175 op_sel_hi:[0,1,0]
	v_fma_mix_f32 v152, v220, v155, v147 op_sel:[0,1,0] op_sel_hi:[0,1,0]
	v_fma_mix_f32 v147, v221, v154, 0 op_sel:[0,1,0] op_sel_hi:[0,1,0]
	v_fma_mix_f32 v157, v157, v226, 0 op_sel_hi:[0,1,0]
	v_fma_mix_f32 v174, v225, v226, 0 op_sel:[0,1,0] op_sel_hi:[0,1,0]
	v_fma_f32 v163, v163, v11, -v167
	v_mul_f32_e32 v167, v188, v12
	v_fma_mix_f32 v153, v222, v155, v147 op_sel:[0,1,0] op_sel_hi:[0,1,0]
	v_fma_mix_f32 v147, v223, v154, 0 op_sel:[0,1,0] op_sel_hi:[0,1,0]
	v_cvt_f32_i32_e32 v161, v161
	v_fma_mix_f32 v174, v218, v227, v174 op_sel:[0,1,0] op_sel_hi:[0,1,0]
	v_mul_f32_e32 v152, v152, v4
	v_mul_f32_e32 v153, v153, v5
	v_fma_mix_f32 v175, v224, v155, v147 op_sel:[0,1,0] op_sel_hi:[0,1,0]
	v_fma_mix_f32 v147, v225, v154, 0 op_sel:[0,1,0] op_sel_hi:[0,1,0]
	v_fma_mix_f32 v159, v161, v227, v159 op_sel_hi:[0,1,0]
	v_mul_lo_u32 v161, v173, v209
	v_fma_f32 v150, v150, v9, -v153
	v_mul_f32_e32 v153, v175, v10
	v_fma_mix_f32 v154, v218, v155, v147 op_sel:[0,1,0] op_sel_hi:[0,1,0]
	v_lshrrev_b32_e32 v147, 1, v148
	v_fma_mix_f32 v173, v223, v226, 0 op_sel:[0,1,0] op_sel_hi:[0,1,0]
	v_fma_f32 v162, v162, v13, -v167
	v_fma_f32 v149, v149, v11, -v153
	v_cvt_f32_i32_e32 v161, v161
	ds_read_b64 v[147:148], v147 offset:27200
	v_mul_f32_e32 v153, v154, v12
	v_fma_mix_f32 v173, v224, v227, v173 op_sel:[0,1,0] op_sel_hi:[0,1,0]
	v_fma_f32 v152, v156, v3, -v152
	v_fma_mix_f32 v158, v161, v227, v158 op_sel_hi:[0,1,0]
	v_mul_lo_u32 v161, v172, v208
	v_fma_mix_f32 v172, v221, v226, 0 op_sel:[0,1,0] op_sel_hi:[0,1,0]
	v_fma_f32 v151, v151, v13, -v153
	v_add_f32_e32 v31, v31, v164
	v_add_f32_e32 v30, v30, v163
	;; [unrolled: 1-line block ×3, first 2 shown]
	v_fma_mix_f32 v172, v222, v227, v172 op_sel:[0,1,0] op_sel_hi:[0,1,0]
	v_add_f32_e32 v24, v24, v152
	v_cvt_f32_i32_e32 v161, v161
	v_add_f32_e32 v23, v23, v150
	v_add_f32_e32 v22, v22, v149
	;; [unrolled: 1-line block ×3, first 2 shown]
	v_fma_mix_f32 v157, v161, v227, v157 op_sel_hi:[0,1,0]
	v_fma_mix_f32 v161, v219, v226, 0 op_sel:[0,1,0] op_sel_hi:[0,1,0]
	s_waitcnt lgkmcnt(0)
	v_fma_mix_f32 v14, v14, v147, 0 op_sel_hi:[0,1,0]
	v_fma_mix_f32 v155, v219, v147, 0 op_sel:[0,1,0] op_sel_hi:[0,1,0]
	v_fma_mix_f32 v15, v15, v147, 0 op_sel_hi:[0,1,0]
	v_fma_mix_f32 v189, v221, v147, 0 op_sel:[0,1,0] op_sel_hi:[0,1,0]
	v_fma_mix_f32 v161, v220, v227, v161 op_sel:[0,1,0] op_sel_hi:[0,1,0]
	v_fma_mix_f32 v14, v143, v148, v14 op_sel_hi:[0,1,0]
	v_cvt_f32_i32_e32 v143, v144
	v_fma_mix_f32 v155, v220, v148, v155 op_sel:[0,1,0] op_sel_hi:[0,1,0]
	v_fma_mix_f32 v16, v16, v147, 0 op_sel_hi:[0,1,0]
	v_fma_mix_f32 v189, v222, v148, v189 op_sel:[0,1,0] op_sel_hi:[0,1,0]
	v_fma_mix_f32 v193, v223, v147, 0 op_sel:[0,1,0] op_sel_hi:[0,1,0]
	v_fma_mix_f32 v15, v143, v148, v15 op_sel_hi:[0,1,0]
	v_cvt_f32_i32_e32 v143, v145
	v_fma_mix_f32 v202, v225, v147, 0 op_sel:[0,1,0] op_sel_hi:[0,1,0]
	v_fma_mix_f32 v142, v142, v147, 0 op_sel_hi:[0,1,0]
	v_mul_f32_e32 v161, v161, v4
	v_mul_f32_e32 v153, v155, v4
	v_fma_mix_f32 v16, v143, v148, v16 op_sel_hi:[0,1,0]
	v_cvt_f32_i32_e32 v143, v146
	v_fma_mix_f32 v193, v224, v148, v193 op_sel:[0,1,0] op_sel_hi:[0,1,0]
	v_fma_mix_f32 v202, v218, v148, v202 op_sel:[0,1,0] op_sel_hi:[0,1,0]
	v_fma_f32 v160, v160, v3, -v161
	v_mul_f32_e32 v161, v172, v5
	v_fma_mix_f32 v142, v143, v148, v142 op_sel_hi:[0,1,0]
	v_mul_f32_e32 v148, v203, v5
	v_fma_f32 v14, v14, v3, -v153
	v_mul_f32_e32 v153, v189, v5
	v_fma_f32 v159, v159, v9, -v161
	;; [unrolled: 2-line block ×4, first 2 shown]
	v_mul_f32_e32 v153, v193, v10
	v_mul_f32_e32 v143, v207, v4
	;; [unrolled: 1-line block ×6, first 2 shown]
	v_fma_f32 v182, v182, v11, -v183
	v_mul_f32_e32 v183, v205, v12
	v_fma_f32 v158, v158, v11, -v161
	v_mul_f32_e32 v161, v174, v12
	;; [unrolled: 2-line block ×3, first 2 shown]
	v_fma_f32 v143, v197, v3, -v143
	v_fma_f32 v144, v196, v9, -v144
	;; [unrolled: 1-line block ×8, first 2 shown]
	v_add_f32_e32 v88, v88, v143
	v_add_f32_e32 v81, v81, v144
	;; [unrolled: 1-line block ×16, first 2 shown]
	s_cbranch_vccnz .LBB171_6
; %bb.7:                                ;   in Loop: Header=BB171_5 Depth=1
	v_add_nc_u32_e32 v5, s0, v103
	v_add_nc_u32_e32 v2, 4, v2
	s_barrier
	buffer_gl0_inv
	v_add_nc_u32_e32 v3, v5, v95
	v_add_nc_u32_e32 v9, v5, v96
	;; [unrolled: 1-line block ×5, first 2 shown]
	v_mad_u64_u32 v[142:143], null, v2, 36, s[2:3]
	v_mad_i64_i32 v[3:4], null, v3, 36, v[7:8]
	v_add_nc_u32_e32 v144, v5, v100
	v_mad_i64_i32 v[9:10], null, v9, 36, v[7:8]
	v_add_nc_u32_e32 v146, v5, v101
	;; [unrolled: 2-line block ×3, first 2 shown]
	v_mad_i64_i32 v[13:14], null, v13, 36, v[7:8]
	v_mad_i64_i32 v[15:16], null, v15, 36, v[7:8]
	v_mad_i64_i32 v[144:145], null, v144, 36, v[7:8]
	v_mad_i64_i32 v[146:147], null, v146, 36, v[7:8]
	v_mad_i64_i32 v[148:149], null, v2, 36, v[7:8]
	s_clause 0x8
	global_load_dword v2, v[142:143], off
	global_load_dword v3, v[3:4], off offset:4
	global_load_dword v4, v[9:10], off offset:4
	;; [unrolled: 1-line block ×8, first 2 shown]
	v_mov_b32_e32 v142, v121
	v_mov_b32_e32 v143, v120
	;; [unrolled: 1-line block ×3, first 2 shown]
	s_mov_b32 s0, 16
	s_mov_b32 s14, 0
	s_waitcnt vmcnt(8)
	ds_write_b32 v93, v2
	s_waitcnt vmcnt(7)
	ds_write_b32 v129, v3
	;; [unrolled: 2-line block ×9, first 2 shown]
	s_waitcnt lgkmcnt(0)
	s_barrier
	buffer_gl0_inv
	ds_read_b32 v2, v104
	ds_read_b32 v3, v105 offset:128
	ds_read_b32 v4, v106 offset:256
	;; [unrolled: 1-line block ×3, first 2 shown]
	s_waitcnt lgkmcnt(3)
	v_cvt_f32_f16_e32 v144, v2
	v_cvt_f32_f16_sdwa v145, v2 dst_sel:DWORD dst_unused:UNUSED_PAD src0_sel:WORD_1
	s_waitcnt lgkmcnt(2)
	v_cvt_f32_f16_sdwa v146, v3 dst_sel:DWORD dst_unused:UNUSED_PAD src0_sel:WORD_1
	v_cvt_f32_f16_e32 v147, v3
	s_waitcnt lgkmcnt(1)
	v_cvt_f32_f16_sdwa v148, v4 dst_sel:DWORD dst_unused:UNUSED_PAD src0_sel:WORD_1
	v_cvt_f32_f16_e32 v149, v4
	;; [unrolled: 3-line block ×3, first 2 shown]
.LBB171_8:                              ;   Parent Loop BB171_5 Depth=1
                                        ; =>  This Inner Loop Header: Depth=2
	v_add_nc_u32_e32 v4, 0x1080, v152
	v_add_nc_u32_e32 v9, 0x2100, v152
	;; [unrolled: 1-line block ×3, first 2 shown]
	ds_read2_b32 v[2:3], v152 offset1:1
	ds_read2_b32 v[13:14], v152 offset0:2 offset1:3
	ds_read2_b32 v[4:5], v4 offset1:1
	ds_read2_b32 v[9:10], v9 offset1:1
	ds_read2_b32 v[11:12], v11 offset1:1
	ds_read_b128 v[153:156], v142
	ds_read_b128 v[185:188], v142 offset:6144
	v_add_nc_u32_e32 v15, 0x1088, v152
	v_mov_b32_e32 v196, 0
	v_mov_b32_e32 v195, 0
	;; [unrolled: 1-line block ×4, first 2 shown]
	ds_read2_b32 v[15:16], v15 offset1:1
	v_mov_b32_e32 v200, 0
	v_mov_b32_e32 v199, 0
	;; [unrolled: 1-line block ×7, first 2 shown]
	s_waitcnt lgkmcnt(7)
	v_and_b32_e32 v157, 0xf0f0f0f, v2
	v_and_b32_e32 v177, 0xf0f0f0f, v3
	s_waitcnt lgkmcnt(5)
	v_and_b32_e32 v158, 0xf0f0f0f, v4
	s_waitcnt lgkmcnt(4)
	;; [unrolled: 2-line block ×4, first 2 shown]
	v_dot4c_i32_i8 v196, v157, v153
	v_and_b32_e32 v181, 0xf0f0f0f, v5
	v_dot4c_i32_i8 v195, v158, v153
	v_dot4c_i32_i8 v194, v159, v153
	;; [unrolled: 1-line block ×3, first 2 shown]
	v_add_nc_u32_e32 v153, 0x2108, v152
	v_and_b32_e32 v182, 0xf0f0f0f, v10
	v_and_b32_e32 v183, 0xf0f0f0f, v12
	v_dot4c_i32_i8 v196, v177, v154
	v_and_b32_e32 v178, 0xf0f0f0f, v13
	ds_read2_b32 v[189:190], v153 offset1:1
	v_add_nc_u32_e32 v153, 0x3188, v152
	v_dot4c_i32_i8 v195, v181, v154
	v_dot4c_i32_i8 v194, v182, v154
	;; [unrolled: 1-line block ×3, first 2 shown]
	s_waitcnt lgkmcnt(1)
	v_and_b32_e32 v184, 0xf0f0f0f, v15
	ds_read2_b32 v[191:192], v153 offset1:1
	v_dot4c_i32_i8 v196, v178, v155
	v_and_b32_e32 v180, 0xf0f0f0f, v14
	v_and_b32_e32 v203, 0xf0f0f0f, v16
	v_dot4c_i32_i8 v195, v184, v155
	v_mov_b32_e32 v168, 0
	v_mov_b32_e32 v176, 0
	v_dot4c_i32_i8 v196, v180, v156
	v_mov_b32_e32 v174, 0
	v_dot4c_i32_i8 v195, v203, v156
	v_mov_b32_e32 v171, 0
	v_mov_b32_e32 v169, 0
	;; [unrolled: 1-line block ×4, first 2 shown]
	s_waitcnt lgkmcnt(1)
	v_and_b32_e32 v201, 0xf0f0f0f, v189
	v_and_b32_e32 v204, 0xf0f0f0f, v190
	v_mov_b32_e32 v163, 0
	v_mov_b32_e32 v161, 0
	;; [unrolled: 1-line block ×3, first 2 shown]
	v_dot4c_i32_i8 v194, v201, v155
	s_waitcnt lgkmcnt(0)
	v_and_b32_e32 v202, 0xf0f0f0f, v191
	v_and_b32_e32 v205, 0xf0f0f0f, v192
	v_mov_b32_e32 v166, 0
	v_mov_b32_e32 v164, 0
	v_dot4c_i32_i8 v194, v204, v156
	v_dot4c_i32_i8 v193, v202, v155
	ds_read_b128 v[208:211], v142 offset:7200
	v_mov_b32_e32 v162, 0
	v_mov_b32_e32 v160, 0
	v_lshrrev_b32_e32 v2, 4, v2
	v_dot4c_i32_i8 v193, v205, v156
	ds_read_b128 v[153:156], v142 offset:1024
	v_lshrrev_b32_e32 v4, 4, v4
	v_lshrrev_b32_e32 v3, 4, v3
	;; [unrolled: 1-line block ×7, first 2 shown]
	v_and_b32_e32 v212, 0xf0f0f0f, v2
	v_mov_b32_e32 v2, 0
	v_and_b32_e32 v4, 0xf0f0f0f, v4
	v_mov_b32_e32 v206, 0
	v_and_b32_e32 v3, 0xf0f0f0f, v3
	v_and_b32_e32 v213, 0xf0f0f0f, v13
	;; [unrolled: 1-line block ×6, first 2 shown]
	v_mov_b32_e32 v207, 0
	s_lshr_b32 s15, s0, 2
	s_waitcnt lgkmcnt(0)
	v_dot4c_i32_i8 v200, v157, v153
	v_dot4c_i32_i8 v199, v158, v153
	;; [unrolled: 1-line block ×4, first 2 shown]
	s_and_b32 s15, s15, 0x3ffffffc
	v_dot4c_i32_i8 v200, v177, v154
	v_dot4c_i32_i8 v199, v181, v154
	;; [unrolled: 1-line block ×4, first 2 shown]
	s_add_i32 s0, s0, 8
	v_dot4c_i32_i8 v200, v178, v155
	v_dot4c_i32_i8 v199, v184, v155
	;; [unrolled: 1-line block ×4, first 2 shown]
	ds_read_b128 v[13:16], v142 offset:6176
	v_dot4c_i32_i8 v200, v180, v156
	v_dot4c_i32_i8 v199, v203, v156
	v_dot4c_i32_i8 v198, v204, v156
	v_dot4c_i32_i8 v197, v205, v156
	ds_read_b128 v[153:156], v142 offset:2048
	s_waitcnt lgkmcnt(0)
	v_dot4c_i32_i8 v175, v157, v153
	v_dot4c_i32_i8 v172, v158, v153
	v_dot4c_i32_i8 v170, v159, v153
	v_dot4c_i32_i8 v168, v179, v153
	v_dot4c_i32_i8 v175, v177, v154
	v_dot4c_i32_i8 v172, v181, v154
	v_dot4c_i32_i8 v170, v182, v154
	v_dot4c_i32_i8 v168, v183, v154
	v_dot4c_i32_i8 v175, v178, v155
	v_dot4c_i32_i8 v172, v184, v155
	v_dot4c_i32_i8 v170, v201, v155
	v_dot4c_i32_i8 v168, v202, v155
	v_dot4c_i32_i8 v175, v180, v156
	v_dot4c_i32_i8 v172, v203, v156
	v_dot4c_i32_i8 v170, v204, v156
	v_dot4c_i32_i8 v168, v205, v156
	ds_read_b128 v[153:156], v142 offset:3072
	s_waitcnt lgkmcnt(0)
	v_dot4c_i32_i8 v176, v157, v153
	v_dot4c_i32_i8 v174, v158, v153
	v_dot4c_i32_i8 v171, v159, v153
	v_dot4c_i32_i8 v169, v179, v153
	v_dot4c_i32_i8 v176, v177, v154
	v_dot4c_i32_i8 v174, v181, v154
	v_dot4c_i32_i8 v171, v182, v154
	v_dot4c_i32_i8 v169, v183, v154
	v_dot4c_i32_i8 v176, v178, v155
	v_dot4c_i32_i8 v174, v184, v155
	v_dot4c_i32_i8 v171, v201, v155
	v_dot4c_i32_i8 v169, v202, v155
	;; [unrolled: 18-line block ×3, first 2 shown]
	v_dot4c_i32_i8 v167, v180, v156
	v_dot4c_i32_i8 v165, v203, v156
	;; [unrolled: 1-line block ×4, first 2 shown]
	ds_read_b128 v[153:156], v142 offset:5120
	s_waitcnt lgkmcnt(0)
	v_dot4c_i32_i8 v173, v157, v153
	v_dot4c_i32_i8 v166, v158, v153
	v_dot4c_i32_i8 v164, v159, v153
	v_dot4c_i32_i8 v162, v179, v153
	v_mov_b32_e32 v153, 0
	v_dot4c_i32_i8 v173, v177, v154
	v_dot4c_i32_i8 v166, v181, v154
	v_dot4c_i32_i8 v164, v182, v154
	v_dot4c_i32_i8 v162, v183, v154
	v_mov_b32_e32 v154, 0
	;; [unrolled: 5-line block ×4, first 2 shown]
	v_dot4c_i32_i8 v153, v158, v185
	v_dot4c_i32_i8 v154, v159, v185
	v_dot4c_i32_i8 v155, v179, v185
	v_dot4c_i32_i8 v156, v157, v185
	v_dot4c_i32_i8 v153, v181, v186
	v_dot4c_i32_i8 v154, v182, v186
	v_dot4c_i32_i8 v155, v183, v186
	v_dot4c_i32_i8 v156, v177, v186
	v_dot4c_i32_i8 v153, v184, v187
	v_dot4c_i32_i8 v154, v201, v187
	v_dot4c_i32_i8 v155, v202, v187
	v_dot4c_i32_i8 v156, v178, v187
	v_dot4c_i32_i8 v153, v203, v188
	v_dot4c_i32_i8 v154, v204, v188
	v_dot4c_i32_i8 v155, v205, v188
	v_dot4c_i32_i8 v156, v180, v188
	ds_read_b128 v[185:188], v142 offset:7168
	s_waitcnt lgkmcnt(0)
	v_dot4c_i32_i8 v160, v157, v185
	v_mov_b32_e32 v157, 0
	v_dot4c_i32_i8 v160, v177, v186
	v_dot4c_i32_i8 v157, v158, v185
	v_mov_b32_e32 v158, 0
	v_lshrrev_b32_e32 v177, 4, v9
	v_dot4c_i32_i8 v160, v178, v187
	v_dot4c_i32_i8 v157, v181, v186
	;; [unrolled: 1-line block ×3, first 2 shown]
	v_lshrrev_b32_e32 v178, 4, v10
	v_lshrrev_b32_e32 v181, 4, v11
	v_mov_b32_e32 v159, 0
	v_and_b32_e32 v217, 0xf0f0f0f, v177
	v_dot4c_i32_i8 v158, v182, v186
	v_lshrrev_b32_e32 v182, 4, v12
	ds_read_b128 v[9:12], v142 offset:32
	v_dot4c_i32_i8 v159, v179, v185
	v_and_b32_e32 v221, 0xf0f0f0f, v181
	v_dot4c_i32_i8 v158, v201, v187
	v_mov_b32_e32 v201, 0
	v_lshrrev_b32_e32 v179, 4, v189
	v_dot4c_i32_i8 v159, v183, v186
	v_lshrrev_b32_e32 v183, 4, v191
	v_dot4c_i32_i8 v158, v204, v188
	v_mov_b32_e32 v204, 0
	v_and_b32_e32 v218, 0xf0f0f0f, v178
	v_and_b32_e32 v222, 0xf0f0f0f, v182
	v_dot4c_i32_i8 v157, v184, v187
	v_dot4c_i32_i8 v160, v180, v188
	v_lshrrev_b32_e32 v180, 4, v190
	v_lshrrev_b32_e32 v184, 4, v192
	v_and_b32_e32 v219, 0xf0f0f0f, v179
	v_and_b32_e32 v223, 0xf0f0f0f, v183
	v_dot4c_i32_i8 v159, v202, v187
	v_and_b32_e32 v220, 0xf0f0f0f, v180
	s_waitcnt lgkmcnt(0)
	v_dot4c_i32_i8 v2, v212, v9
	v_dot4c_i32_i8 v206, v4, v9
	;; [unrolled: 1-line block ×4, first 2 shown]
	v_and_b32_e32 v224, 0xf0f0f0f, v184
	v_dot4c_i32_i8 v2, v3, v10
	v_dot4c_i32_i8 v206, v5, v10
	;; [unrolled: 1-line block ×14, first 2 shown]
	ds_read_b128 v[9:12], v142 offset:1056
	v_mov_b32_e32 v205, 0
	v_mov_b32_e32 v203, 0
	;; [unrolled: 1-line block ×19, first 2 shown]
	s_waitcnt lgkmcnt(0)
	v_dot4c_i32_i8 v207, v212, v9
	v_dot4c_i32_i8 v205, v4, v9
	v_dot4c_i32_i8 v203, v217, v9
	v_dot4c_i32_i8 v202, v221, v9
	v_dot4c_i32_i8 v207, v3, v10
	v_dot4c_i32_i8 v205, v5, v10
	v_dot4c_i32_i8 v203, v218, v10
	v_dot4c_i32_i8 v202, v222, v10
	v_dot4c_i32_i8 v207, v213, v11
	v_dot4c_i32_i8 v205, v215, v11
	v_dot4c_i32_i8 v203, v219, v11
	v_dot4c_i32_i8 v202, v223, v11
	v_dot4c_i32_i8 v207, v214, v12
	v_dot4c_i32_i8 v205, v216, v12
	v_dot4c_i32_i8 v203, v220, v12
	v_dot4c_i32_i8 v202, v224, v12
	ds_read_b128 v[9:12], v142 offset:2080
	s_waitcnt lgkmcnt(0)
	v_dot4c_i32_i8 v191, v212, v9
	v_dot4c_i32_i8 v188, v4, v9
	v_dot4c_i32_i8 v186, v217, v9
	v_dot4c_i32_i8 v184, v221, v9
	v_dot4c_i32_i8 v191, v3, v10
	v_dot4c_i32_i8 v188, v5, v10
	v_dot4c_i32_i8 v186, v218, v10
	v_dot4c_i32_i8 v184, v222, v10
	v_dot4c_i32_i8 v191, v213, v11
	v_dot4c_i32_i8 v188, v215, v11
	v_dot4c_i32_i8 v186, v219, v11
	v_dot4c_i32_i8 v184, v223, v11
	v_dot4c_i32_i8 v191, v214, v12
	v_dot4c_i32_i8 v188, v216, v12
	v_dot4c_i32_i8 v186, v220, v12
	v_dot4c_i32_i8 v184, v224, v12
	ds_read_b128 v[9:12], v142 offset:3104
	;; [unrolled: 18-line block ×4, first 2 shown]
	s_waitcnt lgkmcnt(0)
	v_dot4c_i32_i8 v189, v212, v9
	v_dot4c_i32_i8 v182, v4, v9
	v_dot4c_i32_i8 v180, v217, v9
	v_dot4c_i32_i8 v178, v221, v9
	v_mov_b32_e32 v9, 0
	v_dot4c_i32_i8 v189, v3, v10
	v_dot4c_i32_i8 v182, v5, v10
	v_dot4c_i32_i8 v180, v218, v10
	v_dot4c_i32_i8 v178, v222, v10
	v_mov_b32_e32 v10, 0
	;; [unrolled: 5-line block ×4, first 2 shown]
	v_dot4c_i32_i8 v9, v4, v13
	v_dot4c_i32_i8 v10, v217, v13
	;; [unrolled: 1-line block ×7, first 2 shown]
	v_mov_b32_e32 v13, 0
	v_dot4c_i32_i8 v12, v3, v14
	v_dot4c_i32_i8 v9, v215, v15
	;; [unrolled: 1-line block ×9, first 2 shown]
	v_mov_b32_e32 v14, 0
	v_dot4c_i32_i8 v12, v214, v16
	v_mov_b32_e32 v16, 0
	v_mov_b32_e32 v15, 0
	v_dot4c_i32_i8 v13, v5, v209
	v_dot4c_i32_i8 v14, v217, v208
	;; [unrolled: 1-line block ×6, first 2 shown]
	v_add_nc_u32_e32 v212, 0x1090, v152
	v_dot4c_i32_i8 v16, v3, v209
	v_dot4c_i32_i8 v15, v222, v209
	;; [unrolled: 1-line block ×3, first 2 shown]
	v_add_nc_u32_e32 v216, 0x3190, v152
	v_dot4c_i32_i8 v14, v219, v210
	v_dot4c_i32_i8 v16, v213, v210
	;; [unrolled: 1-line block ×3, first 2 shown]
	ds_read2_b32 v[3:4], v152 offset0:4 offset1:5
	ds_read2_b32 v[212:213], v212 offset1:1
	ds_read2_b32 v[216:217], v216 offset1:1
	v_dot4c_i32_i8 v16, v214, v211
	v_add_nc_u32_e32 v214, 0x2110, v152
	v_dot4c_i32_i8 v14, v220, v211
	v_dot4c_i32_i8 v15, v224, v211
	ds_read_b128 v[208:211], v142 offset:16
	ds_read2_b32 v[218:219], v152 offset0:6 offset1:7
	ds_read2_b32 v[214:215], v214 offset1:1
	s_waitcnt lgkmcnt(5)
	v_and_b32_e32 v5, 0xf0f0f0f, v3
	s_waitcnt lgkmcnt(4)
	v_and_b32_e32 v227, 0xf0f0f0f, v212
	;; [unrolled: 2-line block ×3, first 2 shown]
	v_and_b32_e32 v226, 0xf0f0f0f, v4
	v_and_b32_e32 v231, 0xf0f0f0f, v213
	;; [unrolled: 1-line block ×3, first 2 shown]
	v_lshrrev_b32_e32 v3, 4, v3
	s_waitcnt lgkmcnt(2)
	v_dot4c_i32_i8 v196, v5, v208
	v_dot4c_i32_i8 v195, v227, v208
	s_waitcnt lgkmcnt(0)
	v_and_b32_e32 v228, 0xf0f0f0f, v214
	v_dot4c_i32_i8 v193, v229, v208
	v_and_b32_e32 v232, 0xf0f0f0f, v215
	v_dot4c_i32_i8 v196, v226, v209
	v_dot4c_i32_i8 v195, v231, v209
	;; [unrolled: 1-line block ×3, first 2 shown]
	v_add_nc_u32_e32 v208, 0x1098, v152
	v_dot4c_i32_i8 v193, v233, v209
	v_lshrrev_b32_e32 v216, 4, v216
	v_lshrrev_b32_e32 v4, 4, v4
	v_dot4c_i32_i8 v194, v232, v209
	ds_read2_b32 v[220:221], v208 offset1:1
	v_add_nc_u32_e32 v208, 0x2118, v152
	v_and_b32_e32 v230, 0xf0f0f0f, v218
	v_and_b32_e32 v234, 0xf0f0f0f, v219
	v_lshrrev_b32_e32 v217, 4, v217
	v_and_b32_e32 v3, 0xf0f0f0f, v3
	ds_read2_b32 v[222:223], v208 offset1:1
	v_add_nc_u32_e32 v208, 0x3198, v152
	v_dot4c_i32_i8 v196, v230, v210
	v_and_b32_e32 v216, 0xf0f0f0f, v216
	v_and_b32_e32 v4, 0xf0f0f0f, v4
	;; [unrolled: 1-line block ×3, first 2 shown]
	ds_read2_b32 v[224:225], v208 offset1:1
	v_dot4c_i32_i8 v196, v234, v211
	v_add_nc_u32_e32 v152, 32, v152
	s_waitcnt lgkmcnt(2)
	v_and_b32_e32 v235, 0xf0f0f0f, v220
	v_and_b32_e32 v238, 0xf0f0f0f, v221
	v_dot4c_i32_i8 v195, v235, v210
	s_waitcnt lgkmcnt(1)
	v_and_b32_e32 v236, 0xf0f0f0f, v222
	v_and_b32_e32 v239, 0xf0f0f0f, v223
	v_dot4c_i32_i8 v195, v238, v211
	v_dot4c_i32_i8 v194, v236, v210
	s_waitcnt lgkmcnt(0)
	v_and_b32_e32 v237, 0xf0f0f0f, v224
	v_and_b32_e32 v240, 0xf0f0f0f, v225
	v_dot4c_i32_i8 v194, v239, v211
	v_dot4c_i32_i8 v193, v237, v210
	v_dot4c_i32_i8 v193, v240, v211
	ds_read_b128 v[208:211], v142 offset:1040
	s_waitcnt lgkmcnt(0)
	v_dot4c_i32_i8 v200, v5, v208
	v_dot4c_i32_i8 v199, v227, v208
	v_dot4c_i32_i8 v198, v228, v208
	v_dot4c_i32_i8 v197, v229, v208
	v_dot4c_i32_i8 v200, v226, v209
	v_dot4c_i32_i8 v199, v231, v209
	v_dot4c_i32_i8 v198, v232, v209
	v_dot4c_i32_i8 v197, v233, v209
	v_dot4c_i32_i8 v200, v230, v210
	v_dot4c_i32_i8 v199, v235, v210
	v_dot4c_i32_i8 v198, v236, v210
	v_dot4c_i32_i8 v197, v237, v210
	v_dot4c_i32_i8 v200, v234, v211
	v_dot4c_i32_i8 v199, v238, v211
	v_dot4c_i32_i8 v198, v239, v211
	v_dot4c_i32_i8 v197, v240, v211
	ds_read_b128 v[208:211], v142 offset:2064
	s_waitcnt lgkmcnt(0)
	v_dot4c_i32_i8 v175, v5, v208
	v_dot4c_i32_i8 v172, v227, v208
	v_dot4c_i32_i8 v170, v228, v208
	v_dot4c_i32_i8 v168, v229, v208
	v_dot4c_i32_i8 v175, v226, v209
	v_dot4c_i32_i8 v172, v231, v209
	v_dot4c_i32_i8 v170, v232, v209
	v_dot4c_i32_i8 v168, v233, v209
	v_dot4c_i32_i8 v175, v230, v210
	v_dot4c_i32_i8 v172, v235, v210
	v_dot4c_i32_i8 v170, v236, v210
	v_dot4c_i32_i8 v168, v237, v210
	v_dot4c_i32_i8 v175, v234, v211
	;; [unrolled: 18-line block ×6, first 2 shown]
	v_dot4c_i32_i8 v153, v238, v211
	v_dot4c_i32_i8 v154, v239, v211
	;; [unrolled: 1-line block ×3, first 2 shown]
	ds_read_b128 v[208:211], v142 offset:7184
	s_waitcnt lgkmcnt(0)
	v_dot4c_i32_i8 v160, v5, v208
	v_dot4c_i32_i8 v157, v227, v208
	v_dot4c_i32_i8 v158, v228, v208
	v_dot4c_i32_i8 v159, v229, v208
	v_lshrrev_b32_e32 v208, 4, v219
	v_dot4c_i32_i8 v160, v226, v209
	v_dot4c_i32_i8 v157, v231, v209
	v_dot4c_i32_i8 v158, v232, v209
	v_dot4c_i32_i8 v159, v233, v209
	v_lshrrev_b32_e32 v209, 4, v212
	v_dot4c_i32_i8 v160, v230, v210
	v_dot4c_i32_i8 v157, v235, v210
	v_dot4c_i32_i8 v158, v236, v210
	v_dot4c_i32_i8 v159, v237, v210
	v_lshrrev_b32_e32 v210, 4, v213
	v_dot4c_i32_i8 v160, v234, v211
	v_dot4c_i32_i8 v157, v238, v211
	v_dot4c_i32_i8 v158, v239, v211
	v_dot4c_i32_i8 v159, v240, v211
	v_lshrrev_b32_e32 v211, 4, v220
	v_lshrrev_b32_e32 v5, 4, v218
	v_lshrrev_b32_e32 v212, 4, v221
	v_lshrrev_b32_e32 v213, 4, v214
	v_lshrrev_b32_e32 v214, 4, v215
	v_lshrrev_b32_e32 v215, 4, v222
	v_lshrrev_b32_e32 v218, 4, v223
	v_lshrrev_b32_e32 v219, 4, v224
	v_and_b32_e32 v221, 0xf0f0f0f, v208
	v_and_b32_e32 v222, 0xf0f0f0f, v209
	;; [unrolled: 1-line block ×4, first 2 shown]
	ds_read_b128 v[208:211], v142 offset:48
	v_and_b32_e32 v213, 0xf0f0f0f, v213
	v_and_b32_e32 v214, 0xf0f0f0f, v214
	v_lshrrev_b32_e32 v220, 4, v225
	v_and_b32_e32 v5, 0xf0f0f0f, v5
	v_and_b32_e32 v215, 0xf0f0f0f, v215
	;; [unrolled: 1-line block ×6, first 2 shown]
	s_waitcnt lgkmcnt(0)
	v_dot4c_i32_i8 v2, v3, v208
	v_dot4c_i32_i8 v206, v222, v208
	v_dot4c_i32_i8 v204, v213, v208
	v_dot4c_i32_i8 v201, v216, v208
	v_dot4c_i32_i8 v2, v4, v209
	v_dot4c_i32_i8 v206, v223, v209
	v_dot4c_i32_i8 v204, v214, v209
	v_dot4c_i32_i8 v201, v217, v209
	v_dot4c_i32_i8 v2, v5, v210
	v_dot4c_i32_i8 v206, v224, v210
	v_dot4c_i32_i8 v204, v215, v210
	v_dot4c_i32_i8 v201, v219, v210
	v_dot4c_i32_i8 v2, v221, v211
	v_dot4c_i32_i8 v206, v212, v211
	v_dot4c_i32_i8 v204, v218, v211
	v_dot4c_i32_i8 v201, v220, v211
	ds_read_b128 v[208:211], v142 offset:1072
	s_waitcnt lgkmcnt(0)
	v_dot4c_i32_i8 v207, v3, v208
	v_dot4c_i32_i8 v205, v222, v208
	v_dot4c_i32_i8 v203, v213, v208
	v_dot4c_i32_i8 v202, v216, v208
	v_dot4c_i32_i8 v207, v4, v209
	v_dot4c_i32_i8 v205, v223, v209
	v_dot4c_i32_i8 v203, v214, v209
	v_dot4c_i32_i8 v202, v217, v209
	v_dot4c_i32_i8 v207, v5, v210
	v_dot4c_i32_i8 v205, v224, v210
	v_dot4c_i32_i8 v203, v215, v210
	v_dot4c_i32_i8 v202, v219, v210
	v_dot4c_i32_i8 v207, v221, v211
	v_dot4c_i32_i8 v205, v212, v211
	v_dot4c_i32_i8 v203, v218, v211
	v_dot4c_i32_i8 v202, v220, v211
	ds_read_b128 v[208:211], v142 offset:2096
	;; [unrolled: 18-line block ×7, first 2 shown]
	v_add_nc_u32_e32 v142, 64, v142
	s_waitcnt lgkmcnt(0)
	v_dot4c_i32_i8 v13, v222, v208
	v_dot4c_i32_i8 v14, v213, v208
	;; [unrolled: 1-line block ×13, first 2 shown]
	v_add_nc_u32_e32 v212, s1, v122
	v_dot4c_i32_i8 v16, v221, v211
	v_dot4c_i32_i8 v14, v218, v211
	;; [unrolled: 1-line block ×3, first 2 shown]
	s_add_i32 s1, s1, 2
	v_add3_u32 v213, v126, s15, v212
	v_add3_u32 v214, v125, s15, v212
	;; [unrolled: 1-line block ×4, first 2 shown]
	s_add_i32 s15, s14, 8
	ds_read_u16 v3, v213 offset:25088
	s_add_i32 s14, s14, 16
	s_cmp_lt_u32 s14, 24
	s_mov_b32 s14, s15
	s_waitcnt lgkmcnt(0)
	v_and_b32_e32 v209, 0xff, v3
	v_and_b32_sdwa v208, v141, v3 dst_sel:DWORD dst_unused:UNUSED_PAD src0_sel:DWORD src1_sel:BYTE_1
	v_mul_lo_u32 v3, v196, v209
	v_mul_lo_u32 v2, v2, v208
	;; [unrolled: 1-line block ×8, first 2 shown]
	v_cvt_f32_i32_e32 v196, v3
	v_cvt_f32_i32_e32 v210, v2
	ds_read2_b64 v[2:5], v143 offset1:16
	v_cvt_f32_i32_e32 v200, v200
	v_cvt_f32_i32_e32 v207, v207
	;; [unrolled: 1-line block ×6, first 2 shown]
	v_mul_lo_u32 v160, v160, v209
	v_mul_lo_u32 v16, v16, v208
	v_cvt_f32_i32_e32 v16, v16
	s_waitcnt lgkmcnt(0)
	v_fma_mix_f32 v200, v200, v4, 0 op_sel_hi:[0,1,0]
	v_fma_mix_f32 v196, v2, v196, 0 op_sel_hi:[1,0,0]
	;; [unrolled: 1-line block ×3, first 2 shown]
	ds_read_u16 v207, v214 offset:25600
	v_fma_mix_f32 v196, v3, v210, v196 op_sel_hi:[1,0,0]
	s_waitcnt lgkmcnt(0)
	v_and_b32_e32 v210, 0xff, v207
	v_and_b32_sdwa v207, v141, v207 dst_sel:DWORD dst_unused:UNUSED_PAD src0_sel:DWORD src1_sel:BYTE_1
	v_mul_lo_u32 v195, v195, v210
	v_mul_lo_u32 v206, v206, v207
	;; [unrolled: 1-line block ×8, first 2 shown]
	v_cvt_f32_i32_e32 v195, v195
	v_cvt_f32_i32_e32 v206, v206
	;; [unrolled: 1-line block ×5, first 2 shown]
	v_fma_mix_f32 v195, v2, v195, 0 op_sel_hi:[1,0,0]
	v_cvt_f32_i32_e32 v188, v188
	v_fma_mix_f32 v199, v199, v4, 0 op_sel_hi:[0,1,0]
	v_cvt_f32_i32_e32 v166, v166
	v_cvt_f32_i32_e32 v165, v165
	v_fma_mix_f32 v195, v3, v206, v195 op_sel_hi:[1,0,0]
	ds_read_u16 v206, v215 offset:26112
	v_mul_lo_u32 v181, v181, v207
	v_mul_lo_u32 v153, v153, v210
	;; [unrolled: 1-line block ×5, first 2 shown]
	v_cvt_f32_i32_e32 v181, v181
	v_cvt_f32_i32_e32 v153, v153
	;; [unrolled: 1-line block ×3, first 2 shown]
	s_waitcnt lgkmcnt(0)
	v_and_b32_e32 v211, 0xff, v206
	v_and_b32_sdwa v206, v141, v206 dst_sel:DWORD dst_unused:UNUSED_PAD src0_sel:DWORD src1_sel:BYTE_1
	v_mul_lo_u32 v194, v194, v211
	v_mul_lo_u32 v204, v204, v206
	;; [unrolled: 1-line block ×8, first 2 shown]
	v_cvt_f32_i32_e32 v194, v194
	v_cvt_f32_i32_e32 v204, v204
	;; [unrolled: 1-line block ×5, first 2 shown]
	v_fma_mix_f32 v194, v2, v194, 0 op_sel_hi:[1,0,0]
	v_cvt_f32_i32_e32 v186, v186
	v_fma_mix_f32 v198, v198, v4, 0 op_sel_hi:[0,1,0]
	v_cvt_f32_i32_e32 v164, v164
	v_mul_lo_u32 v179, v179, v206
	v_fma_mix_f32 v194, v3, v204, v194 op_sel_hi:[1,0,0]
	ds_read_u16 v204, v216 offset:26624
	v_cvt_f32_i32_e32 v163, v163
	v_mul_lo_u32 v154, v154, v211
	v_mul_lo_u32 v10, v10, v206
	;; [unrolled: 1-line block ×4, first 2 shown]
	v_cvt_f32_i32_e32 v179, v179
	v_cvt_f32_i32_e32 v10, v10
	s_waitcnt lgkmcnt(0)
	v_and_b32_e32 v212, 0xff, v204
	v_and_b32_sdwa v204, v141, v204 dst_sel:DWORD dst_unused:UNUSED_PAD src0_sel:DWORD src1_sel:BYTE_1
	v_mul_lo_u32 v193, v193, v212
	v_mul_lo_u32 v201, v201, v204
	;; [unrolled: 1-line block ×8, first 2 shown]
	v_cvt_f32_i32_e32 v193, v193
	v_cvt_f32_i32_e32 v201, v201
	;; [unrolled: 1-line block ×5, first 2 shown]
	v_fma_mix_f32 v193, v2, v193, 0 op_sel_hi:[1,0,0]
	v_cvt_f32_i32_e32 v169, v169
	v_fma_mix_f32 v197, v197, v4, 0 op_sel_hi:[0,1,0]
	v_cvt_f32_i32_e32 v161, v161
	v_cvt_f32_i32_e32 v177, v177
	v_fma_mix_f32 v193, v3, v201, v193 op_sel_hi:[1,0,0]
	v_mul_lo_u32 v201, v205, v207
	v_mul_lo_u32 v162, v162, v212
	;; [unrolled: 1-line block ×6, first 2 shown]
	v_cvt_f32_i32_e32 v201, v201
	v_cvt_f32_i32_e32 v162, v162
	;; [unrolled: 1-line block ×3, first 2 shown]
	v_fma_mix_f32 v199, v201, v5, v199 op_sel_hi:[0,1,0]
	v_mul_lo_u32 v201, v203, v206
	v_cvt_f32_i32_e32 v201, v201
	v_fma_mix_f32 v198, v201, v5, v198 op_sel_hi:[0,1,0]
	v_mul_lo_u32 v201, v202, v204
	v_cvt_f32_i32_e32 v201, v201
	v_fma_mix_f32 v197, v201, v5, v197 op_sel_hi:[0,1,0]
	ds_read_u16 v202, v213 offset:25096
	ds_read_u16 v201, v214 offset:25608
	;; [unrolled: 1-line block ×4, first 2 shown]
	s_waitcnt lgkmcnt(3)
	v_cvt_f32_ubyte0_e32 v213, v202
	s_waitcnt lgkmcnt(2)
	v_cvt_f32_ubyte0_e32 v214, v201
	;; [unrolled: 2-line block ×4, first 2 shown]
	v_cvt_f32_ubyte1_e32 v205, v205
	v_fma_mix_f32 v217, v2, v213, 0 op_sel:[1,0,0] op_sel_hi:[1,0,0]
	v_fma_mix_f32 v218, v2, v214, 0 op_sel:[1,0,0] op_sel_hi:[1,0,0]
	;; [unrolled: 1-line block ×4, first 2 shown]
	v_cvt_f32_ubyte1_e32 v202, v202
	v_cvt_f32_ubyte1_e32 v201, v201
	;; [unrolled: 1-line block ×3, first 2 shown]
	v_fma_mix_f32 v220, v3, v205, v2 op_sel:[1,0,0] op_sel_hi:[1,0,0]
	v_fma_mix_f32 v2, v213, v4, 0 op_sel:[0,1,0] op_sel_hi:[0,1,0]
	;; [unrolled: 1-line block ×12, first 2 shown]
	v_mul_lo_u32 v2, v175, v209
	v_mul_lo_u32 v175, v191, v208
	v_cvt_f32_i32_e32 v191, v2
	ds_read2_b64 v[2:5], v143 offset0:32 offset1:48
	v_cvt_f32_i32_e32 v175, v175
	s_waitcnt lgkmcnt(0)
	v_fma_mix_f32 v168, v168, v2, 0 op_sel_hi:[0,1,0]
	v_fma_mix_f32 v174, v174, v4, 0 op_sel_hi:[0,1,0]
	;; [unrolled: 1-line block ×6, first 2 shown]
	v_mul_lo_u32 v184, v190, v207
	v_fma_mix_f32 v191, v191, v2, 0 op_sel_hi:[0,1,0]
	v_fma_mix_f32 v172, v172, v2, 0 op_sel_hi:[0,1,0]
	;; [unrolled: 1-line block ×3, first 2 shown]
	v_fma_mix_f32 v186, v215, v2, 0 op_sel:[0,1,0] op_sel_hi:[0,1,0]
	v_fma_mix_f32 v176, v176, v4, 0 op_sel_hi:[0,1,0]
	v_fma_mix_f32 v175, v175, v3, v191 op_sel_hi:[0,1,0]
	v_mul_lo_u32 v191, v192, v208
	v_cvt_f32_i32_e32 v184, v184
	v_fma_mix_f32 v172, v188, v3, v172 op_sel_hi:[0,1,0]
	v_fma_mix_f32 v186, v203, v3, v186 op_sel:[0,1,0] op_sel_hi:[0,1,0]
	v_fma_mix_f32 v174, v184, v5, v174 op_sel_hi:[0,1,0]
	v_mul_lo_u32 v184, v187, v206
	v_cvt_f32_i32_e32 v191, v191
	v_fma_mix_f32 v176, v191, v5, v176 op_sel_hi:[0,1,0]
	v_cvt_f32_i32_e32 v184, v184
	v_fma_mix_f32 v171, v184, v5, v171 op_sel_hi:[0,1,0]
	v_mul_lo_u32 v184, v185, v204
	v_fma_mix_f32 v185, v214, v2, 0 op_sel:[0,1,0] op_sel_hi:[0,1,0]
	v_fma_mix_f32 v185, v201, v3, v185 op_sel:[0,1,0] op_sel_hi:[0,1,0]
	v_cvt_f32_i32_e32 v184, v184
	v_fma_mix_f32 v169, v184, v5, v169 op_sel_hi:[0,1,0]
	v_fma_mix_f32 v184, v213, v2, 0 op_sel:[0,1,0] op_sel_hi:[0,1,0]
	v_fma_mix_f32 v2, v216, v2, 0 op_sel:[0,1,0] op_sel_hi:[0,1,0]
	;; [unrolled: 1-line block ×12, first 2 shown]
	v_mul_lo_u32 v2, v167, v209
	v_mul_lo_u32 v167, v183, v208
	v_cvt_f32_i32_e32 v183, v2
	ds_read2_b64 v[2:5], v143 offset0:64 offset1:80
	v_cvt_f32_i32_e32 v167, v167
	s_waitcnt lgkmcnt(0)
	v_fma_mix_f32 v161, v161, v2, 0 op_sel_hi:[0,1,0]
	v_fma_mix_f32 v166, v166, v4, 0 op_sel_hi:[0,1,0]
	v_fma_mix_f32 v164, v164, v4, 0 op_sel_hi:[0,1,0]
	v_fma_mix_f32 v163, v163, v2, 0 op_sel_hi:[0,1,0]
	v_fma_mix_f32 v162, v162, v4, 0 op_sel_hi:[0,1,0]
	v_fma_mix_f32 v161, v177, v3, v161 op_sel_hi:[0,1,0]
	v_mul_lo_u32 v177, v182, v207
	v_fma_mix_f32 v183, v183, v2, 0 op_sel_hi:[0,1,0]
	v_fma_mix_f32 v165, v165, v2, 0 op_sel_hi:[0,1,0]
	v_fma_mix_f32 v163, v179, v3, v163 op_sel_hi:[0,1,0]
	v_fma_mix_f32 v179, v215, v2, 0 op_sel:[0,1,0] op_sel_hi:[0,1,0]
	v_fma_mix_f32 v173, v173, v4, 0 op_sel_hi:[0,1,0]
	v_fma_mix_f32 v167, v167, v3, v183 op_sel_hi:[0,1,0]
	v_mul_lo_u32 v183, v189, v208
	v_cvt_f32_i32_e32 v177, v177
	v_fma_mix_f32 v165, v181, v3, v165 op_sel_hi:[0,1,0]
	v_fma_mix_f32 v179, v203, v3, v179 op_sel:[0,1,0] op_sel_hi:[0,1,0]
	v_fma_mix_f32 v166, v177, v5, v166 op_sel_hi:[0,1,0]
	v_mul_lo_u32 v177, v180, v206
	v_cvt_f32_i32_e32 v183, v183
	v_fma_mix_f32 v173, v183, v5, v173 op_sel_hi:[0,1,0]
	v_cvt_f32_i32_e32 v177, v177
	v_fma_mix_f32 v164, v177, v5, v164 op_sel_hi:[0,1,0]
	v_mul_lo_u32 v177, v178, v204
	v_fma_mix_f32 v178, v214, v2, 0 op_sel:[0,1,0] op_sel_hi:[0,1,0]
	v_fma_mix_f32 v178, v201, v3, v178 op_sel:[0,1,0] op_sel_hi:[0,1,0]
	v_cvt_f32_i32_e32 v177, v177
	v_fma_mix_f32 v162, v177, v5, v162 op_sel_hi:[0,1,0]
	v_fma_mix_f32 v177, v213, v2, 0 op_sel:[0,1,0] op_sel_hi:[0,1,0]
	v_fma_mix_f32 v2, v216, v2, 0 op_sel:[0,1,0] op_sel_hi:[0,1,0]
	;; [unrolled: 1-line block ×12, first 2 shown]
	ds_read2_b64 v[2:5], v143 offset0:96 offset1:112
	v_add_nc_u32_e32 v143, 8, v143
	s_waitcnt lgkmcnt(0)
	v_fma_mix_f32 v153, v153, v2, 0 op_sel_hi:[0,1,0]
	v_fma_mix_f32 v225, v213, v2, 0 op_sel:[0,1,0] op_sel_hi:[0,1,0]
	v_fma_mix_f32 v213, v213, v4, 0 op_sel:[0,1,0] op_sel_hi:[0,1,0]
	v_fma_mix_f32 v156, v156, v2, 0 op_sel_hi:[0,1,0]
	v_fma_mix_f32 v9, v9, v3, v153 op_sel_hi:[0,1,0]
	v_cvt_f32_i32_e32 v153, v154
	v_fma_mix_f32 v225, v202, v3, v225 op_sel:[0,1,0] op_sel_hi:[0,1,0]
	v_fma_mix_f32 v202, v202, v5, v213 op_sel:[0,1,0] op_sel_hi:[0,1,0]
	;; [unrolled: 1-line block ×4, first 2 shown]
	v_fma_mix_f32 v153, v153, v2, 0 op_sel_hi:[0,1,0]
	v_fma_mix_f32 v12, v12, v3, v156 op_sel_hi:[0,1,0]
	v_cvt_f32_i32_e32 v156, v160
	v_fma_mix_f32 v213, v201, v3, v213 op_sel:[0,1,0] op_sel_hi:[0,1,0]
	v_fma_mix_f32 v201, v201, v5, v214 op_sel:[0,1,0] op_sel_hi:[0,1,0]
	;; [unrolled: 1-line block ×4, first 2 shown]
	v_fma_mix_f32 v10, v10, v3, v153 op_sel_hi:[0,1,0]
	v_cvt_f32_i32_e32 v153, v155
	v_mul_f32_e32 v155, v225, v145
	v_fma_mix_f32 v214, v203, v3, v214 op_sel:[0,1,0] op_sel_hi:[0,1,0]
	v_fma_mix_f32 v203, v203, v5, v215 op_sel:[0,1,0] op_sel_hi:[0,1,0]
	;; [unrolled: 1-line block ×3, first 2 shown]
	v_fma_mix_f32 v2, v153, v2, 0 op_sel_hi:[0,1,0]
	v_mul_f32_e32 v153, v177, v145
	v_fma_f32 v12, v12, v144, -v155
	v_fma_mix_f32 v216, v216, v4, 0 op_sel:[0,1,0] op_sel_hi:[0,1,0]
	v_fma_mix_f32 v215, v205, v3, v215 op_sel:[0,1,0] op_sel_hi:[0,1,0]
	v_fma_mix_f32 v2, v11, v3, v2 op_sel_hi:[0,1,0]
	v_cvt_f32_i32_e32 v3, v157
	v_cvt_f32_i32_e32 v11, v13
	;; [unrolled: 1-line block ×3, first 2 shown]
	v_fma_f32 v153, v167, v144, -v153
	v_add_f32_e32 v24, v24, v12
	v_fma_mix_f32 v3, v3, v4, 0 op_sel_hi:[0,1,0]
	v_mul_f32_e32 v12, v213, v146
	v_fma_mix_f32 v156, v156, v4, 0 op_sel_hi:[0,1,0]
	v_add_f32_e32 v32, v32, v153
	v_mul_f32_e32 v153, v178, v146
	v_fma_mix_f32 v3, v11, v5, v3 op_sel_hi:[0,1,0]
	v_cvt_f32_i32_e32 v11, v158
	v_fma_f32 v9, v9, v147, -v12
	v_mul_f32_e32 v12, v214, v148
	v_fma_f32 v153, v165, v147, -v153
	v_mul_f32_e32 v165, v179, v148
	v_fma_mix_f32 v11, v11, v4, 0 op_sel_hi:[0,1,0]
	v_fma_mix_f32 v205, v205, v5, v216 op_sel:[0,1,0] op_sel_hi:[0,1,0]
	v_fma_f32 v10, v10, v149, -v12
	v_mul_f32_e32 v12, v215, v150
	v_fma_mix_f32 v16, v16, v5, v156 op_sel_hi:[0,1,0]
	v_fma_mix_f32 v11, v13, v5, v11 op_sel_hi:[0,1,0]
	v_cvt_f32_i32_e32 v13, v159
	v_mul_f32_e32 v14, v184, v145
	v_mul_f32_e32 v154, v181, v145
	v_fma_f32 v163, v163, v149, -v165
	v_mul_f32_e32 v165, v180, v150
	v_fma_mix_f32 v4, v13, v4, 0 op_sel_hi:[0,1,0]
	v_cvt_f32_i32_e32 v13, v15
	v_mul_f32_e32 v15, v188, v145
	v_fma_f32 v2, v2, v151, -v12
	v_mul_f32_e32 v12, v201, v146
	v_fma_f32 v14, v175, v144, -v14
	v_fma_mix_f32 v4, v13, v5, v4 op_sel_hi:[0,1,0]
	v_mul_f32_e32 v5, v217, v145
	v_mul_f32_e32 v13, v221, v145
	v_fma_f32 v15, v176, v144, -v15
	v_fma_f32 v154, v173, v144, -v154
	v_mul_f32_e32 v155, v202, v145
	v_fma_f32 v5, v196, v144, -v5
	v_fma_f32 v13, v200, v144, -v13
	v_mul_f32_e32 v160, v187, v150
	v_fma_f32 v161, v161, v151, -v165
	v_mul_f32_e32 v165, v183, v148
	;; [unrolled: 2-line block ×3, first 2 shown]
	v_fma_f32 v16, v16, v144, -v155
	v_add_f32_e32 v88, v88, v5
	v_mul_f32_e32 v5, v218, v146
	v_mul_f32_e32 v155, v219, v148
	;; [unrolled: 1-line block ×3, first 2 shown]
	v_add_f32_e32 v51, v51, v13
	v_mul_f32_e32 v13, v222, v146
	v_mul_f32_e32 v157, v223, v148
	;; [unrolled: 1-line block ×3, first 2 shown]
	v_add_f32_e32 v42, v42, v14
	v_mul_f32_e32 v14, v185, v146
	v_mul_f32_e32 v159, v186, v148
	v_fma_f32 v160, v168, v151, -v160
	v_add_f32_e32 v37, v37, v15
	v_mul_f32_e32 v15, v190, v146
	v_mul_f32_e32 v167, v191, v148
	;; [unrolled: 1-line block ×3, first 2 shown]
	v_add_f32_e32 v28, v28, v154
	v_mul_f32_e32 v154, v182, v146
	v_fma_f32 v164, v164, v149, -v165
	v_mul_f32_e32 v165, v189, v150
	v_fma_f32 v11, v11, v149, -v12
	v_mul_f32_e32 v12, v205, v150
	v_fma_f32 v5, v195, v147, -v5
	v_fma_f32 v155, v194, v149, -v155
	v_fma_f32 v156, v193, v151, -v156
	;; [unrolled: 1-line block ×13, first 2 shown]
	v_add_f32_e32 v20, v20, v16
	v_add_f32_e32 v81, v81, v5
	;; [unrolled: 1-line block ×25, first 2 shown]
	s_cbranch_scc1 .LBB171_8
; %bb.9:                                ;   in Loop: Header=BB171_5 Depth=1
	s_add_i32 s11, s11, 1
	s_cmp_eq_u32 s11, s4
	s_barrier
	buffer_gl0_inv
	s_cbranch_scc0 .LBB171_5
; %bb.10:
	v_mov_b32_e32 v2, v35
.LBB171_11:
	s_mov_b32 s0, exec_lo
	v_cmpx_gt_u32_e64 s8, v2
	s_cbranch_execz .LBB171_62
; %bb.12:
	v_add_nc_u32_e32 v0, s6, v0
	v_mul_lo_u32 v5, v2, s10
	v_cmp_gt_u32_e64 s0, s10, v0
	s_and_saveexec_b32 s1, s0
	s_cbranch_execz .LBB171_14
; %bb.13:
	v_add_nc_u32_e32 v2, v0, v5
	v_mov_b32_e32 v3, 0
	v_bfe_u32 v4, v88, 16, 1
	v_cmp_o_f32_e32 vcc_lo, v88, v88
	v_mov_b32_e32 v6, 0x7fc0
	v_lshlrev_b64 v[2:3], 1, v[2:3]
	v_add3_u32 v4, v88, v4, 0x7fff
	v_cndmask_b32_sdwa v4, v6, v4, vcc_lo dst_sel:DWORD dst_unused:UNUSED_PAD src0_sel:DWORD src1_sel:WORD_1
	s_waitcnt lgkmcnt(0)
	v_add_co_u32 v2, vcc_lo, s12, v2
	v_add_co_ci_u32_e64 v3, null, s13, v3, vcc_lo
	global_store_short v[2:3], v4, off
.LBB171_14:
	s_or_b32 exec_lo, exec_lo, s1
	v_add_nc_u32_e32 v2, 32, v0
	v_cmp_gt_u32_e64 s1, s10, v2
	s_and_saveexec_b32 s2, s1
	s_cbranch_execz .LBB171_16
; %bb.15:
	v_add_nc_u32_e32 v3, v2, v5
	v_mov_b32_e32 v4, 0
	v_bfe_u32 v6, v81, 16, 1
	v_cmp_o_f32_e32 vcc_lo, v81, v81
	v_mov_b32_e32 v7, 0x7fc0
	v_lshlrev_b64 v[3:4], 1, v[3:4]
	v_add3_u32 v6, v81, v6, 0x7fff
	v_cndmask_b32_sdwa v6, v7, v6, vcc_lo dst_sel:DWORD dst_unused:UNUSED_PAD src0_sel:DWORD src1_sel:WORD_1
	s_waitcnt lgkmcnt(0)
	v_add_co_u32 v3, vcc_lo, s12, v3
	v_add_co_ci_u32_e64 v4, null, s13, v4, vcc_lo
	global_store_short v[3:4], v6, off
.LBB171_16:
	s_or_b32 exec_lo, exec_lo, s2
	v_add_nc_u32_e32 v3, 64, v0
	;; [unrolled: 19-line block ×3, first 2 shown]
	v_cmp_gt_u32_e64 s3, s10, v4
	s_and_saveexec_b32 s4, s3
	s_cbranch_execz .LBB171_20
; %bb.19:
	v_add_nc_u32_e32 v5, v4, v5
	v_mov_b32_e32 v6, 0
	v_bfe_u32 v7, v57, 16, 1
	v_cmp_o_f32_e32 vcc_lo, v57, v57
	v_mov_b32_e32 v8, 0x7fc0
	v_lshlrev_b64 v[5:6], 1, v[5:6]
	v_add3_u32 v7, v57, v7, 0x7fff
	v_cndmask_b32_sdwa v7, v8, v7, vcc_lo dst_sel:DWORD dst_unused:UNUSED_PAD src0_sel:DWORD src1_sel:WORD_1
	s_waitcnt lgkmcnt(0)
	v_add_co_u32 v5, vcc_lo, s12, v5
	v_add_co_ci_u32_e64 v6, null, s13, v6, vcc_lo
	global_store_short v[5:6], v7, off
.LBB171_20:
	s_or_b32 exec_lo, exec_lo, s4
	v_add3_u32 v5, v1, s7, 8
	v_cmp_gt_u32_e32 vcc_lo, s8, v5
	s_and_b32 exec_lo, exec_lo, vcc_lo
	s_cbranch_execz .LBB171_62
; %bb.21:
	v_mul_lo_u32 v5, v5, s10
	s_and_saveexec_b32 s4, s0
	s_cbranch_execnz .LBB171_63
; %bb.22:
	s_or_b32 exec_lo, exec_lo, s4
	s_and_saveexec_b32 s4, s1
	s_cbranch_execnz .LBB171_64
.LBB171_23:
	s_or_b32 exec_lo, exec_lo, s4
	s_and_saveexec_b32 s4, s2
	s_cbranch_execnz .LBB171_65
.LBB171_24:
	s_or_b32 exec_lo, exec_lo, s4
	s_and_saveexec_b32 s4, s3
	s_cbranch_execz .LBB171_26
.LBB171_25:
	v_add_nc_u32_e32 v5, v5, v4
	v_mov_b32_e32 v6, 0
	v_bfe_u32 v7, v45, 16, 1
	v_cmp_o_f32_e32 vcc_lo, v45, v45
	v_mov_b32_e32 v8, 0x7fc0
	v_lshlrev_b64 v[5:6], 1, v[5:6]
	v_add3_u32 v7, v45, v7, 0x7fff
	v_cndmask_b32_sdwa v7, v8, v7, vcc_lo dst_sel:DWORD dst_unused:UNUSED_PAD src0_sel:DWORD src1_sel:WORD_1
	s_waitcnt lgkmcnt(0)
	v_add_co_u32 v5, vcc_lo, s12, v5
	v_add_co_ci_u32_e64 v6, null, s13, v6, vcc_lo
	global_store_short v[5:6], v7, off
.LBB171_26:
	s_or_b32 exec_lo, exec_lo, s4
	v_add3_u32 v5, v1, s7, 16
	v_cmp_gt_u32_e32 vcc_lo, s8, v5
	s_and_b32 exec_lo, exec_lo, vcc_lo
	s_cbranch_execz .LBB171_62
; %bb.27:
	v_mul_lo_u32 v5, v5, s10
	s_and_saveexec_b32 s4, s0
	s_cbranch_execnz .LBB171_66
; %bb.28:
	s_or_b32 exec_lo, exec_lo, s4
	s_and_saveexec_b32 s4, s1
	s_cbranch_execnz .LBB171_67
.LBB171_29:
	s_or_b32 exec_lo, exec_lo, s4
	s_and_saveexec_b32 s4, s2
	s_cbranch_execnz .LBB171_68
.LBB171_30:
	s_or_b32 exec_lo, exec_lo, s4
	s_and_saveexec_b32 s4, s3
	s_cbranch_execz .LBB171_32
.LBB171_31:
	v_add_nc_u32_e32 v5, v5, v4
	v_mov_b32_e32 v6, 0
	v_bfe_u32 v7, v38, 16, 1
	v_cmp_o_f32_e32 vcc_lo, v38, v38
	v_mov_b32_e32 v8, 0x7fc0
	v_lshlrev_b64 v[5:6], 1, v[5:6]
	v_add3_u32 v7, v38, v7, 0x7fff
	v_cndmask_b32_sdwa v7, v8, v7, vcc_lo dst_sel:DWORD dst_unused:UNUSED_PAD src0_sel:DWORD src1_sel:WORD_1
	s_waitcnt lgkmcnt(0)
	v_add_co_u32 v5, vcc_lo, s12, v5
	v_add_co_ci_u32_e64 v6, null, s13, v6, vcc_lo
	global_store_short v[5:6], v7, off
.LBB171_32:
	s_or_b32 exec_lo, exec_lo, s4
	v_add3_u32 v5, v1, s7, 24
	v_cmp_gt_u32_e32 vcc_lo, s8, v5
	s_and_b32 exec_lo, exec_lo, vcc_lo
	s_cbranch_execz .LBB171_62
; %bb.33:
	v_mul_lo_u32 v5, v5, s10
	s_and_saveexec_b32 s4, s0
	s_cbranch_execnz .LBB171_69
; %bb.34:
	s_or_b32 exec_lo, exec_lo, s4
	s_and_saveexec_b32 s4, s1
	s_cbranch_execnz .LBB171_70
.LBB171_35:
	s_or_b32 exec_lo, exec_lo, s4
	s_and_saveexec_b32 s4, s2
	s_cbranch_execnz .LBB171_71
.LBB171_36:
	s_or_b32 exec_lo, exec_lo, s4
	s_and_saveexec_b32 s4, s3
	s_cbranch_execz .LBB171_38
.LBB171_37:
	v_add_nc_u32_e32 v5, v5, v4
	v_mov_b32_e32 v6, 0
	v_bfe_u32 v7, v33, 16, 1
	v_cmp_o_f32_e32 vcc_lo, v33, v33
	v_mov_b32_e32 v8, 0x7fc0
	v_lshlrev_b64 v[5:6], 1, v[5:6]
	v_add3_u32 v7, v33, v7, 0x7fff
	v_cndmask_b32_sdwa v7, v8, v7, vcc_lo dst_sel:DWORD dst_unused:UNUSED_PAD src0_sel:DWORD src1_sel:WORD_1
	s_waitcnt lgkmcnt(0)
	v_add_co_u32 v5, vcc_lo, s12, v5
	v_add_co_ci_u32_e64 v6, null, s13, v6, vcc_lo
	global_store_short v[5:6], v7, off
.LBB171_38:
	s_or_b32 exec_lo, exec_lo, s4
	v_add3_u32 v5, v1, s7, 32
	v_cmp_gt_u32_e32 vcc_lo, s8, v5
	s_and_b32 exec_lo, exec_lo, vcc_lo
	s_cbranch_execz .LBB171_62
; %bb.39:
	v_mul_lo_u32 v5, v5, s10
	s_and_saveexec_b32 s4, s0
	s_cbranch_execnz .LBB171_72
; %bb.40:
	s_or_b32 exec_lo, exec_lo, s4
	s_and_saveexec_b32 s4, s1
	s_cbranch_execnz .LBB171_73
.LBB171_41:
	s_or_b32 exec_lo, exec_lo, s4
	s_and_saveexec_b32 s4, s2
	s_cbranch_execnz .LBB171_74
.LBB171_42:
	s_or_b32 exec_lo, exec_lo, s4
	s_and_saveexec_b32 s4, s3
	s_cbranch_execz .LBB171_44
.LBB171_43:
	v_add_nc_u32_e32 v5, v5, v4
	v_mov_b32_e32 v6, 0
	v_bfe_u32 v7, v29, 16, 1
	v_cmp_o_f32_e32 vcc_lo, v29, v29
	v_mov_b32_e32 v8, 0x7fc0
	v_lshlrev_b64 v[5:6], 1, v[5:6]
	v_add3_u32 v7, v29, v7, 0x7fff
	v_cndmask_b32_sdwa v7, v8, v7, vcc_lo dst_sel:DWORD dst_unused:UNUSED_PAD src0_sel:DWORD src1_sel:WORD_1
	s_waitcnt lgkmcnt(0)
	v_add_co_u32 v5, vcc_lo, s12, v5
	v_add_co_ci_u32_e64 v6, null, s13, v6, vcc_lo
	global_store_short v[5:6], v7, off
.LBB171_44:
	s_or_b32 exec_lo, exec_lo, s4
	v_add3_u32 v5, v1, s7, 40
	v_cmp_gt_u32_e32 vcc_lo, s8, v5
	s_and_b32 exec_lo, exec_lo, vcc_lo
	s_cbranch_execz .LBB171_62
; %bb.45:
	v_mul_lo_u32 v5, v5, s10
	s_and_saveexec_b32 s4, s0
	s_cbranch_execnz .LBB171_75
; %bb.46:
	s_or_b32 exec_lo, exec_lo, s4
	s_and_saveexec_b32 s4, s1
	s_cbranch_execnz .LBB171_76
.LBB171_47:
	s_or_b32 exec_lo, exec_lo, s4
	s_and_saveexec_b32 s4, s2
	s_cbranch_execnz .LBB171_77
.LBB171_48:
	s_or_b32 exec_lo, exec_lo, s4
	s_and_saveexec_b32 s4, s3
	s_cbranch_execz .LBB171_50
.LBB171_49:
	v_add_nc_u32_e32 v5, v5, v4
	v_mov_b32_e32 v6, 0
	v_bfe_u32 v7, v25, 16, 1
	v_cmp_o_f32_e32 vcc_lo, v25, v25
	v_mov_b32_e32 v8, 0x7fc0
	v_lshlrev_b64 v[5:6], 1, v[5:6]
	v_add3_u32 v7, v25, v7, 0x7fff
	v_cndmask_b32_sdwa v7, v8, v7, vcc_lo dst_sel:DWORD dst_unused:UNUSED_PAD src0_sel:DWORD src1_sel:WORD_1
	s_waitcnt lgkmcnt(0)
	v_add_co_u32 v5, vcc_lo, s12, v5
	v_add_co_ci_u32_e64 v6, null, s13, v6, vcc_lo
	global_store_short v[5:6], v7, off
.LBB171_50:
	s_or_b32 exec_lo, exec_lo, s4
	v_add3_u32 v5, v1, s7, 48
	v_cmp_gt_u32_e32 vcc_lo, s8, v5
	s_and_b32 exec_lo, exec_lo, vcc_lo
	s_cbranch_execz .LBB171_62
; %bb.51:
	v_mul_lo_u32 v5, v5, s10
	s_and_saveexec_b32 s4, s0
	s_cbranch_execnz .LBB171_78
; %bb.52:
	s_or_b32 exec_lo, exec_lo, s4
	s_and_saveexec_b32 s4, s1
	s_cbranch_execnz .LBB171_79
.LBB171_53:
	s_or_b32 exec_lo, exec_lo, s4
	s_and_saveexec_b32 s4, s2
	s_cbranch_execnz .LBB171_80
.LBB171_54:
	s_or_b32 exec_lo, exec_lo, s4
	s_and_saveexec_b32 s4, s3
	s_cbranch_execz .LBB171_56
.LBB171_55:
	v_add_nc_u32_e32 v5, v5, v4
	v_mov_b32_e32 v6, 0
	v_bfe_u32 v7, v21, 16, 1
	v_cmp_o_f32_e32 vcc_lo, v21, v21
	v_mov_b32_e32 v8, 0x7fc0
	v_lshlrev_b64 v[5:6], 1, v[5:6]
	v_add3_u32 v7, v21, v7, 0x7fff
	v_cndmask_b32_sdwa v7, v8, v7, vcc_lo dst_sel:DWORD dst_unused:UNUSED_PAD src0_sel:DWORD src1_sel:WORD_1
	s_waitcnt lgkmcnt(0)
	v_add_co_u32 v5, vcc_lo, s12, v5
	v_add_co_ci_u32_e64 v6, null, s13, v6, vcc_lo
	global_store_short v[5:6], v7, off
.LBB171_56:
	s_or_b32 exec_lo, exec_lo, s4
	v_add3_u32 v1, v1, s7, 56
	v_cmp_gt_u32_e32 vcc_lo, s8, v1
	s_and_b32 exec_lo, exec_lo, vcc_lo
	s_cbranch_execz .LBB171_62
; %bb.57:
	v_mul_lo_u32 v1, v1, s10
	s_and_saveexec_b32 s4, s0
	s_cbranch_execnz .LBB171_81
; %bb.58:
	s_or_b32 exec_lo, exec_lo, s4
	s_and_saveexec_b32 s0, s1
	s_cbranch_execnz .LBB171_82
.LBB171_59:
	s_or_b32 exec_lo, exec_lo, s0
	s_and_saveexec_b32 s0, s2
	s_cbranch_execnz .LBB171_83
.LBB171_60:
	s_or_b32 exec_lo, exec_lo, s0
	s_and_b32 exec_lo, exec_lo, s3
	s_cbranch_execz .LBB171_62
.LBB171_61:
	v_add_nc_u32_e32 v0, v1, v4
	v_mov_b32_e32 v1, 0
	v_bfe_u32 v2, v17, 16, 1
	v_cmp_o_f32_e32 vcc_lo, v17, v17
	v_mov_b32_e32 v3, 0x7fc0
	v_lshlrev_b64 v[0:1], 1, v[0:1]
	v_add3_u32 v2, v17, v2, 0x7fff
	v_cndmask_b32_sdwa v2, v3, v2, vcc_lo dst_sel:DWORD dst_unused:UNUSED_PAD src0_sel:DWORD src1_sel:WORD_1
	s_waitcnt lgkmcnt(0)
	v_add_co_u32 v0, vcc_lo, s12, v0
	v_add_co_ci_u32_e64 v1, null, s13, v1, vcc_lo
	global_store_short v[0:1], v2, off
.LBB171_62:
	s_endpgm
.LBB171_63:
	v_add_nc_u32_e32 v6, v5, v0
	v_mov_b32_e32 v7, 0
	v_bfe_u32 v8, v51, 16, 1
	v_cmp_o_f32_e32 vcc_lo, v51, v51
	v_mov_b32_e32 v9, 0x7fc0
	v_lshlrev_b64 v[6:7], 1, v[6:7]
	v_add3_u32 v8, v51, v8, 0x7fff
	v_cndmask_b32_sdwa v8, v9, v8, vcc_lo dst_sel:DWORD dst_unused:UNUSED_PAD src0_sel:DWORD src1_sel:WORD_1
	s_waitcnt lgkmcnt(0)
	v_add_co_u32 v6, vcc_lo, s12, v6
	v_add_co_ci_u32_e64 v7, null, s13, v7, vcc_lo
	global_store_short v[6:7], v8, off
	s_or_b32 exec_lo, exec_lo, s4
	s_and_saveexec_b32 s4, s1
	s_cbranch_execz .LBB171_23
.LBB171_64:
	v_add_nc_u32_e32 v6, v5, v2
	v_mov_b32_e32 v7, 0
	v_bfe_u32 v8, v49, 16, 1
	v_cmp_o_f32_e32 vcc_lo, v49, v49
	v_mov_b32_e32 v9, 0x7fc0
	v_lshlrev_b64 v[6:7], 1, v[6:7]
	v_add3_u32 v8, v49, v8, 0x7fff
	v_cndmask_b32_sdwa v8, v9, v8, vcc_lo dst_sel:DWORD dst_unused:UNUSED_PAD src0_sel:DWORD src1_sel:WORD_1
	s_waitcnt lgkmcnt(0)
	v_add_co_u32 v6, vcc_lo, s12, v6
	v_add_co_ci_u32_e64 v7, null, s13, v7, vcc_lo
	global_store_short v[6:7], v8, off
	s_or_b32 exec_lo, exec_lo, s4
	s_and_saveexec_b32 s4, s2
	s_cbranch_execz .LBB171_24
.LBB171_65:
	v_add_nc_u32_e32 v6, v5, v3
	v_mov_b32_e32 v7, 0
	v_bfe_u32 v8, v48, 16, 1
	v_cmp_o_f32_e32 vcc_lo, v48, v48
	v_mov_b32_e32 v9, 0x7fc0
	v_lshlrev_b64 v[6:7], 1, v[6:7]
	v_add3_u32 v8, v48, v8, 0x7fff
	v_cndmask_b32_sdwa v8, v9, v8, vcc_lo dst_sel:DWORD dst_unused:UNUSED_PAD src0_sel:DWORD src1_sel:WORD_1
	s_waitcnt lgkmcnt(0)
	v_add_co_u32 v6, vcc_lo, s12, v6
	v_add_co_ci_u32_e64 v7, null, s13, v7, vcc_lo
	global_store_short v[6:7], v8, off
	s_or_b32 exec_lo, exec_lo, s4
	s_and_saveexec_b32 s4, s3
	s_cbranch_execnz .LBB171_25
	s_branch .LBB171_26
.LBB171_66:
	v_add_nc_u32_e32 v6, v5, v0
	v_mov_b32_e32 v7, 0
	v_bfe_u32 v8, v42, 16, 1
	v_cmp_o_f32_e32 vcc_lo, v42, v42
	v_mov_b32_e32 v9, 0x7fc0
	v_lshlrev_b64 v[6:7], 1, v[6:7]
	v_add3_u32 v8, v42, v8, 0x7fff
	v_cndmask_b32_sdwa v8, v9, v8, vcc_lo dst_sel:DWORD dst_unused:UNUSED_PAD src0_sel:DWORD src1_sel:WORD_1
	s_waitcnt lgkmcnt(0)
	v_add_co_u32 v6, vcc_lo, s12, v6
	v_add_co_ci_u32_e64 v7, null, s13, v7, vcc_lo
	global_store_short v[6:7], v8, off
	s_or_b32 exec_lo, exec_lo, s4
	s_and_saveexec_b32 s4, s1
	s_cbranch_execz .LBB171_29
.LBB171_67:
	v_add_nc_u32_e32 v6, v5, v2
	v_mov_b32_e32 v7, 0
	v_bfe_u32 v8, v41, 16, 1
	v_cmp_o_f32_e32 vcc_lo, v41, v41
	v_mov_b32_e32 v9, 0x7fc0
	v_lshlrev_b64 v[6:7], 1, v[6:7]
	v_add3_u32 v8, v41, v8, 0x7fff
	v_cndmask_b32_sdwa v8, v9, v8, vcc_lo dst_sel:DWORD dst_unused:UNUSED_PAD src0_sel:DWORD src1_sel:WORD_1
	s_waitcnt lgkmcnt(0)
	v_add_co_u32 v6, vcc_lo, s12, v6
	v_add_co_ci_u32_e64 v7, null, s13, v7, vcc_lo
	global_store_short v[6:7], v8, off
	s_or_b32 exec_lo, exec_lo, s4
	s_and_saveexec_b32 s4, s2
	s_cbranch_execz .LBB171_30
.LBB171_68:
	v_add_nc_u32_e32 v6, v5, v3
	v_mov_b32_e32 v7, 0
	v_bfe_u32 v8, v39, 16, 1
	v_cmp_o_f32_e32 vcc_lo, v39, v39
	v_mov_b32_e32 v9, 0x7fc0
	v_lshlrev_b64 v[6:7], 1, v[6:7]
	v_add3_u32 v8, v39, v8, 0x7fff
	v_cndmask_b32_sdwa v8, v9, v8, vcc_lo dst_sel:DWORD dst_unused:UNUSED_PAD src0_sel:DWORD src1_sel:WORD_1
	s_waitcnt lgkmcnt(0)
	v_add_co_u32 v6, vcc_lo, s12, v6
	v_add_co_ci_u32_e64 v7, null, s13, v7, vcc_lo
	global_store_short v[6:7], v8, off
	s_or_b32 exec_lo, exec_lo, s4
	s_and_saveexec_b32 s4, s3
	s_cbranch_execnz .LBB171_31
	s_branch .LBB171_32
.LBB171_69:
	v_add_nc_u32_e32 v6, v5, v0
	v_mov_b32_e32 v7, 0
	v_bfe_u32 v8, v37, 16, 1
	v_cmp_o_f32_e32 vcc_lo, v37, v37
	v_mov_b32_e32 v9, 0x7fc0
	v_lshlrev_b64 v[6:7], 1, v[6:7]
	v_add3_u32 v8, v37, v8, 0x7fff
	v_cndmask_b32_sdwa v8, v9, v8, vcc_lo dst_sel:DWORD dst_unused:UNUSED_PAD src0_sel:DWORD src1_sel:WORD_1
	s_waitcnt lgkmcnt(0)
	v_add_co_u32 v6, vcc_lo, s12, v6
	v_add_co_ci_u32_e64 v7, null, s13, v7, vcc_lo
	global_store_short v[6:7], v8, off
	s_or_b32 exec_lo, exec_lo, s4
	s_and_saveexec_b32 s4, s1
	s_cbranch_execz .LBB171_35
.LBB171_70:
	v_add_nc_u32_e32 v6, v5, v2
	v_mov_b32_e32 v7, 0
	v_bfe_u32 v8, v36, 16, 1
	v_cmp_o_f32_e32 vcc_lo, v36, v36
	v_mov_b32_e32 v9, 0x7fc0
	v_lshlrev_b64 v[6:7], 1, v[6:7]
	v_add3_u32 v8, v36, v8, 0x7fff
	v_cndmask_b32_sdwa v8, v9, v8, vcc_lo dst_sel:DWORD dst_unused:UNUSED_PAD src0_sel:DWORD src1_sel:WORD_1
	s_waitcnt lgkmcnt(0)
	v_add_co_u32 v6, vcc_lo, s12, v6
	v_add_co_ci_u32_e64 v7, null, s13, v7, vcc_lo
	global_store_short v[6:7], v8, off
	s_or_b32 exec_lo, exec_lo, s4
	s_and_saveexec_b32 s4, s2
	s_cbranch_execz .LBB171_36
.LBB171_71:
	v_add_nc_u32_e32 v6, v5, v3
	v_mov_b32_e32 v7, 0
	v_bfe_u32 v8, v34, 16, 1
	v_cmp_o_f32_e32 vcc_lo, v34, v34
	v_mov_b32_e32 v9, 0x7fc0
	v_lshlrev_b64 v[6:7], 1, v[6:7]
	v_add3_u32 v8, v34, v8, 0x7fff
	v_cndmask_b32_sdwa v8, v9, v8, vcc_lo dst_sel:DWORD dst_unused:UNUSED_PAD src0_sel:DWORD src1_sel:WORD_1
	s_waitcnt lgkmcnt(0)
	v_add_co_u32 v6, vcc_lo, s12, v6
	v_add_co_ci_u32_e64 v7, null, s13, v7, vcc_lo
	global_store_short v[6:7], v8, off
	s_or_b32 exec_lo, exec_lo, s4
	s_and_saveexec_b32 s4, s3
	s_cbranch_execnz .LBB171_37
	s_branch .LBB171_38
.LBB171_72:
	v_add_nc_u32_e32 v6, v5, v0
	v_mov_b32_e32 v7, 0
	v_bfe_u32 v8, v32, 16, 1
	v_cmp_o_f32_e32 vcc_lo, v32, v32
	v_mov_b32_e32 v9, 0x7fc0
	v_lshlrev_b64 v[6:7], 1, v[6:7]
	v_add3_u32 v8, v32, v8, 0x7fff
	v_cndmask_b32_sdwa v8, v9, v8, vcc_lo dst_sel:DWORD dst_unused:UNUSED_PAD src0_sel:DWORD src1_sel:WORD_1
	s_waitcnt lgkmcnt(0)
	v_add_co_u32 v6, vcc_lo, s12, v6
	v_add_co_ci_u32_e64 v7, null, s13, v7, vcc_lo
	global_store_short v[6:7], v8, off
	s_or_b32 exec_lo, exec_lo, s4
	s_and_saveexec_b32 s4, s1
	s_cbranch_execz .LBB171_41
.LBB171_73:
	v_add_nc_u32_e32 v6, v5, v2
	v_mov_b32_e32 v7, 0
	v_bfe_u32 v8, v31, 16, 1
	v_cmp_o_f32_e32 vcc_lo, v31, v31
	v_mov_b32_e32 v9, 0x7fc0
	v_lshlrev_b64 v[6:7], 1, v[6:7]
	v_add3_u32 v8, v31, v8, 0x7fff
	v_cndmask_b32_sdwa v8, v9, v8, vcc_lo dst_sel:DWORD dst_unused:UNUSED_PAD src0_sel:DWORD src1_sel:WORD_1
	s_waitcnt lgkmcnt(0)
	v_add_co_u32 v6, vcc_lo, s12, v6
	v_add_co_ci_u32_e64 v7, null, s13, v7, vcc_lo
	global_store_short v[6:7], v8, off
	s_or_b32 exec_lo, exec_lo, s4
	s_and_saveexec_b32 s4, s2
	s_cbranch_execz .LBB171_42
.LBB171_74:
	v_add_nc_u32_e32 v6, v5, v3
	v_mov_b32_e32 v7, 0
	v_bfe_u32 v8, v30, 16, 1
	v_cmp_o_f32_e32 vcc_lo, v30, v30
	v_mov_b32_e32 v9, 0x7fc0
	v_lshlrev_b64 v[6:7], 1, v[6:7]
	v_add3_u32 v8, v30, v8, 0x7fff
	v_cndmask_b32_sdwa v8, v9, v8, vcc_lo dst_sel:DWORD dst_unused:UNUSED_PAD src0_sel:DWORD src1_sel:WORD_1
	s_waitcnt lgkmcnt(0)
	v_add_co_u32 v6, vcc_lo, s12, v6
	v_add_co_ci_u32_e64 v7, null, s13, v7, vcc_lo
	global_store_short v[6:7], v8, off
	s_or_b32 exec_lo, exec_lo, s4
	s_and_saveexec_b32 s4, s3
	s_cbranch_execnz .LBB171_43
	s_branch .LBB171_44
.LBB171_75:
	v_add_nc_u32_e32 v6, v5, v0
	v_mov_b32_e32 v7, 0
	v_bfe_u32 v8, v28, 16, 1
	v_cmp_o_f32_e32 vcc_lo, v28, v28
	v_mov_b32_e32 v9, 0x7fc0
	v_lshlrev_b64 v[6:7], 1, v[6:7]
	v_add3_u32 v8, v28, v8, 0x7fff
	v_cndmask_b32_sdwa v8, v9, v8, vcc_lo dst_sel:DWORD dst_unused:UNUSED_PAD src0_sel:DWORD src1_sel:WORD_1
	s_waitcnt lgkmcnt(0)
	v_add_co_u32 v6, vcc_lo, s12, v6
	v_add_co_ci_u32_e64 v7, null, s13, v7, vcc_lo
	global_store_short v[6:7], v8, off
	s_or_b32 exec_lo, exec_lo, s4
	s_and_saveexec_b32 s4, s1
	s_cbranch_execz .LBB171_47
.LBB171_76:
	v_add_nc_u32_e32 v6, v5, v2
	v_mov_b32_e32 v7, 0
	v_bfe_u32 v8, v27, 16, 1
	v_cmp_o_f32_e32 vcc_lo, v27, v27
	v_mov_b32_e32 v9, 0x7fc0
	v_lshlrev_b64 v[6:7], 1, v[6:7]
	v_add3_u32 v8, v27, v8, 0x7fff
	v_cndmask_b32_sdwa v8, v9, v8, vcc_lo dst_sel:DWORD dst_unused:UNUSED_PAD src0_sel:DWORD src1_sel:WORD_1
	s_waitcnt lgkmcnt(0)
	v_add_co_u32 v6, vcc_lo, s12, v6
	v_add_co_ci_u32_e64 v7, null, s13, v7, vcc_lo
	global_store_short v[6:7], v8, off
	s_or_b32 exec_lo, exec_lo, s4
	s_and_saveexec_b32 s4, s2
	s_cbranch_execz .LBB171_48
.LBB171_77:
	v_add_nc_u32_e32 v6, v5, v3
	v_mov_b32_e32 v7, 0
	v_bfe_u32 v8, v26, 16, 1
	v_cmp_o_f32_e32 vcc_lo, v26, v26
	v_mov_b32_e32 v9, 0x7fc0
	v_lshlrev_b64 v[6:7], 1, v[6:7]
	v_add3_u32 v8, v26, v8, 0x7fff
	v_cndmask_b32_sdwa v8, v9, v8, vcc_lo dst_sel:DWORD dst_unused:UNUSED_PAD src0_sel:DWORD src1_sel:WORD_1
	s_waitcnt lgkmcnt(0)
	v_add_co_u32 v6, vcc_lo, s12, v6
	v_add_co_ci_u32_e64 v7, null, s13, v7, vcc_lo
	global_store_short v[6:7], v8, off
	s_or_b32 exec_lo, exec_lo, s4
	s_and_saveexec_b32 s4, s3
	s_cbranch_execnz .LBB171_49
	s_branch .LBB171_50
.LBB171_78:
	v_add_nc_u32_e32 v6, v5, v0
	v_mov_b32_e32 v7, 0
	v_bfe_u32 v8, v24, 16, 1
	v_cmp_o_f32_e32 vcc_lo, v24, v24
	v_mov_b32_e32 v9, 0x7fc0
	v_lshlrev_b64 v[6:7], 1, v[6:7]
	v_add3_u32 v8, v24, v8, 0x7fff
	v_cndmask_b32_sdwa v8, v9, v8, vcc_lo dst_sel:DWORD dst_unused:UNUSED_PAD src0_sel:DWORD src1_sel:WORD_1
	s_waitcnt lgkmcnt(0)
	v_add_co_u32 v6, vcc_lo, s12, v6
	v_add_co_ci_u32_e64 v7, null, s13, v7, vcc_lo
	global_store_short v[6:7], v8, off
	s_or_b32 exec_lo, exec_lo, s4
	s_and_saveexec_b32 s4, s1
	s_cbranch_execz .LBB171_53
.LBB171_79:
	v_add_nc_u32_e32 v6, v5, v2
	v_mov_b32_e32 v7, 0
	v_bfe_u32 v8, v23, 16, 1
	v_cmp_o_f32_e32 vcc_lo, v23, v23
	v_mov_b32_e32 v9, 0x7fc0
	v_lshlrev_b64 v[6:7], 1, v[6:7]
	v_add3_u32 v8, v23, v8, 0x7fff
	v_cndmask_b32_sdwa v8, v9, v8, vcc_lo dst_sel:DWORD dst_unused:UNUSED_PAD src0_sel:DWORD src1_sel:WORD_1
	s_waitcnt lgkmcnt(0)
	v_add_co_u32 v6, vcc_lo, s12, v6
	v_add_co_ci_u32_e64 v7, null, s13, v7, vcc_lo
	global_store_short v[6:7], v8, off
	s_or_b32 exec_lo, exec_lo, s4
	s_and_saveexec_b32 s4, s2
	s_cbranch_execz .LBB171_54
.LBB171_80:
	v_add_nc_u32_e32 v6, v5, v3
	v_mov_b32_e32 v7, 0
	v_bfe_u32 v8, v22, 16, 1
	v_cmp_o_f32_e32 vcc_lo, v22, v22
	v_mov_b32_e32 v9, 0x7fc0
	v_lshlrev_b64 v[6:7], 1, v[6:7]
	v_add3_u32 v8, v22, v8, 0x7fff
	v_cndmask_b32_sdwa v8, v9, v8, vcc_lo dst_sel:DWORD dst_unused:UNUSED_PAD src0_sel:DWORD src1_sel:WORD_1
	s_waitcnt lgkmcnt(0)
	v_add_co_u32 v6, vcc_lo, s12, v6
	v_add_co_ci_u32_e64 v7, null, s13, v7, vcc_lo
	global_store_short v[6:7], v8, off
	s_or_b32 exec_lo, exec_lo, s4
	s_and_saveexec_b32 s4, s3
	s_cbranch_execnz .LBB171_55
	s_branch .LBB171_56
.LBB171_81:
	v_add_nc_u32_e32 v5, v1, v0
	v_mov_b32_e32 v6, 0
	v_bfe_u32 v7, v20, 16, 1
	v_cmp_o_f32_e32 vcc_lo, v20, v20
	v_mov_b32_e32 v0, 0x7fc0
	v_lshlrev_b64 v[5:6], 1, v[5:6]
	v_add3_u32 v7, v20, v7, 0x7fff
	v_cndmask_b32_sdwa v0, v0, v7, vcc_lo dst_sel:DWORD dst_unused:UNUSED_PAD src0_sel:DWORD src1_sel:WORD_1
	s_waitcnt lgkmcnt(0)
	v_add_co_u32 v5, vcc_lo, s12, v5
	v_add_co_ci_u32_e64 v6, null, s13, v6, vcc_lo
	global_store_short v[5:6], v0, off
	s_or_b32 exec_lo, exec_lo, s4
	s_and_saveexec_b32 s0, s1
	s_cbranch_execz .LBB171_59
.LBB171_82:
	v_add_nc_u32_e32 v5, v1, v2
	v_mov_b32_e32 v6, 0
	v_bfe_u32 v0, v19, 16, 1
	v_cmp_o_f32_e32 vcc_lo, v19, v19
	v_mov_b32_e32 v2, 0x7fc0
	v_lshlrev_b64 v[5:6], 1, v[5:6]
	v_add3_u32 v0, v19, v0, 0x7fff
	v_cndmask_b32_sdwa v0, v2, v0, vcc_lo dst_sel:DWORD dst_unused:UNUSED_PAD src0_sel:DWORD src1_sel:WORD_1
	s_waitcnt lgkmcnt(0)
	v_add_co_u32 v5, vcc_lo, s12, v5
	v_add_co_ci_u32_e64 v6, null, s13, v6, vcc_lo
	global_store_short v[5:6], v0, off
	s_or_b32 exec_lo, exec_lo, s0
	s_and_saveexec_b32 s0, s2
	s_cbranch_execz .LBB171_60
.LBB171_83:
	v_add_nc_u32_e32 v2, v1, v3
	v_mov_b32_e32 v3, 0
	v_bfe_u32 v0, v18, 16, 1
	v_cmp_o_f32_e32 vcc_lo, v18, v18
	v_mov_b32_e32 v5, 0x7fc0
	v_lshlrev_b64 v[2:3], 1, v[2:3]
	v_add3_u32 v0, v18, v0, 0x7fff
	v_cndmask_b32_sdwa v0, v5, v0, vcc_lo dst_sel:DWORD dst_unused:UNUSED_PAD src0_sel:DWORD src1_sel:WORD_1
	s_waitcnt lgkmcnt(0)
	v_add_co_u32 v2, vcc_lo, s12, v2
	v_add_co_ci_u32_e64 v3, null, s13, v3, vcc_lo
	global_store_short v[2:3], v0, off
	s_or_b32 exec_lo, exec_lo, s0
	s_and_b32 exec_lo, exec_lo, s3
	s_cbranch_execnz .LBB171_61
	s_branch .LBB171_62
	.section	.rodata,"a",@progbits
	.p2align	6, 0x0
	.amdhsa_kernel _ZL12mul_mat_q4_KIN3c108BFloat16ELb0EEvPKvS3_PT_iiiii
		.amdhsa_group_segment_fixed_size 28752
		.amdhsa_private_segment_fixed_size 0
		.amdhsa_kernarg_size 44
		.amdhsa_user_sgpr_count 6
		.amdhsa_user_sgpr_private_segment_buffer 1
		.amdhsa_user_sgpr_dispatch_ptr 0
		.amdhsa_user_sgpr_queue_ptr 0
		.amdhsa_user_sgpr_kernarg_segment_ptr 1
		.amdhsa_user_sgpr_dispatch_id 0
		.amdhsa_user_sgpr_flat_scratch_init 0
		.amdhsa_user_sgpr_private_segment_size 0
		.amdhsa_wavefront_size32 1
		.amdhsa_uses_dynamic_stack 0
		.amdhsa_system_sgpr_private_segment_wavefront_offset 0
		.amdhsa_system_sgpr_workgroup_id_x 1
		.amdhsa_system_sgpr_workgroup_id_y 1
		.amdhsa_system_sgpr_workgroup_id_z 0
		.amdhsa_system_sgpr_workgroup_info 0
		.amdhsa_system_vgpr_workitem_id 1
		.amdhsa_next_free_vgpr 255
		.amdhsa_next_free_sgpr 17
		.amdhsa_reserve_vcc 1
		.amdhsa_reserve_flat_scratch 0
		.amdhsa_float_round_mode_32 0
		.amdhsa_float_round_mode_16_64 0
		.amdhsa_float_denorm_mode_32 3
		.amdhsa_float_denorm_mode_16_64 3
		.amdhsa_dx10_clamp 1
		.amdhsa_ieee_mode 1
		.amdhsa_fp16_overflow 0
		.amdhsa_workgroup_processor_mode 1
		.amdhsa_memory_ordered 1
		.amdhsa_forward_progress 1
		.amdhsa_shared_vgpr_count 0
		.amdhsa_exception_fp_ieee_invalid_op 0
		.amdhsa_exception_fp_denorm_src 0
		.amdhsa_exception_fp_ieee_div_zero 0
		.amdhsa_exception_fp_ieee_overflow 0
		.amdhsa_exception_fp_ieee_underflow 0
		.amdhsa_exception_fp_ieee_inexact 0
		.amdhsa_exception_int_div_zero 0
	.end_amdhsa_kernel
	.section	.text._ZL12mul_mat_q4_KIN3c108BFloat16ELb0EEvPKvS3_PT_iiiii,"axG",@progbits,_ZL12mul_mat_q4_KIN3c108BFloat16ELb0EEvPKvS3_PT_iiiii,comdat
.Lfunc_end171:
	.size	_ZL12mul_mat_q4_KIN3c108BFloat16ELb0EEvPKvS3_PT_iiiii, .Lfunc_end171-_ZL12mul_mat_q4_KIN3c108BFloat16ELb0EEvPKvS3_PT_iiiii
                                        ; -- End function
	.set _ZL12mul_mat_q4_KIN3c108BFloat16ELb0EEvPKvS3_PT_iiiii.num_vgpr, 255
	.set _ZL12mul_mat_q4_KIN3c108BFloat16ELb0EEvPKvS3_PT_iiiii.num_agpr, 0
	.set _ZL12mul_mat_q4_KIN3c108BFloat16ELb0EEvPKvS3_PT_iiiii.numbered_sgpr, 17
	.set _ZL12mul_mat_q4_KIN3c108BFloat16ELb0EEvPKvS3_PT_iiiii.num_named_barrier, 0
	.set _ZL12mul_mat_q4_KIN3c108BFloat16ELb0EEvPKvS3_PT_iiiii.private_seg_size, 0
	.set _ZL12mul_mat_q4_KIN3c108BFloat16ELb0EEvPKvS3_PT_iiiii.uses_vcc, 1
	.set _ZL12mul_mat_q4_KIN3c108BFloat16ELb0EEvPKvS3_PT_iiiii.uses_flat_scratch, 0
	.set _ZL12mul_mat_q4_KIN3c108BFloat16ELb0EEvPKvS3_PT_iiiii.has_dyn_sized_stack, 0
	.set _ZL12mul_mat_q4_KIN3c108BFloat16ELb0EEvPKvS3_PT_iiiii.has_recursion, 0
	.set _ZL12mul_mat_q4_KIN3c108BFloat16ELb0EEvPKvS3_PT_iiiii.has_indirect_call, 0
	.section	.AMDGPU.csdata,"",@progbits
; Kernel info:
; codeLenInByte = 19576
; TotalNumSgprs: 19
; NumVgprs: 255
; ScratchSize: 0
; MemoryBound: 0
; FloatMode: 240
; IeeeMode: 1
; LDSByteSize: 28752 bytes/workgroup (compile time only)
; SGPRBlocks: 0
; VGPRBlocks: 31
; NumSGPRsForWavesPerEU: 19
; NumVGPRsForWavesPerEU: 255
; Occupancy: 4
; WaveLimiterHint : 0
; COMPUTE_PGM_RSRC2:SCRATCH_EN: 0
; COMPUTE_PGM_RSRC2:USER_SGPR: 6
; COMPUTE_PGM_RSRC2:TRAP_HANDLER: 0
; COMPUTE_PGM_RSRC2:TGID_X_EN: 1
; COMPUTE_PGM_RSRC2:TGID_Y_EN: 1
; COMPUTE_PGM_RSRC2:TGID_Z_EN: 0
; COMPUTE_PGM_RSRC2:TIDIG_COMP_CNT: 1
	.section	.text._ZL12mul_mat_q4_KIN3c108BFloat16ELb1EEvPKvS3_PT_iiiii,"axG",@progbits,_ZL12mul_mat_q4_KIN3c108BFloat16ELb1EEvPKvS3_PT_iiiii,comdat
	.globl	_ZL12mul_mat_q4_KIN3c108BFloat16ELb1EEvPKvS3_PT_iiiii ; -- Begin function _ZL12mul_mat_q4_KIN3c108BFloat16ELb1EEvPKvS3_PT_iiiii
	.p2align	8
	.type	_ZL12mul_mat_q4_KIN3c108BFloat16ELb1EEvPKvS3_PT_iiiii,@function
_ZL12mul_mat_q4_KIN3c108BFloat16ELb1EEvPKvS3_PT_iiiii: ; @_ZL12mul_mat_q4_KIN3c108BFloat16ELb1EEvPKvS3_PT_iiiii
; %bb.0:
	s_clause 0x1
	s_load_dwordx4 s[8:11], s[4:5], 0x18
	s_load_dword s14, s[4:5], 0x28
	s_lshl_b32 s7, s7, 6
	v_add_nc_u32_e32 v52, s7, v1
	s_waitcnt lgkmcnt(0)
	s_cmpk_gt_i32 s8, 0xff
	s_cbranch_scc1 .LBB172_2
; %bb.1:
	v_add_nc_u32_e32 v2, s7, v1
	s_mov_b32 s0, 0
	s_branch .LBB172_3
.LBB172_2:
	s_mov_b32 s0, -1
                                        ; implicit-def: $vgpr2
.LBB172_3:
	s_load_dwordx2 s[12:13], s[4:5], 0x10
	v_mov_b32_e32 v34, 0
	v_mov_b32_e32 v38, 0
	;; [unrolled: 1-line block ×32, first 2 shown]
	s_andn2_b32 vcc_lo, exec_lo, s0
	s_lshl_b32 s6, s6, 7
	s_cbranch_vccnz .LBB172_11
; %bb.4:
	s_load_dwordx4 s[0:3], s[4:5], 0x0
	s_ashr_i32 s4, s8, 31
	s_ashr_i32 s5, s11, 31
	s_lshr_b32 s4, s4, 24
	s_lshr_b32 s5, s5, 27
	s_add_i32 s4, s8, s4
	s_add_i32 s5, s11, s5
	s_ashr_i32 s4, s4, 8
	s_ashr_i32 s11, s5, 5
	s_mul_i32 s8, s4, s6
	v_lshlrev_b32_e32 v6, 2, v0
	s_mul_i32 s5, s8, 0x90
	s_mul_hi_i32 s8, s8, 0x90
	v_add_nc_u32_e32 v5, 8, v1
	v_add_nc_u32_e32 v39, 16, v1
	;; [unrolled: 1-line block ×7, first 2 shown]
	s_waitcnt lgkmcnt(0)
	s_add_u32 s5, s0, s5
	s_addc_u32 s8, s1, s8
	s_not_b32 s0, s6
	v_lshlrev_b32_e32 v71, 5, v1
	s_add_i32 s0, s9, s0
	v_lshrrev_b32_e32 v23, 2, v0
	v_min_i32_e32 v2, s0, v1
	v_min_i32_e32 v3, s0, v5
	;; [unrolled: 1-line block ×3, first 2 shown]
	v_add_nc_u32_e32 v17, v71, v0
	v_lshl_add_u32 v45, v1, 3, v23
	v_mad_u64_u32 v[7:8], null, 0x84, v2, v[6:7]
	v_mul_lo_u32 v60, v2, s4
	v_min_i32_e32 v2, s0, v40
	v_mul_lo_u32 v61, v3, s4
	v_mul_lo_u32 v62, v4, s4
	v_and_b32_e32 v18, 0x7f, v17
	v_add_nc_u32_e32 v28, 16, v52
	v_mad_u64_u32 v[8:9], null, 0x84, v3, v[6:7]
	v_min_i32_e32 v3, s0, v41
	v_mad_u64_u32 v[9:10], null, 0x84, v4, v[6:7]
	v_mul_lo_u32 v64, v2, s4
	v_mad_u64_u32 v[10:11], null, 0x84, v2, v[6:7]
	v_min_i32_e32 v2, s0, v42
	v_mul_lo_u32 v65, v3, s4
	v_mad_u64_u32 v[11:12], null, 0x84, v3, v[6:7]
	v_min_i32_e32 v3, s0, v43
	v_add_nc_u32_e32 v4, 64, v1
	v_mad_u64_u32 v[12:13], null, 0x84, v2, v[6:7]
	v_mul_lo_u32 v66, v2, s4
	v_min_i32_e32 v2, s0, v44
	v_mul_lo_u32 v67, v3, s4
	v_mad_u64_u32 v[13:14], null, 0x84, v3, v[6:7]
	v_min_i32_e32 v3, s0, v4
	v_add_nc_u32_e32 v4, 0x48, v1
	v_mul_lo_u32 v68, v2, s4
	v_mad_u64_u32 v[14:15], null, 0x84, v2, v[6:7]
	v_mul_lo_u32 v72, v3, s4
	v_min_i32_e32 v2, s0, v4
	v_add_nc_u32_e32 v4, 0x50, v1
	v_mad_u64_u32 v[15:16], null, 0x84, v3, v[6:7]
	v_min_i32_e32 v24, s0, v18
	v_mul_lo_u32 v73, v2, s4
	v_min_i32_e32 v3, s0, v4
	v_add_nc_u32_e32 v4, 0x58, v1
	v_mad_u64_u32 v[16:17], null, 0x84, v2, v[6:7]
	v_ashrrev_i32_e32 v20, 31, v24
	v_mul_lo_u32 v74, v3, s4
	v_min_i32_e32 v2, s0, v4
	v_add_nc_u32_e32 v4, 0x60, v1
	v_mad_u64_u32 v[17:18], null, 0x84, v3, v[6:7]
	v_lshrrev_b32_e32 v21, 27, v20
	v_mul_lo_u32 v75, v2, s4
	v_min_i32_e32 v3, s0, v4
	v_add_nc_u32_e32 v4, 0x68, v1
	v_mad_u64_u32 v[18:19], null, 0x84, v2, v[6:7]
	v_add_nc_u32_e32 v22, v24, v21
	v_mul_lo_u32 v76, v3, s4
	v_min_i32_e32 v2, s0, v4
	v_add_nc_u32_e32 v4, 0x70, v1
	v_mad_u64_u32 v[19:20], null, 0x84, v3, v[6:7]
	v_ashrrev_i32_e32 v23, 5, v22
	v_mad_u64_u32 v[20:21], null, 0x84, v2, v[6:7]
	v_min_i32_e32 v3, s0, v4
	v_mul_lo_u32 v78, v2, s4
	v_and_b32_e32 v2, 3, v0
	v_add_nc_u32_e32 v4, 0x78, v1
	v_lshlrev_b32_e32 v25, 2, v23
	v_mul_lo_u32 v79, v3, s4
	v_mad_u64_u32 v[21:22], null, 0x84, v3, v[6:7]
	v_and_b32_e32 v3, 0x7f, v45
	v_lshlrev_b32_e32 v26, 2, v24
	v_add_nc_u32_e32 v27, 0xfe, v2
	v_min_i32_e32 v4, s0, v4
	v_add_nc_u32_e32 v29, 24, v52
	v_min_i32_e32 v46, s0, v3
	v_add3_u32 v83, v25, v26, 0x6e40
	v_and_b32_e32 v35, 0xff, v27
	v_add_nc_u32_e32 v25, 8, v52
	v_xor_b32_e32 v27, 64, v3
	v_ashrrev_i32_e32 v37, 31, v46
	v_add_nc_u32_e32 v31, 32, v52
	v_add_nc_u32_e32 v33, 40, v52
	;; [unrolled: 1-line block ×4, first 2 shown]
	v_cmp_gt_u32_e32 vcc_lo, 2, v2
	s_add_i32 s1, s10, -1
	v_mad_u64_u32 v[22:23], null, 0x84, v4, v[6:7]
	v_mul_lo_u32 v81, v4, s4
	v_mul_lo_u32 v82, v24, s4
	v_cvt_f64_i32_e32 v[3:4], s1
	v_cvt_f64_u32_e32 v[23:24], v52
	v_cvt_f64_u32_e32 v[25:26], v25
	v_min_i32_e32 v47, s0, v27
	v_cvt_f64_u32_e32 v[27:28], v28
	v_cvt_f64_u32_e32 v[29:30], v29
	;; [unrolled: 1-line block ×4, first 2 shown]
	v_cndmask_b32_e32 v48, v35, v2, vcc_lo
	v_cvt_f64_u32_e32 v[35:36], v36
	v_lshrrev_b32_e32 v49, 29, v37
	v_cvt_f64_u32_e32 v[37:38], v38
	v_cmp_ne_u32_e32 vcc_lo, 0, v2
	v_lshlrev_b32_e32 v88, 1, v48
	v_ashrrev_i32_e32 v50, 31, v47
	v_lshlrev_b32_e32 v54, 2, v2
	v_add_nc_u32_e32 v49, v46, v49
	v_add_co_ci_u32_e64 v51, null, 0, v48, vcc_lo
	v_lshrrev_b32_e32 v50, 29, v50
	v_lshrrev_b32_e32 v57, 5, v0
	v_ashrrev_i32_e32 v49, 3, v49
	v_and_b32_e32 v53, 4, v6
	v_min_f64 v[23:24], v[23:24], v[3:4]
	v_min_f64 v[25:26], v[25:26], v[3:4]
	v_add_nc_u32_e32 v50, v47, v50
	v_min_f64 v[27:28], v[27:28], v[3:4]
	v_min_f64 v[29:30], v[29:30], v[3:4]
	;; [unrolled: 1-line block ×4, first 2 shown]
	v_ashrrev_i32_e32 v50, 3, v50
	v_min_f64 v[35:36], v[35:36], v[3:4]
	v_cmp_lt_u32_e32 vcc_lo, 1, v2
	v_min_f64 v[3:4], v[37:38], v[3:4]
	v_lshlrev_b32_e32 v49, 2, v49
	v_lshlrev_b32_e32 v37, 2, v50
	v_mul_lo_u32 v90, v47, s4
	s_movk_i32 s0, 0x1080
	v_cndmask_b32_e32 v87, 0, v53, vcc_lo
	v_cndmask_b32_e64 v53, 0, 1, vcc_lo
	v_mul_lo_u32 v89, v46, s4
	v_add3_u32 v38, v49, v54, 0x6200
	v_lshlrev_b32_e32 v46, 4, v46
	v_add3_u32 v37, v37, v54, 0x6200
	v_lshrrev_b32_e32 v93, 3, v0
	v_cvt_i32_f64_e32 v48, v[23:24]
	v_cvt_i32_f64_e32 v25, v[25:26]
	v_and_b32_e32 v23, 63, v45
	v_cvt_i32_f64_e32 v26, v[27:28]
	v_cvt_i32_f64_e32 v28, v[29:30]
	;; [unrolled: 1-line block ×4, first 2 shown]
	v_and_b32_e32 v24, 31, v0
	v_cvt_i32_f64_e32 v33, v[35:36]
	v_or_b32_e32 v30, s7, v23
	v_cvt_i32_f64_e32 v3, v[3:4]
	v_lshlrev_b32_e32 v27, 4, v47
	v_lshl_or_b32 v34, v24, 2, 0x4200
	v_and_b32_e32 v32, 28, v6
	v_min_i32_e32 v24, s1, v30
	v_lshl_or_b32 v30, v23, 4, v54
	v_lshlrev_b32_e32 v4, 7, v5
	v_lshlrev_b32_e32 v36, 7, v44
	v_mad_u32_u24 v115, 0x84, v0, s0
	s_movk_i32 s0, 0x2100
	v_add_nc_u32_e32 v92, 0x6a40, v30
	v_lshlrev_b32_e32 v30, 7, v42
	v_mul_lo_u32 v94, s11, v48
	v_mul_lo_u32 v95, s11, v25
	v_add_nc_u32_e32 v25, 64, v0
	v_mul_lo_u32 v96, s11, v26
	v_lshlrev_b32_e32 v26, 7, v39
	v_mul_lo_u32 v97, s11, v28
	v_lshlrev_b32_e32 v28, 7, v40
	v_lshrrev_b32_e32 v35, 3, v25
	v_mul_lo_u32 v100, s11, v33
	v_lshlrev_b32_e32 v33, 2, v57
	v_mad_u64_u32 v[23:24], null, v24, s11, v[2:3]
	v_add_nc_u32_e32 v24, 32, v0
	v_mul_lo_u32 v101, s11, v3
	v_add_nc_u32_e32 v3, 0x60, v0
	v_lshlrev_b32_e32 v2, 7, v1
	v_mul_lo_u32 v98, s11, v29
	v_lshrrev_b32_e32 v102, 3, v24
	v_lshlrev_b32_e32 v48, 2, v24
	v_lshrrev_b32_e32 v45, 3, v3
	v_lshlrev_b32_e32 v29, 7, v41
	v_mul_lo_u32 v99, s11, v31
	v_and_b32_e32 v47, 60, v102
	v_lshlrev_b32_e32 v31, 7, v43
	v_and_b32_e32 v24, 60, v45
	v_add3_u32 v103, v6, v33, 0x6e40
	v_and_b32_e32 v33, 60, v35
	v_add3_u32 v104, v6, v47, 0x6e40
	v_lshlrev_b32_e32 v47, 2, v25
	v_lshlrev_b32_e32 v3, 2, v3
	v_add3_u32 v106, v6, v24, 0x6e40
	s_movk_i32 s1, 0x3180
	v_mad_u32_u24 v116, 0x84, v0, s0
	v_add_co_u32 v24, s0, s2, v32
	v_and_b32_e32 v59, 0x7c, v6
	v_add3_u32 v105, v6, v33, 0x6e40
	v_lshlrev_b32_e32 v107, 5, v5
	v_lshlrev_b32_e32 v108, 5, v39
	;; [unrolled: 1-line block ×7, first 2 shown]
	v_mul_u32_u24_e32 v114, 0x84, v0
	v_mad_u32_u24 v117, 0x84, v0, s1
	v_add_co_ci_u32_e64 v25, null, s3, 0, s0
	v_mad_u32_u24 v118, 0x84, v0, 64
	v_lshl_add_u32 v119, v1, 4, 0x6a40
	v_add_nc_u32_e32 v120, 0x4200, v2
	v_lshlrev_b32_e32 v121, 4, v0
	v_lshlrev_b32_e32 v122, 2, v45
	;; [unrolled: 1-line block ×7, first 2 shown]
	v_add_nc_u32_e32 v128, v38, v46
	v_add_nc_u32_e32 v129, v37, v27
	v_add_nc_u32_e32 v130, v34, v2
	v_add_nc_u32_e32 v131, v34, v4
	v_add_nc_u32_e32 v132, v34, v26
	v_add_nc_u32_e32 v133, v34, v28
	v_add_nc_u32_e32 v134, v34, v29
	v_add_nc_u32_e32 v135, v34, v30
	v_add_nc_u32_e32 v136, v34, v31
	v_add_nc_u32_e32 v137, v34, v36
	v_lshlrev_b32_e32 v138, 2, v48
	v_lshlrev_b32_e32 v139, 2, v47
	;; [unrolled: 1-line block ×3, first 2 shown]
	v_mov_b32_e32 v141, 0xffff
	v_mov_b32_e32 v91, 0
	;; [unrolled: 1-line block ×33, first 2 shown]
	s_mov_b32 s9, 0
.LBB172_5:                              ; =>This Loop Header: Depth=1
                                        ;     Child Loop BB172_6 Depth 2
                                        ;     Child Loop BB172_8 Depth 2
	s_mul_i32 s0, s9, 0x90
	s_mul_hi_u32 s1, s9, 0x90
	s_add_u32 s0, s5, s0
	s_addc_u32 s1, s8, s1
	s_mov_b32 s11, 0
	v_mad_u64_u32 v[2:3], null, 0x90, v57, s[0:1]
	v_mad_i64_i32 v[4:5], null, 0x90, v60, v[2:3]
	v_add_co_u32 v4, vcc_lo, v4, v59
	v_add_co_ci_u32_e64 v5, null, 0, v5, vcc_lo
	global_load_dword v4, v[4:5], off offset:16
	s_waitcnt vmcnt(0)
	ds_write_b32 v7, v4
	v_mad_i64_i32 v[4:5], null, 0x90, v61, v[2:3]
	v_add_co_u32 v4, vcc_lo, v4, v59
	v_add_co_ci_u32_e64 v5, null, 0, v5, vcc_lo
	global_load_dword v4, v[4:5], off offset:16
	s_waitcnt vmcnt(0)
	ds_write_b32 v8, v4
	;; [unrolled: 6-line block ×14, first 2 shown]
	v_mad_i64_i32 v[4:5], null, 0x90, v79, v[2:3]
	v_mad_i64_i32 v[2:3], null, 0x90, v81, v[2:3]
	v_add_co_u32 v4, vcc_lo, v4, v59
	v_add_co_ci_u32_e64 v5, null, 0, v5, vcc_lo
	v_add_co_u32 v2, vcc_lo, v2, v59
	v_add_co_ci_u32_e64 v3, null, 0, v3, vcc_lo
	s_clause 0x1
	global_load_dword v4, v[4:5], off offset:16
	global_load_dword v2, v[2:3], off offset:16
	s_waitcnt vmcnt(1)
	ds_write_b32 v21, v4
	s_waitcnt vmcnt(0)
	ds_write_b32 v22, v2
	v_mad_i64_i32 v[2:3], null, 0x90, v82, s[0:1]
	global_load_dword v2, v[2:3], off
	s_waitcnt vmcnt(0)
	ds_write_b32 v83, v2
	v_mad_i64_i32 v[2:3], null, 0x90, v89, s[0:1]
	v_add_co_u32 v4, vcc_lo, v2, v126
	v_add_co_ci_u32_e64 v5, null, 0, v3, vcc_lo
	v_add_co_u32 v2, vcc_lo, v2, v127
	v_add_co_ci_u32_e64 v3, null, 0, v3, vcc_lo
	s_clause 0x1
	global_load_dword v4, v[4:5], off offset:4
	global_load_dword v2, v[2:3], off offset:4
	s_waitcnt vmcnt(1)
	v_ashrrev_i32_e32 v4, v87, v4
	s_waitcnt vmcnt(0)
	v_ashrrev_i32_e32 v2, v88, v2
	v_and_b32_e32 v4, 0xf0f0f0f, v4
	v_and_or_b32 v2, 0x30303030, v2, v4
	ds_write_b32 v128, v2
	v_mad_i64_i32 v[2:3], null, 0x90, v90, s[0:1]
	s_lshl_b32 s0, s9, 3
	s_mov_b32 s1, -1
	v_add_co_u32 v4, vcc_lo, v2, v126
	v_add_co_ci_u32_e64 v5, null, 0, v3, vcc_lo
	v_add_co_u32 v2, vcc_lo, v2, v127
	v_add_co_ci_u32_e64 v3, null, 0, v3, vcc_lo
	s_clause 0x1
	global_load_dword v4, v[4:5], off offset:4
	global_load_dword v2, v[2:3], off offset:4
	v_add_nc_u32_e32 v5, s0, v93
	v_add_nc_u32_e32 v3, v5, v94
	s_waitcnt vmcnt(1)
	v_ashrrev_i32_e32 v4, v87, v4
	s_waitcnt vmcnt(0)
	v_ashrrev_i32_e32 v2, v88, v2
	v_and_b32_e32 v4, 0xf0f0f0f, v4
	v_and_or_b32 v2, 0x30303030, v2, v4
	v_mad_i64_i32 v[3:4], null, v3, 36, v[24:25]
	ds_write_b32 v129, v2
	v_add_nc_u32_e32 v2, s0, v23
	global_load_dword v3, v[3:4], off offset:4
	s_waitcnt vmcnt(0)
	ds_write_b32 v130, v3
	v_add_nc_u32_e32 v3, v5, v95
	v_mad_i64_i32 v[3:4], null, v3, 36, v[24:25]
	global_load_dword v3, v[3:4], off offset:4
	s_waitcnt vmcnt(0)
	ds_write_b32 v131, v3
	v_add_nc_u32_e32 v3, v5, v96
	v_mad_i64_i32 v[3:4], null, v3, 36, v[24:25]
	global_load_dword v3, v[3:4], off offset:4
	s_waitcnt vmcnt(0)
	ds_write_b32 v132, v3
	v_add_nc_u32_e32 v3, v5, v97
	v_mad_i64_i32 v[3:4], null, v3, 36, v[24:25]
	global_load_dword v3, v[3:4], off offset:4
	s_waitcnt vmcnt(0)
	ds_write_b32 v133, v3
	v_add_nc_u32_e32 v3, v5, v98
	v_mad_i64_i32 v[3:4], null, v3, 36, v[24:25]
	global_load_dword v3, v[3:4], off offset:4
	s_waitcnt vmcnt(0)
	ds_write_b32 v134, v3
	v_add_nc_u32_e32 v3, v5, v99
	v_mad_i64_i32 v[3:4], null, v3, 36, v[24:25]
	global_load_dword v3, v[3:4], off offset:4
	s_waitcnt vmcnt(0)
	ds_write_b32 v135, v3
	v_add_nc_u32_e32 v3, v5, v100
	v_mad_i64_i32 v[3:4], null, v3, 36, v[24:25]
	global_load_dword v3, v[3:4], off offset:4
	s_waitcnt vmcnt(0)
	ds_write_b32 v136, v3
	v_add_nc_u32_e32 v3, v5, v101
	v_mad_i64_i32 v[3:4], null, v3, 36, v[24:25]
	global_load_dword v3, v[3:4], off offset:4
	s_waitcnt vmcnt(0)
	ds_write_b32 v137, v3
	v_mad_u64_u32 v[3:4], null, v2, 36, s[2:3]
	global_load_dword v3, v[3:4], off
	s_waitcnt vmcnt(0)
	ds_write_b32 v92, v3
	s_waitcnt lgkmcnt(0)
	s_barrier
	buffer_gl0_inv
	ds_read_b32 v4, v103
	ds_read_b32 v26, v104 offset:128
	ds_read_b32 v28, v105 offset:256
	;; [unrolled: 1-line block ×3, first 2 shown]
	s_waitcnt lgkmcnt(3)
	v_cvt_f32_f16_e32 v3, v4
	v_cvt_f32_f16_sdwa v4, v4 dst_sel:DWORD dst_unused:UNUSED_PAD src0_sel:WORD_1
	s_waitcnt lgkmcnt(2)
	v_cvt_f32_f16_sdwa v5, v26 dst_sel:DWORD dst_unused:UNUSED_PAD src0_sel:WORD_1
	v_cvt_f32_f16_e32 v26, v26
	s_waitcnt lgkmcnt(1)
	v_cvt_f32_f16_sdwa v27, v28 dst_sel:DWORD dst_unused:UNUSED_PAD src0_sel:WORD_1
	v_cvt_f32_f16_e32 v28, v28
	;; [unrolled: 3-line block ×3, first 2 shown]
.LBB172_6:                              ;   Parent Loop BB172_5 Depth=1
                                        ; =>  This Inner Loop Header: Depth=2
	s_lshl_b32 s15, s11, 1
	s_lshl_b32 s16, s11, 2
	v_or_b32_e32 v198, s15, v71
	v_add_nc_u32_e32 v231, s16, v114
	v_add_nc_u32_e32 v233, s16, v115
	;; [unrolled: 1-line block ×4, first 2 shown]
	v_lshlrev_b32_e32 v211, 2, v198
	ds_read2_b32 v[151:152], v231 offset1:1
	ds_read2_b32 v[172:173], v233 offset1:1
	;; [unrolled: 1-line block ×3, first 2 shown]
	ds_read2_b32 v[190:191], v233 offset0:2 offset1:3
	ds_read2_b32 v[188:189], v231 offset0:2 offset1:3
	ds_read2_b32 v[186:187], v237 offset1:1
	ds_read2_b32 v[199:200], v237 offset0:2 offset1:3
	ds_read2_b32 v[192:193], v235 offset0:2 offset1:3
	ds_read_b128 v[142:145], v211 offset:16896
	v_mov_b32_e32 v197, 0
	v_mov_b32_e32 v196, 0
	;; [unrolled: 1-line block ×4, first 2 shown]
	v_or_b32_e32 v185, s15, v107
	v_mov_b32_e32 v184, 0
	v_mov_b32_e32 v183, 0
	;; [unrolled: 1-line block ×4, first 2 shown]
	v_lshlrev_b32_e32 v212, 2, v185
	v_or_b32_e32 v181, s15, v108
	s_waitcnt lgkmcnt(8)
	v_and_b32_e32 v32, 0xf0f0f0f, v151
	s_waitcnt lgkmcnt(7)
	v_and_b32_e32 v33, 0xf0f0f0f, v172
	;; [unrolled: 2-line block ×3, first 2 shown]
	v_and_b32_e32 v201, 0xf0f0f0f, v152
	v_and_b32_e32 v202, 0xf0f0f0f, v173
	s_waitcnt lgkmcnt(3)
	v_and_b32_e32 v156, 0xf0f0f0f, v186
	v_and_b32_e32 v203, 0xf0f0f0f, v175
	;; [unrolled: 1-line block ×3, first 2 shown]
	s_waitcnt lgkmcnt(0)
	v_dot4c_i32_i8 v197, v32, v142
	v_dot4c_i32_i8 v196, v33, v142
	;; [unrolled: 1-line block ×4, first 2 shown]
	v_and_b32_e32 v205, 0xf0f0f0f, v188
	v_dot4c_i32_i8 v197, v201, v143
	v_dot4c_i32_i8 v196, v202, v143
	;; [unrolled: 1-line block ×4, first 2 shown]
	v_and_b32_e32 v206, 0xf0f0f0f, v190
	v_and_b32_e32 v207, 0xf0f0f0f, v192
	;; [unrolled: 1-line block ×3, first 2 shown]
	v_dot4c_i32_i8 v197, v205, v144
	v_and_b32_e32 v209, 0xf0f0f0f, v189
	v_dot4c_i32_i8 v196, v206, v144
	v_dot4c_i32_i8 v195, v207, v144
	;; [unrolled: 1-line block ×3, first 2 shown]
	v_and_b32_e32 v210, 0xf0f0f0f, v191
	v_and_b32_e32 v219, 0xf0f0f0f, v193
	;; [unrolled: 1-line block ×3, first 2 shown]
	v_dot4c_i32_i8 v197, v209, v145
	v_lshlrev_b32_e32 v213, 2, v181
	v_dot4c_i32_i8 v196, v210, v145
	v_dot4c_i32_i8 v195, v219, v145
	;; [unrolled: 1-line block ×3, first 2 shown]
	ds_read_b128 v[142:145], v212 offset:16896
	v_mov_b32_e32 v179, 0
	v_mov_b32_e32 v178, 0
	;; [unrolled: 1-line block ×4, first 2 shown]
	v_or_b32_e32 v171, s15, v109
	v_mov_b32_e32 v170, 0
	v_mov_b32_e32 v169, 0
	;; [unrolled: 1-line block ×4, first 2 shown]
	v_lshlrev_b32_e32 v214, 2, v171
	v_or_b32_e32 v167, s15, v110
	v_mov_b32_e32 v165, 0
	v_mov_b32_e32 v164, 0
	;; [unrolled: 1-line block ×4, first 2 shown]
	v_lshlrev_b32_e32 v215, 2, v167
	v_or_b32_e32 v161, s15, v111
	v_mov_b32_e32 v160, 0
	v_mov_b32_e32 v159, 0
	s_waitcnt lgkmcnt(0)
	v_dot4c_i32_i8 v184, v32, v142
	v_dot4c_i32_i8 v183, v33, v142
	;; [unrolled: 1-line block ×4, first 2 shown]
	v_lshlrev_b32_e32 v216, 2, v161
	v_dot4c_i32_i8 v184, v201, v143
	v_dot4c_i32_i8 v183, v202, v143
	v_dot4c_i32_i8 v182, v203, v143
	v_dot4c_i32_i8 v180, v204, v143
	v_mov_b32_e32 v158, 0
	v_dot4c_i32_i8 v184, v205, v144
	v_dot4c_i32_i8 v183, v206, v144
	;; [unrolled: 1-line block ×4, first 2 shown]
	v_mov_b32_e32 v157, 0
	v_dot4c_i32_i8 v184, v209, v145
	v_dot4c_i32_i8 v183, v210, v145
	;; [unrolled: 1-line block ×4, first 2 shown]
	ds_read_b128 v[142:145], v213 offset:16896
	v_or_b32_e32 v155, s15, v112
	v_mov_b32_e32 v154, 0
	v_mov_b32_e32 v150, 0
	;; [unrolled: 1-line block ×4, first 2 shown]
	v_lshlrev_b32_e32 v217, 2, v155
	v_or_b32_e32 v148, s15, v113
	v_mov_b32_e32 v31, 0
	v_lshrrev_b32_e32 v186, 4, v186
	v_lshrrev_b32_e32 v187, 4, v187
	s_lshr_b32 s11, s11, 2
	v_lshlrev_b32_e32 v218, 2, v148
	s_addk_i32 s11, 0x6200
	v_and_b32_e32 v239, 0xf0f0f0f, v186
	v_and_b32_e32 v240, 0xf0f0f0f, v187
	v_mov_b32_e32 v187, 0
	v_mov_b32_e32 v186, 0
	v_lshrrev_b32_e32 v185, 1, v185
	v_lshrrev_b32_e32 v181, 1, v181
	s_waitcnt lgkmcnt(0)
	v_dot4c_i32_i8 v179, v32, v142
	v_dot4c_i32_i8 v178, v33, v142
	v_dot4c_i32_i8 v177, v153, v142
	v_dot4c_i32_i8 v176, v156, v142
	v_lshrrev_b32_e32 v171, 1, v171
	v_dot4c_i32_i8 v179, v201, v143
	v_dot4c_i32_i8 v178, v202, v143
	v_dot4c_i32_i8 v177, v203, v143
	v_dot4c_i32_i8 v176, v204, v143
	v_lshrrev_b32_e32 v167, 1, v167
	;; [unrolled: 5-line block ×3, first 2 shown]
	v_dot4c_i32_i8 v179, v209, v145
	v_dot4c_i32_i8 v178, v210, v145
	;; [unrolled: 1-line block ×4, first 2 shown]
	ds_read_b128 v[142:145], v214 offset:16896
	v_lshrrev_b32_e32 v155, 1, v155
	s_and_b32 vcc_lo, exec_lo, s1
	s_mov_b32 s1, 0
	s_waitcnt lgkmcnt(0)
	v_dot4c_i32_i8 v170, v32, v142
	v_dot4c_i32_i8 v169, v33, v142
	v_dot4c_i32_i8 v168, v153, v142
	v_dot4c_i32_i8 v166, v156, v142
	v_dot4c_i32_i8 v170, v201, v143
	v_dot4c_i32_i8 v169, v202, v143
	v_dot4c_i32_i8 v168, v203, v143
	v_dot4c_i32_i8 v166, v204, v143
	v_dot4c_i32_i8 v170, v205, v144
	v_dot4c_i32_i8 v169, v206, v144
	v_dot4c_i32_i8 v168, v207, v144
	v_dot4c_i32_i8 v166, v208, v144
	v_dot4c_i32_i8 v170, v209, v145
	v_dot4c_i32_i8 v169, v210, v145
	v_dot4c_i32_i8 v168, v219, v145
	v_dot4c_i32_i8 v166, v220, v145
	ds_read_b128 v[142:145], v215 offset:16896
	s_waitcnt lgkmcnt(0)
	v_dot4c_i32_i8 v165, v32, v142
	v_dot4c_i32_i8 v164, v33, v142
	v_dot4c_i32_i8 v163, v153, v142
	v_dot4c_i32_i8 v162, v156, v142
	v_dot4c_i32_i8 v165, v201, v143
	v_dot4c_i32_i8 v164, v202, v143
	v_dot4c_i32_i8 v163, v203, v143
	v_dot4c_i32_i8 v162, v204, v143
	v_dot4c_i32_i8 v165, v205, v144
	v_dot4c_i32_i8 v164, v206, v144
	v_dot4c_i32_i8 v163, v207, v144
	v_dot4c_i32_i8 v162, v208, v144
	v_dot4c_i32_i8 v165, v209, v145
	v_dot4c_i32_i8 v164, v210, v145
	v_dot4c_i32_i8 v163, v219, v145
	v_dot4c_i32_i8 v162, v220, v145
	ds_read_b128 v[142:145], v216 offset:16896
	;; [unrolled: 18-line block ×3, first 2 shown]
	s_waitcnt lgkmcnt(0)
	v_dot4c_i32_i8 v154, v32, v142
	v_dot4c_i32_i8 v150, v33, v142
	;; [unrolled: 1-line block ×4, first 2 shown]
	v_mov_b32_e32 v142, 0
	v_dot4c_i32_i8 v154, v201, v143
	v_dot4c_i32_i8 v150, v202, v143
	v_dot4c_i32_i8 v149, v203, v143
	v_dot4c_i32_i8 v147, v204, v143
	v_dot4c_i32_i8 v154, v205, v144
	v_dot4c_i32_i8 v150, v206, v144
	v_dot4c_i32_i8 v149, v207, v144
	v_dot4c_i32_i8 v147, v208, v144
	v_dot4c_i32_i8 v154, v209, v145
	v_dot4c_i32_i8 v150, v210, v145
	v_dot4c_i32_i8 v149, v219, v145
	v_dot4c_i32_i8 v147, v220, v145
	ds_read_b128 v[143:146], v218 offset:16896
	s_waitcnt lgkmcnt(0)
	v_dot4c_i32_i8 v31, v32, v143
	v_mov_b32_e32 v32, 0
	v_dot4c_i32_i8 v142, v156, v143
	v_lshrrev_b32_e32 v156, 4, v191
	v_mov_b32_e32 v191, 0
	v_dot4c_i32_i8 v31, v201, v144
	v_dot4c_i32_i8 v32, v33, v143
	v_mov_b32_e32 v33, 0
	v_dot4c_i32_i8 v142, v204, v144
	v_and_b32_e32 v230, 0xf0f0f0f, v156
	v_dot4c_i32_i8 v31, v205, v145
	v_dot4c_i32_i8 v32, v202, v144
	;; [unrolled: 1-line block ×4, first 2 shown]
	v_lshrrev_b32_e32 v143, 4, v151
	v_dot4c_i32_i8 v31, v209, v146
	v_dot4c_i32_i8 v32, v206, v145
	;; [unrolled: 1-line block ×4, first 2 shown]
	v_lshrrev_b32_e32 v144, 4, v152
	v_and_b32_e32 v223, 0xf0f0f0f, v143
	v_dot4c_i32_i8 v32, v210, v146
	v_dot4c_i32_i8 v33, v207, v145
	v_lshrrev_b32_e32 v145, 4, v188
	v_and_b32_e32 v224, 0xf0f0f0f, v144
	v_lshrrev_b32_e32 v151, 4, v172
	v_lshrrev_b32_e32 v172, 4, v174
	v_dot4c_i32_i8 v33, v219, v146
	v_lshrrev_b32_e32 v146, 4, v189
	v_and_b32_e32 v225, 0xf0f0f0f, v145
	v_lshrrev_b32_e32 v152, 4, v173
	v_lshrrev_b32_e32 v173, 4, v175
	v_and_b32_e32 v227, 0xf0f0f0f, v151
	v_and_b32_e32 v226, 0xf0f0f0f, v146
	ds_read_b128 v[143:146], v211 offset:16928
	ds_read_b128 v[219:222], v218 offset:16928
	v_and_b32_e32 v232, 0xf0f0f0f, v172
	v_mov_b32_e32 v210, 0
	v_mov_b32_e32 v209, 0
	;; [unrolled: 1-line block ×4, first 2 shown]
	v_lshrrev_b32_e32 v153, 4, v190
	v_lshrrev_b32_e32 v174, 4, v192
	v_lshrrev_b32_e32 v188, 4, v199
	v_and_b32_e32 v228, 0xf0f0f0f, v152
	v_and_b32_e32 v234, 0xf0f0f0f, v173
	v_lshrrev_b32_e32 v175, 4, v193
	v_lshrrev_b32_e32 v189, 4, v200
	v_and_b32_e32 v229, 0xf0f0f0f, v153
	v_and_b32_e32 v236, 0xf0f0f0f, v174
	;; [unrolled: 1-line block ×5, first 2 shown]
	v_mov_b32_e32 v206, 0
	s_waitcnt lgkmcnt(1)
	v_dot4c_i32_i8 v210, v223, v143
	v_dot4c_i32_i8 v209, v227, v143
	v_dot4c_i32_i8 v208, v232, v143
	v_dot4c_i32_i8 v207, v239, v143
	v_mov_b32_e32 v205, 0
	v_dot4c_i32_i8 v210, v224, v144
	v_dot4c_i32_i8 v209, v228, v144
	v_dot4c_i32_i8 v208, v234, v144
	v_dot4c_i32_i8 v207, v240, v144
	v_mov_b32_e32 v204, 0
	;; [unrolled: 5-line block ×3, first 2 shown]
	v_dot4c_i32_i8 v210, v226, v146
	v_dot4c_i32_i8 v209, v230, v146
	;; [unrolled: 1-line block ×4, first 2 shown]
	ds_read_b128 v[143:146], v212 offset:16928
	v_mov_b32_e32 v202, 0
	v_mov_b32_e32 v201, 0
	v_mov_b32_e32 v200, 0
	v_mov_b32_e32 v199, 0
	v_mov_b32_e32 v193, 0
	v_mov_b32_e32 v192, 0
	v_mov_b32_e32 v190, 0
	v_mov_b32_e32 v189, 0
	v_mov_b32_e32 v188, 0
	v_mov_b32_e32 v175, 0
	v_mov_b32_e32 v174, 0
	v_mov_b32_e32 v173, 0
	v_mov_b32_e32 v172, 0
	v_mov_b32_e32 v156, 0
	v_mov_b32_e32 v153, 0
	v_mov_b32_e32 v152, 0
	v_mov_b32_e32 v151, 0
	s_waitcnt lgkmcnt(0)
	v_dot4c_i32_i8 v206, v223, v143
	v_dot4c_i32_i8 v205, v227, v143
	v_dot4c_i32_i8 v204, v232, v143
	v_dot4c_i32_i8 v203, v239, v143
	v_dot4c_i32_i8 v206, v224, v144
	v_dot4c_i32_i8 v205, v228, v144
	v_dot4c_i32_i8 v204, v234, v144
	v_dot4c_i32_i8 v203, v240, v144
	v_dot4c_i32_i8 v206, v225, v145
	v_dot4c_i32_i8 v205, v229, v145
	v_dot4c_i32_i8 v204, v236, v145
	v_dot4c_i32_i8 v203, v241, v145
	v_dot4c_i32_i8 v206, v226, v146
	v_dot4c_i32_i8 v205, v230, v146
	v_dot4c_i32_i8 v204, v238, v146
	v_dot4c_i32_i8 v203, v242, v146
	ds_read_b128 v[143:146], v213 offset:16928
	s_waitcnt lgkmcnt(0)
	v_dot4c_i32_i8 v202, v223, v143
	v_dot4c_i32_i8 v201, v227, v143
	v_dot4c_i32_i8 v200, v232, v143
	v_dot4c_i32_i8 v199, v239, v143
	v_dot4c_i32_i8 v202, v224, v144
	v_dot4c_i32_i8 v201, v228, v144
	v_dot4c_i32_i8 v200, v234, v144
	v_dot4c_i32_i8 v199, v240, v144
	v_dot4c_i32_i8 v202, v225, v145
	v_dot4c_i32_i8 v201, v229, v145
	v_dot4c_i32_i8 v200, v236, v145
	v_dot4c_i32_i8 v199, v241, v145
	v_dot4c_i32_i8 v202, v226, v146
	v_dot4c_i32_i8 v201, v230, v146
	v_dot4c_i32_i8 v200, v238, v146
	v_dot4c_i32_i8 v199, v242, v146
	ds_read_b128 v[143:146], v214 offset:16928
	;; [unrolled: 18-line block ×5, first 2 shown]
	s_waitcnt lgkmcnt(0)
	v_dot4c_i32_i8 v156, v223, v143
	v_dot4c_i32_i8 v153, v227, v143
	;; [unrolled: 1-line block ×4, first 2 shown]
	v_mov_b32_e32 v143, 0
	v_dot4c_i32_i8 v156, v224, v144
	v_dot4c_i32_i8 v153, v228, v144
	;; [unrolled: 1-line block ×4, first 2 shown]
	v_mov_b32_e32 v144, 0
	v_dot4c_i32_i8 v156, v225, v145
	v_dot4c_i32_i8 v153, v229, v145
	;; [unrolled: 1-line block ×10, first 2 shown]
	v_mov_b32_e32 v145, 0
	v_mov_b32_e32 v146, 0
	v_dot4c_i32_i8 v143, v224, v220
	ds_read2_b32 v[223:224], v231 offset0:4 offset1:5
	v_dot4c_i32_i8 v144, v228, v220
	v_dot4c_i32_i8 v145, v232, v219
	v_dot4c_i32_i8 v146, v239, v219
	v_dot4c_i32_i8 v143, v225, v221
	ds_read2_b32 v[227:228], v235 offset0:4 offset1:5
	v_dot4c_i32_i8 v144, v229, v221
	v_dot4c_i32_i8 v145, v234, v220
	v_dot4c_i32_i8 v146, v240, v220
	;; [unrolled: 5-line block ×3, first 2 shown]
	ds_read2_b32 v[229:230], v237 offset0:4 offset1:5
	ds_read2_b32 v[235:236], v235 offset0:6 offset1:7
	v_dot4c_i32_i8 v145, v238, v222
	v_dot4c_i32_i8 v146, v242, v222
	ds_read_b128 v[219:222], v211 offset:16912
	ds_read2_b32 v[231:232], v231 offset0:6 offset1:7
	ds_read2_b32 v[233:234], v233 offset0:6 offset1:7
	;; [unrolled: 1-line block ×3, first 2 shown]
	s_waitcnt lgkmcnt(8)
	v_and_b32_e32 v239, 0xf0f0f0f, v223
	v_and_b32_e32 v243, 0xf0f0f0f, v224
	s_waitcnt lgkmcnt(7)
	v_and_b32_e32 v241, 0xf0f0f0f, v227
	v_and_b32_e32 v245, 0xf0f0f0f, v228
	v_lshrrev_b32_e32 v227, 4, v227
	v_lshrrev_b32_e32 v228, 4, v228
	s_waitcnt lgkmcnt(6)
	v_and_b32_e32 v240, 0xf0f0f0f, v225
	v_and_b32_e32 v244, 0xf0f0f0f, v226
	;; [unrolled: 1-line block ×4, first 2 shown]
	s_waitcnt lgkmcnt(5)
	v_and_b32_e32 v242, 0xf0f0f0f, v229
	v_and_b32_e32 v246, 0xf0f0f0f, v230
	s_waitcnt lgkmcnt(4)
	v_and_b32_e32 v249, 0xf0f0f0f, v235
	v_and_b32_e32 v253, 0xf0f0f0f, v236
	v_lshrrev_b32_e32 v229, 4, v229
	s_waitcnt lgkmcnt(3)
	v_dot4c_i32_i8 v197, v239, v219
	v_dot4c_i32_i8 v196, v240, v219
	;; [unrolled: 1-line block ×4, first 2 shown]
	s_waitcnt lgkmcnt(2)
	v_and_b32_e32 v247, 0xf0f0f0f, v231
	v_dot4c_i32_i8 v197, v243, v220
	v_dot4c_i32_i8 v196, v244, v220
	v_dot4c_i32_i8 v195, v245, v220
	v_dot4c_i32_i8 v194, v246, v220
	s_waitcnt lgkmcnt(1)
	v_and_b32_e32 v248, 0xf0f0f0f, v233
	s_waitcnt lgkmcnt(0)
	v_and_b32_e32 v250, 0xf0f0f0f, v237
	v_dot4c_i32_i8 v197, v247, v221
	v_dot4c_i32_i8 v195, v249, v221
	v_and_b32_e32 v251, 0xf0f0f0f, v232
	v_dot4c_i32_i8 v196, v248, v221
	v_dot4c_i32_i8 v194, v250, v221
	v_and_b32_e32 v252, 0xf0f0f0f, v234
	v_and_b32_e32 v254, 0xf0f0f0f, v238
	v_dot4c_i32_i8 v197, v251, v222
	v_dot4c_i32_i8 v195, v253, v222
	v_lshrrev_b32_e32 v230, 4, v230
	v_dot4c_i32_i8 v196, v252, v222
	v_dot4c_i32_i8 v194, v254, v222
	ds_read_b128 v[219:222], v212 offset:16912
	v_and_b32_e32 v229, 0xf0f0f0f, v229
	v_and_b32_e32 v230, 0xf0f0f0f, v230
	s_waitcnt lgkmcnt(0)
	v_dot4c_i32_i8 v184, v239, v219
	v_dot4c_i32_i8 v183, v240, v219
	v_dot4c_i32_i8 v182, v241, v219
	v_dot4c_i32_i8 v180, v242, v219
	v_dot4c_i32_i8 v184, v243, v220
	v_dot4c_i32_i8 v183, v244, v220
	v_dot4c_i32_i8 v182, v245, v220
	v_dot4c_i32_i8 v180, v246, v220
	v_dot4c_i32_i8 v184, v247, v221
	v_dot4c_i32_i8 v183, v248, v221
	v_dot4c_i32_i8 v182, v249, v221
	v_dot4c_i32_i8 v180, v250, v221
	v_dot4c_i32_i8 v184, v251, v222
	v_dot4c_i32_i8 v183, v252, v222
	v_dot4c_i32_i8 v182, v253, v222
	v_dot4c_i32_i8 v180, v254, v222
	ds_read_b128 v[219:222], v213 offset:16912
	s_waitcnt lgkmcnt(0)
	v_dot4c_i32_i8 v179, v239, v219
	v_dot4c_i32_i8 v178, v240, v219
	v_dot4c_i32_i8 v177, v241, v219
	v_dot4c_i32_i8 v176, v242, v219
	v_dot4c_i32_i8 v179, v243, v220
	v_dot4c_i32_i8 v178, v244, v220
	v_dot4c_i32_i8 v177, v245, v220
	v_dot4c_i32_i8 v176, v246, v220
	v_dot4c_i32_i8 v179, v247, v221
	v_dot4c_i32_i8 v178, v248, v221
	v_dot4c_i32_i8 v177, v249, v221
	v_dot4c_i32_i8 v176, v250, v221
	v_dot4c_i32_i8 v179, v251, v222
	v_dot4c_i32_i8 v178, v252, v222
	v_dot4c_i32_i8 v177, v253, v222
	v_dot4c_i32_i8 v176, v254, v222
	ds_read_b128 v[219:222], v214 offset:16912
	;; [unrolled: 18-line block ×6, first 2 shown]
	s_waitcnt lgkmcnt(0)
	v_dot4c_i32_i8 v31, v239, v219
	v_dot4c_i32_i8 v32, v240, v219
	v_dot4c_i32_i8 v33, v241, v219
	v_dot4c_i32_i8 v142, v242, v219
	v_lshrrev_b32_e32 v219, 4, v223
	v_dot4c_i32_i8 v31, v243, v220
	v_dot4c_i32_i8 v32, v244, v220
	v_dot4c_i32_i8 v33, v245, v220
	v_dot4c_i32_i8 v142, v246, v220
	v_lshrrev_b32_e32 v220, 4, v224
	;; [unrolled: 5-line block ×4, first 2 shown]
	v_lshrrev_b32_e32 v223, 4, v225
	v_lshrrev_b32_e32 v224, 4, v226
	v_lshrrev_b32_e32 v225, 4, v233
	v_lshrrev_b32_e32 v226, 4, v234
	v_lshrrev_b32_e32 v231, 4, v235
	v_lshrrev_b32_e32 v232, 4, v236
	v_lshrrev_b32_e32 v233, 4, v237
	v_lshrrev_b32_e32 v234, 4, v238
	v_and_b32_e32 v235, 0xf0f0f0f, v219
	v_and_b32_e32 v236, 0xf0f0f0f, v220
	;; [unrolled: 1-line block ×4, first 2 shown]
	ds_read_b128 v[219:222], v211 offset:16944
	v_and_b32_e32 v223, 0xf0f0f0f, v223
	v_and_b32_e32 v224, 0xf0f0f0f, v224
	;; [unrolled: 1-line block ×8, first 2 shown]
	s_waitcnt lgkmcnt(0)
	v_dot4c_i32_i8 v210, v235, v219
	v_dot4c_i32_i8 v209, v223, v219
	v_dot4c_i32_i8 v208, v227, v219
	v_dot4c_i32_i8 v207, v229, v219
	v_dot4c_i32_i8 v210, v236, v220
	v_dot4c_i32_i8 v209, v224, v220
	v_dot4c_i32_i8 v208, v228, v220
	v_dot4c_i32_i8 v207, v230, v220
	v_dot4c_i32_i8 v210, v237, v221
	v_dot4c_i32_i8 v209, v225, v221
	v_dot4c_i32_i8 v208, v231, v221
	v_dot4c_i32_i8 v207, v233, v221
	v_dot4c_i32_i8 v210, v238, v222
	v_dot4c_i32_i8 v209, v226, v222
	v_dot4c_i32_i8 v208, v232, v222
	v_dot4c_i32_i8 v207, v234, v222
	ds_read_b128 v[219:222], v212 offset:16944
	s_waitcnt lgkmcnt(0)
	v_dot4c_i32_i8 v206, v235, v219
	v_dot4c_i32_i8 v205, v223, v219
	;; [unrolled: 1-line block ×16, first 2 shown]
	ds_read_b128 v[219:222], v213 offset:16944
	ds_read_b128 v[211:214], v214 offset:16944
	s_waitcnt lgkmcnt(1)
	v_dot4c_i32_i8 v201, v223, v219
	s_waitcnt lgkmcnt(0)
	v_dot4c_i32_i8 v193, v235, v211
	v_dot4c_i32_i8 v192, v223, v211
	v_dot4c_i32_i8 v191, v227, v211
	v_dot4c_i32_i8 v190, v229, v211
	v_dot4c_i32_i8 v201, v224, v220
	v_dot4c_i32_i8 v193, v236, v212
	v_dot4c_i32_i8 v192, v224, v212
	v_dot4c_i32_i8 v191, v228, v212
	v_dot4c_i32_i8 v190, v230, v212
	v_dot4c_i32_i8 v201, v225, v221
	v_dot4c_i32_i8 v193, v237, v213
	v_dot4c_i32_i8 v192, v225, v213
	v_dot4c_i32_i8 v191, v231, v213
	v_dot4c_i32_i8 v190, v233, v213
	v_dot4c_i32_i8 v200, v227, v219
	v_dot4c_i32_i8 v193, v238, v214
	v_dot4c_i32_i8 v192, v226, v214
	v_dot4c_i32_i8 v191, v232, v214
	v_dot4c_i32_i8 v190, v234, v214
	ds_read_b128 v[211:214], v215 offset:16944
	v_dot4c_i32_i8 v201, v226, v222
	v_dot4c_i32_i8 v202, v235, v219
	;; [unrolled: 1-line block ×12, first 2 shown]
	s_waitcnt lgkmcnt(0)
	v_dot4c_i32_i8 v189, v235, v211
	v_dot4c_i32_i8 v188, v223, v211
	v_dot4c_i32_i8 v187, v227, v211
	v_dot4c_i32_i8 v186, v229, v211
	v_dot4c_i32_i8 v189, v236, v212
	v_dot4c_i32_i8 v188, v224, v212
	v_dot4c_i32_i8 v187, v228, v212
	v_dot4c_i32_i8 v186, v230, v212
	v_dot4c_i32_i8 v189, v237, v213
	v_dot4c_i32_i8 v188, v225, v213
	v_dot4c_i32_i8 v187, v231, v213
	v_dot4c_i32_i8 v186, v233, v213
	v_dot4c_i32_i8 v189, v238, v214
	v_dot4c_i32_i8 v188, v226, v214
	v_dot4c_i32_i8 v187, v232, v214
	v_dot4c_i32_i8 v186, v234, v214
	ds_read_b128 v[211:214], v216 offset:16944
	v_add3_u32 v216, s11, v124, v138
	s_waitcnt lgkmcnt(0)
	v_dot4c_i32_i8 v175, v235, v211
	v_dot4c_i32_i8 v174, v223, v211
	v_dot4c_i32_i8 v173, v227, v211
	v_dot4c_i32_i8 v172, v229, v211
	v_dot4c_i32_i8 v175, v236, v212
	v_dot4c_i32_i8 v174, v224, v212
	v_dot4c_i32_i8 v173, v228, v212
	v_dot4c_i32_i8 v172, v230, v212
	v_dot4c_i32_i8 v175, v237, v213
	v_dot4c_i32_i8 v174, v225, v213
	v_dot4c_i32_i8 v173, v231, v213
	v_dot4c_i32_i8 v172, v233, v213
	v_dot4c_i32_i8 v175, v238, v214
	v_dot4c_i32_i8 v174, v226, v214
	v_dot4c_i32_i8 v173, v232, v214
	v_dot4c_i32_i8 v172, v234, v214
	ds_read_b128 v[211:214], v217 offset:16944
	v_add3_u32 v217, s11, v123, v139
	;; [unrolled: 19-line block ×3, first 2 shown]
	s_waitcnt lgkmcnt(0)
	v_dot4c_i32_i8 v143, v235, v211
	v_dot4c_i32_i8 v144, v223, v211
	;; [unrolled: 1-line block ×4, first 2 shown]
	v_lshlrev_b32_e32 v211, 2, v6
	v_dot4c_i32_i8 v143, v236, v212
	v_dot4c_i32_i8 v144, v224, v212
	;; [unrolled: 1-line block ×4, first 2 shown]
	v_add3_u32 v215, s11, v125, v211
	v_lshrrev_b32_e32 v212, 1, v198
	v_dot4c_i32_i8 v144, v225, v213
	v_dot4c_i32_i8 v143, v237, v213
	;; [unrolled: 1-line block ×3, first 2 shown]
	ds_read_u16 v198, v215
	v_dot4c_i32_i8 v146, v233, v213
	v_dot4c_i32_i8 v144, v226, v214
	ds_read_b64 v[226:227], v212 offset:27200
	v_dot4c_i32_i8 v143, v238, v214
	v_dot4c_i32_i8 v145, v232, v214
	;; [unrolled: 1-line block ×3, first 2 shown]
	s_mov_b32 s11, 8
	s_waitcnt lgkmcnt(1)
	v_and_b32_e32 v211, 0xff, v198
	v_and_b32_sdwa v198, v141, v198 dst_sel:DWORD dst_unused:UNUSED_PAD src0_sel:DWORD src1_sel:BYTE_1
	v_mul_lo_u32 v197, v197, v211
	v_mul_lo_u32 v210, v210, v198
	;; [unrolled: 1-line block ×8, first 2 shown]
	v_cvt_f32_i32_e32 v197, v197
	v_cvt_f32_i32_e32 v210, v210
	;; [unrolled: 1-line block ×3, first 2 shown]
	v_mul_lo_u32 v165, v165, v211
	v_cvt_f32_i32_e32 v179, v179
	s_waitcnt lgkmcnt(0)
	v_fma_mix_f32 v197, v226, v197, 0 op_sel_hi:[1,0,0]
	v_cvt_f32_i32_e32 v170, v170
	v_mul_lo_u32 v189, v189, v198
	v_mul_lo_u32 v175, v175, v198
	;; [unrolled: 1-line block ×3, first 2 shown]
	v_fma_mix_f32 v197, v227, v210, v197 op_sel_hi:[1,0,0]
	ds_read_u16 v210, v216
	v_cvt_f32_i32_e32 v165, v165
	v_mul_lo_u32 v156, v156, v198
	v_mul_lo_u32 v160, v160, v211
	;; [unrolled: 1-line block ×4, first 2 shown]
	v_cvt_f32_i32_e32 v156, v156
	v_cvt_f32_i32_e32 v160, v160
	;; [unrolled: 1-line block ×4, first 2 shown]
	s_waitcnt lgkmcnt(0)
	v_and_b32_e32 v212, 0xff, v210
	v_and_b32_sdwa v210, v141, v210 dst_sel:DWORD dst_unused:UNUSED_PAD src0_sel:DWORD src1_sel:BYTE_1
	v_mul_lo_u32 v196, v196, v212
	v_mul_lo_u32 v209, v209, v210
	;; [unrolled: 1-line block ×8, first 2 shown]
	v_cvt_f32_i32_e32 v196, v196
	v_cvt_f32_i32_e32 v209, v209
	;; [unrolled: 1-line block ×5, first 2 shown]
	v_fma_mix_f32 v196, v226, v196, 0 op_sel_hi:[1,0,0]
	v_cvt_f32_i32_e32 v164, v164
	v_cvt_f32_i32_e32 v150, v150
	;; [unrolled: 1-line block ×3, first 2 shown]
	v_mul_lo_u32 v159, v159, v212
	v_fma_mix_f32 v196, v227, v209, v196 op_sel_hi:[1,0,0]
	ds_read_u16 v209, v217
	v_mul_lo_u32 v32, v32, v212
	v_mul_lo_u32 v144, v144, v210
	v_cvt_f32_i32_e32 v159, v159
	v_cvt_f32_i32_e32 v32, v32
	s_waitcnt lgkmcnt(0)
	v_and_b32_e32 v213, 0xff, v209
	v_and_b32_sdwa v209, v141, v209 dst_sel:DWORD dst_unused:UNUSED_PAD src0_sel:DWORD src1_sel:BYTE_1
	v_mul_lo_u32 v195, v195, v213
	v_mul_lo_u32 v208, v208, v209
	;; [unrolled: 1-line block ×8, first 2 shown]
	v_cvt_f32_i32_e32 v195, v195
	v_cvt_f32_i32_e32 v208, v208
	;; [unrolled: 1-line block ×5, first 2 shown]
	v_fma_mix_f32 v195, v226, v195, 0 op_sel_hi:[1,0,0]
	v_cvt_f32_i32_e32 v163, v163
	v_cvt_f32_i32_e32 v149, v149
	v_cvt_f32_i32_e32 v152, v152
	v_mul_lo_u32 v158, v158, v213
	v_fma_mix_f32 v195, v227, v208, v195 op_sel_hi:[1,0,0]
	ds_read_u16 v208, v218
	v_mul_lo_u32 v33, v33, v213
	v_mul_lo_u32 v145, v145, v209
	v_cvt_f32_i32_e32 v158, v158
	v_cvt_f32_i32_e32 v33, v33
	s_waitcnt lgkmcnt(0)
	v_and_b32_e32 v214, 0xff, v208
	v_and_b32_sdwa v208, v141, v208 dst_sel:DWORD dst_unused:UNUSED_PAD src0_sel:DWORD src1_sel:BYTE_1
	v_mul_lo_u32 v194, v194, v214
	v_mul_lo_u32 v207, v207, v208
	;; [unrolled: 1-line block ×8, first 2 shown]
	v_cvt_f32_i32_e32 v194, v194
	v_cvt_f32_i32_e32 v207, v207
	;; [unrolled: 1-line block ×5, first 2 shown]
	v_fma_mix_f32 v194, v226, v194, 0 op_sel_hi:[1,0,0]
	v_cvt_f32_i32_e32 v162, v162
	v_cvt_f32_i32_e32 v147, v147
	;; [unrolled: 1-line block ×3, first 2 shown]
	v_mul_lo_u32 v157, v157, v214
	v_fma_mix_f32 v194, v227, v207, v194 op_sel_hi:[1,0,0]
	ds_read_u16 v207, v216 offset:8
	ds_read_u16 v216, v217 offset:8
	;; [unrolled: 1-line block ×3, first 2 shown]
	ds_read_u8 v218, v215 offset:8
	ds_read_u8 v215, v215 offset:9
	v_mul_lo_u32 v142, v142, v214
	v_mul_lo_u32 v146, v146, v208
	v_cvt_f32_i32_e32 v157, v157
	v_cvt_f32_i32_e32 v142, v142
	s_waitcnt lgkmcnt(4)
	v_cvt_f32_ubyte0_e32 v221, v207
	s_waitcnt lgkmcnt(3)
	v_cvt_f32_ubyte0_e32 v223, v216
	;; [unrolled: 2-line block ×4, first 2 shown]
	v_cvt_f32_ubyte1_e32 v222, v207
	v_cvt_f32_ubyte1_e32 v224, v216
	;; [unrolled: 1-line block ×3, first 2 shown]
	s_waitcnt lgkmcnt(0)
	v_cvt_f32_ubyte0_e32 v219, v215
	v_fma_mix_f32 v207, v226, v221, 0 op_sel:[1,0,0] op_sel_hi:[1,0,0]
	v_fma_mix_f32 v215, v226, v223, 0 op_sel:[1,0,0] op_sel_hi:[1,0,0]
	;; [unrolled: 1-line block ×8, first 2 shown]
	ds_read_b64 v[226:227], v185 offset:27200
	v_cvt_f32_i32_e32 v185, v206
	s_waitcnt lgkmcnt(0)
	v_fma_mix_f32 v184, v184, v226, 0 op_sel_hi:[0,1,0]
	v_fma_mix_f32 v183, v183, v226, 0 op_sel_hi:[0,1,0]
	v_fma_mix_f32 v182, v182, v226, 0 op_sel_hi:[0,1,0]
	v_fma_mix_f32 v180, v180, v226, 0 op_sel_hi:[0,1,0]
	v_fma_mix_f32 v184, v185, v227, v184 op_sel_hi:[0,1,0]
	v_mul_lo_u32 v185, v205, v210
	v_fma_mix_f32 v205, v218, v226, 0 op_sel:[0,1,0] op_sel_hi:[0,1,0]
	v_fma_mix_f32 v205, v219, v227, v205 op_sel:[0,1,0] op_sel_hi:[0,1,0]
	v_cvt_f32_i32_e32 v185, v185
	v_fma_mix_f32 v183, v185, v227, v183 op_sel_hi:[0,1,0]
	v_mul_lo_u32 v185, v204, v209
	v_fma_mix_f32 v204, v225, v226, 0 op_sel:[0,1,0] op_sel_hi:[0,1,0]
	v_fma_mix_f32 v204, v220, v227, v204 op_sel:[0,1,0] op_sel_hi:[0,1,0]
	v_cvt_f32_i32_e32 v185, v185
	v_fma_mix_f32 v182, v185, v227, v182 op_sel_hi:[0,1,0]
	;; [unrolled: 5-line block ×3, first 2 shown]
	v_fma_mix_f32 v185, v221, v226, 0 op_sel:[0,1,0] op_sel_hi:[0,1,0]
	v_fma_mix_f32 v185, v222, v227, v185 op_sel:[0,1,0] op_sel_hi:[0,1,0]
	ds_read_b64 v[226:227], v181 offset:27200
	v_cvt_f32_i32_e32 v181, v202
	s_waitcnt lgkmcnt(0)
	v_fma_mix_f32 v179, v179, v226, 0 op_sel_hi:[0,1,0]
	v_fma_mix_f32 v178, v178, v226, 0 op_sel_hi:[0,1,0]
	;; [unrolled: 1-line block ×5, first 2 shown]
	v_mul_lo_u32 v181, v201, v210
	v_fma_mix_f32 v201, v218, v226, 0 op_sel:[0,1,0] op_sel_hi:[0,1,0]
	v_fma_mix_f32 v201, v219, v227, v201 op_sel:[0,1,0] op_sel_hi:[0,1,0]
	v_cvt_f32_i32_e32 v181, v181
	v_fma_mix_f32 v178, v181, v227, v178 op_sel_hi:[0,1,0]
	v_mul_lo_u32 v181, v200, v209
	v_fma_mix_f32 v200, v225, v226, 0 op_sel:[0,1,0] op_sel_hi:[0,1,0]
	v_fma_mix_f32 v200, v220, v227, v200 op_sel:[0,1,0] op_sel_hi:[0,1,0]
	v_cvt_f32_i32_e32 v181, v181
	v_fma_mix_f32 v177, v181, v227, v177 op_sel_hi:[0,1,0]
	;; [unrolled: 5-line block ×3, first 2 shown]
	v_fma_mix_f32 v181, v221, v226, 0 op_sel:[0,1,0] op_sel_hi:[0,1,0]
	v_fma_mix_f32 v181, v222, v227, v181 op_sel:[0,1,0] op_sel_hi:[0,1,0]
	ds_read_b64 v[226:227], v171 offset:27200
	v_cvt_f32_i32_e32 v171, v193
	v_mul_f32_e32 v181, v181, v5
	v_fma_f32 v178, v178, v26, -v181
	v_mul_f32_e32 v181, v199, v27
	v_add_f32_e32 v58, v58, v178
	v_fma_f32 v177, v177, v28, -v181
	v_mul_f32_e32 v181, v200, v29
	s_waitcnt lgkmcnt(0)
	v_fma_mix_f32 v170, v170, v226, 0 op_sel_hi:[0,1,0]
	v_fma_mix_f32 v169, v169, v226, 0 op_sel_hi:[0,1,0]
	;; [unrolled: 1-line block ×4, first 2 shown]
	v_fma_f32 v176, v176, v30, -v181
	v_fma_mix_f32 v170, v171, v227, v170 op_sel_hi:[0,1,0]
	v_mul_lo_u32 v171, v192, v210
	v_fma_mix_f32 v192, v218, v226, 0 op_sel:[0,1,0] op_sel_hi:[0,1,0]
	v_add_f32_e32 v56, v56, v177
	v_add_f32_e32 v55, v55, v176
	v_fma_mix_f32 v192, v219, v227, v192 op_sel:[0,1,0] op_sel_hi:[0,1,0]
	v_cvt_f32_i32_e32 v171, v171
	v_mul_f32_e32 v181, v192, v4
	v_fma_mix_f32 v169, v171, v227, v169 op_sel_hi:[0,1,0]
	v_mul_lo_u32 v171, v191, v209
	v_fma_mix_f32 v191, v225, v226, 0 op_sel:[0,1,0] op_sel_hi:[0,1,0]
	v_fma_f32 v170, v170, v3, -v181
	v_fma_mix_f32 v191, v220, v227, v191 op_sel:[0,1,0] op_sel_hi:[0,1,0]
	v_add_f32_e32 v54, v54, v170
	v_cvt_f32_i32_e32 v171, v171
	v_fma_mix_f32 v168, v171, v227, v168 op_sel_hi:[0,1,0]
	v_mul_lo_u32 v171, v190, v208
	v_fma_mix_f32 v190, v223, v226, 0 op_sel:[0,1,0] op_sel_hi:[0,1,0]
	v_fma_mix_f32 v190, v224, v227, v190 op_sel:[0,1,0] op_sel_hi:[0,1,0]
	v_cvt_f32_i32_e32 v171, v171
	v_fma_mix_f32 v166, v171, v227, v166 op_sel_hi:[0,1,0]
	v_fma_mix_f32 v171, v221, v226, 0 op_sel:[0,1,0] op_sel_hi:[0,1,0]
	v_fma_mix_f32 v171, v222, v227, v171 op_sel:[0,1,0] op_sel_hi:[0,1,0]
	ds_read_b64 v[226:227], v167 offset:27200
	v_cvt_f32_i32_e32 v167, v189
	v_mul_f32_e32 v171, v171, v5
	v_fma_f32 v169, v169, v26, -v171
	v_mul_f32_e32 v171, v190, v27
	v_add_f32_e32 v53, v53, v169
	v_fma_f32 v168, v168, v28, -v171
	v_mul_f32_e32 v171, v191, v29
	s_waitcnt lgkmcnt(0)
	v_fma_mix_f32 v165, v165, v226, 0 op_sel_hi:[0,1,0]
	v_fma_mix_f32 v164, v164, v226, 0 op_sel_hi:[0,1,0]
	v_fma_mix_f32 v163, v163, v226, 0 op_sel_hi:[0,1,0]
	v_fma_mix_f32 v162, v162, v226, 0 op_sel_hi:[0,1,0]
	v_fma_f32 v166, v166, v30, -v171
	v_fma_mix_f32 v165, v167, v227, v165 op_sel_hi:[0,1,0]
	v_mul_lo_u32 v167, v188, v210
	v_fma_mix_f32 v188, v218, v226, 0 op_sel:[0,1,0] op_sel_hi:[0,1,0]
	v_add_f32_e32 v51, v51, v168
	v_add_f32_e32 v50, v50, v166
	v_fma_mix_f32 v188, v219, v227, v188 op_sel:[0,1,0] op_sel_hi:[0,1,0]
	v_cvt_f32_i32_e32 v167, v167
	v_mul_f32_e32 v171, v188, v4
	v_fma_mix_f32 v164, v167, v227, v164 op_sel_hi:[0,1,0]
	v_mul_lo_u32 v167, v187, v209
	v_fma_mix_f32 v187, v225, v226, 0 op_sel:[0,1,0] op_sel_hi:[0,1,0]
	v_fma_f32 v165, v165, v3, -v171
	v_fma_mix_f32 v187, v220, v227, v187 op_sel:[0,1,0] op_sel_hi:[0,1,0]
	v_add_f32_e32 v49, v49, v165
	v_cvt_f32_i32_e32 v167, v167
	v_fma_mix_f32 v163, v167, v227, v163 op_sel_hi:[0,1,0]
	v_mul_lo_u32 v167, v186, v208
	v_fma_mix_f32 v186, v223, v226, 0 op_sel:[0,1,0] op_sel_hi:[0,1,0]
	v_fma_mix_f32 v186, v224, v227, v186 op_sel:[0,1,0] op_sel_hi:[0,1,0]
	v_cvt_f32_i32_e32 v167, v167
	v_fma_mix_f32 v162, v167, v227, v162 op_sel_hi:[0,1,0]
	v_fma_mix_f32 v167, v221, v226, 0 op_sel:[0,1,0] op_sel_hi:[0,1,0]
	v_fma_mix_f32 v167, v222, v227, v167 op_sel:[0,1,0] op_sel_hi:[0,1,0]
	ds_read_b64 v[226:227], v161 offset:27200
	v_cvt_f32_i32_e32 v161, v175
	v_cvt_f32_i32_e32 v175, v154
	ds_read_b64 v[154:155], v155 offset:27200
	v_mul_f32_e32 v167, v167, v5
	v_fma_f32 v164, v164, v26, -v167
	v_mul_f32_e32 v167, v186, v27
	v_add_f32_e32 v48, v48, v164
	v_fma_f32 v163, v163, v28, -v167
	v_mul_f32_e32 v167, v187, v29
	s_waitcnt lgkmcnt(1)
	v_fma_mix_f32 v160, v160, v226, 0 op_sel_hi:[0,1,0]
	v_fma_mix_f32 v159, v159, v226, 0 op_sel_hi:[0,1,0]
	;; [unrolled: 1-line block ×3, first 2 shown]
	s_waitcnt lgkmcnt(0)
	v_fma_mix_f32 v147, v147, v154, 0 op_sel_hi:[0,1,0]
	v_fma_mix_f32 v149, v149, v154, 0 op_sel_hi:[0,1,0]
	;; [unrolled: 1-line block ×6, first 2 shown]
	v_fma_mix_f32 v147, v221, v154, 0 op_sel:[0,1,0] op_sel_hi:[0,1,0]
	v_fma_mix_f32 v149, v152, v155, v149 op_sel_hi:[0,1,0]
	v_fma_mix_f32 v150, v153, v155, v150 op_sel_hi:[0,1,0]
	;; [unrolled: 1-line block ×3, first 2 shown]
	v_mul_lo_u32 v161, v174, v210
	v_fma_mix_f32 v152, v222, v155, v147 op_sel:[0,1,0] op_sel_hi:[0,1,0]
	v_fma_mix_f32 v147, v223, v154, 0 op_sel:[0,1,0] op_sel_hi:[0,1,0]
	v_fma_mix_f32 v157, v157, v226, 0 op_sel_hi:[0,1,0]
	v_fma_mix_f32 v174, v218, v226, 0 op_sel:[0,1,0] op_sel_hi:[0,1,0]
	v_fma_f32 v162, v162, v30, -v167
	v_mul_f32_e32 v152, v152, v5
	v_fma_mix_f32 v153, v224, v155, v147 op_sel:[0,1,0] op_sel_hi:[0,1,0]
	v_fma_mix_f32 v147, v225, v154, 0 op_sel:[0,1,0] op_sel_hi:[0,1,0]
	v_cvt_f32_i32_e32 v161, v161
	v_fma_mix_f32 v174, v219, v227, v174 op_sel:[0,1,0] op_sel_hi:[0,1,0]
	v_fma_f32 v150, v150, v26, -v152
	v_mul_f32_e32 v152, v153, v27
	v_fma_mix_f32 v175, v220, v155, v147 op_sel:[0,1,0] op_sel_hi:[0,1,0]
	v_fma_mix_f32 v147, v218, v154, 0 op_sel:[0,1,0] op_sel_hi:[0,1,0]
	v_fma_mix_f32 v159, v161, v227, v159 op_sel_hi:[0,1,0]
	v_mul_lo_u32 v161, v173, v209
	v_fma_f32 v149, v149, v28, -v152
	v_mul_f32_e32 v152, v175, v29
	v_fma_mix_f32 v154, v219, v155, v147 op_sel:[0,1,0] op_sel_hi:[0,1,0]
	v_lshrrev_b32_e32 v147, 1, v148
	v_fma_mix_f32 v173, v225, v226, 0 op_sel:[0,1,0] op_sel_hi:[0,1,0]
	v_mul_f32_e32 v167, v174, v4
	v_fma_f32 v151, v151, v30, -v152
	v_cvt_f32_i32_e32 v161, v161
	ds_read_b64 v[147:148], v147 offset:27200
	v_fma_mix_f32 v173, v220, v227, v173 op_sel:[0,1,0] op_sel_hi:[0,1,0]
	v_mul_f32_e32 v154, v154, v4
	v_fma_f32 v160, v160, v3, -v167
	v_fma_mix_f32 v158, v161, v227, v158 op_sel_hi:[0,1,0]
	v_mul_lo_u32 v161, v172, v208
	v_fma_mix_f32 v172, v223, v226, 0 op_sel:[0,1,0] op_sel_hi:[0,1,0]
	v_fma_f32 v154, v156, v3, -v154
	v_add_f32_e32 v47, v47, v163
	v_add_f32_e32 v46, v46, v162
	;; [unrolled: 1-line block ×3, first 2 shown]
	v_fma_mix_f32 v172, v224, v227, v172 op_sel:[0,1,0] op_sel_hi:[0,1,0]
	v_add_f32_e32 v41, v41, v154
	v_cvt_f32_i32_e32 v161, v161
	v_add_f32_e32 v40, v40, v150
	v_add_f32_e32 v39, v39, v149
	;; [unrolled: 1-line block ×3, first 2 shown]
	v_fma_mix_f32 v157, v161, v227, v157 op_sel_hi:[0,1,0]
	v_fma_mix_f32 v161, v221, v226, 0 op_sel:[0,1,0] op_sel_hi:[0,1,0]
	s_waitcnt lgkmcnt(0)
	v_fma_mix_f32 v31, v31, v147, 0 op_sel_hi:[0,1,0]
	v_fma_mix_f32 v32, v32, v147, 0 op_sel_hi:[0,1,0]
	v_fma_mix_f32 v202, v218, v147, 0 op_sel:[0,1,0] op_sel_hi:[0,1,0]
	v_fma_mix_f32 v33, v33, v147, 0 op_sel_hi:[0,1,0]
	v_fma_mix_f32 v155, v221, v147, 0 op_sel:[0,1,0] op_sel_hi:[0,1,0]
	v_fma_mix_f32 v31, v143, v148, v31 op_sel_hi:[0,1,0]
	v_cvt_f32_i32_e32 v143, v144
	v_fma_mix_f32 v189, v223, v147, 0 op_sel:[0,1,0] op_sel_hi:[0,1,0]
	v_fma_mix_f32 v193, v225, v147, 0 op_sel:[0,1,0] op_sel_hi:[0,1,0]
	;; [unrolled: 1-line block ×3, first 2 shown]
	v_fma_mix_f32 v142, v142, v147, 0 op_sel_hi:[0,1,0]
	v_fma_mix_f32 v32, v143, v148, v32 op_sel_hi:[0,1,0]
	v_cvt_f32_i32_e32 v143, v145
	v_fma_mix_f32 v161, v222, v227, v161 op_sel:[0,1,0] op_sel_hi:[0,1,0]
	v_fma_mix_f32 v155, v222, v148, v155 op_sel:[0,1,0] op_sel_hi:[0,1,0]
	;; [unrolled: 1-line block ×4, first 2 shown]
	v_fma_mix_f32 v33, v143, v148, v33 op_sel_hi:[0,1,0]
	v_cvt_f32_i32_e32 v143, v146
	v_mul_f32_e32 v152, v202, v4
	v_mul_f32_e32 v161, v161, v5
	;; [unrolled: 1-line block ×4, first 2 shown]
	v_fma_mix_f32 v142, v143, v148, v142 op_sel_hi:[0,1,0]
	v_mul_f32_e32 v148, v185, v5
	v_fma_f32 v31, v31, v3, -v152
	v_mul_f32_e32 v152, v155, v5
	v_fma_f32 v159, v159, v26, -v161
	;; [unrolled: 2-line block ×4, first 2 shown]
	v_mul_f32_e32 v152, v189, v27
	v_mul_f32_e32 v143, v217, v4
	;; [unrolled: 1-line block ×3, first 2 shown]
	v_fma_f32 v182, v182, v28, -v183
	v_mul_f32_e32 v183, v204, v29
	v_mul_f32_e32 v147, v205, v4
	v_fma_f32 v158, v158, v28, -v161
	v_mul_f32_e32 v161, v173, v29
	v_fma_f32 v33, v33, v28, -v152
	v_fma_f32 v180, v180, v30, -v183
	v_mul_f32_e32 v183, v201, v4
	v_mul_f32_e32 v152, v193, v29
	v_fma_f32 v143, v197, v3, -v143
	v_fma_f32 v144, v196, v26, -v144
	;; [unrolled: 1-line block ×8, first 2 shown]
	v_add_f32_e32 v91, v91, v143
	v_add_f32_e32 v86, v86, v144
	;; [unrolled: 1-line block ×16, first 2 shown]
	s_cbranch_vccnz .LBB172_6
; %bb.7:                                ;   in Loop: Header=BB172_5 Depth=1
	v_add_nc_u32_e32 v5, s0, v102
	v_add_nc_u32_e32 v2, 4, v2
	s_barrier
	buffer_gl0_inv
	v_add_nc_u32_e32 v3, v5, v94
	v_add_nc_u32_e32 v26, v5, v95
	;; [unrolled: 1-line block ×5, first 2 shown]
	v_mad_u64_u32 v[142:143], null, v2, 36, s[2:3]
	v_mad_i64_i32 v[3:4], null, v3, 36, v[24:25]
	v_add_nc_u32_e32 v144, v5, v99
	v_mad_i64_i32 v[26:27], null, v26, 36, v[24:25]
	v_add_nc_u32_e32 v146, v5, v100
	;; [unrolled: 2-line block ×3, first 2 shown]
	v_mad_i64_i32 v[30:31], null, v30, 36, v[24:25]
	v_mad_i64_i32 v[32:33], null, v32, 36, v[24:25]
	;; [unrolled: 1-line block ×5, first 2 shown]
	s_clause 0x8
	global_load_dword v2, v[142:143], off
	global_load_dword v3, v[3:4], off offset:4
	global_load_dword v4, v[26:27], off offset:4
	global_load_dword v5, v[28:29], off offset:4
	global_load_dword v26, v[30:31], off offset:4
	global_load_dword v27, v[32:33], off offset:4
	global_load_dword v28, v[144:145], off offset:4
	global_load_dword v29, v[146:147], off offset:4
	global_load_dword v30, v[148:149], off offset:4
	v_mov_b32_e32 v142, v120
	v_mov_b32_e32 v143, v119
	;; [unrolled: 1-line block ×3, first 2 shown]
	s_mov_b32 s0, 16
	s_mov_b32 s11, 0
	s_waitcnt vmcnt(8)
	ds_write_b32 v92, v2
	s_waitcnt vmcnt(7)
	ds_write_b32 v130, v3
	;; [unrolled: 2-line block ×9, first 2 shown]
	s_waitcnt lgkmcnt(0)
	s_barrier
	buffer_gl0_inv
	ds_read_b32 v2, v103
	ds_read_b32 v3, v104 offset:128
	ds_read_b32 v4, v105 offset:256
	;; [unrolled: 1-line block ×3, first 2 shown]
	s_waitcnt lgkmcnt(3)
	v_cvt_f32_f16_e32 v144, v2
	v_cvt_f32_f16_sdwa v145, v2 dst_sel:DWORD dst_unused:UNUSED_PAD src0_sel:WORD_1
	s_waitcnt lgkmcnt(2)
	v_cvt_f32_f16_sdwa v146, v3 dst_sel:DWORD dst_unused:UNUSED_PAD src0_sel:WORD_1
	v_cvt_f32_f16_e32 v147, v3
	s_waitcnt lgkmcnt(1)
	v_cvt_f32_f16_sdwa v148, v4 dst_sel:DWORD dst_unused:UNUSED_PAD src0_sel:WORD_1
	v_cvt_f32_f16_e32 v149, v4
	;; [unrolled: 3-line block ×3, first 2 shown]
.LBB172_8:                              ;   Parent Loop BB172_5 Depth=1
                                        ; =>  This Inner Loop Header: Depth=2
	v_add_nc_u32_e32 v4, 0x1080, v152
	v_add_nc_u32_e32 v26, 0x2100, v152
	;; [unrolled: 1-line block ×3, first 2 shown]
	ds_read2_b32 v[2:3], v152 offset1:1
	ds_read2_b32 v[30:31], v152 offset0:2 offset1:3
	ds_read2_b32 v[4:5], v4 offset1:1
	ds_read2_b32 v[26:27], v26 offset1:1
	;; [unrolled: 1-line block ×3, first 2 shown]
	ds_read_b128 v[153:156], v142
	ds_read_b128 v[185:188], v142 offset:6144
	v_add_nc_u32_e32 v32, 0x1088, v152
	v_mov_b32_e32 v196, 0
	v_mov_b32_e32 v195, 0
	;; [unrolled: 1-line block ×4, first 2 shown]
	ds_read2_b32 v[32:33], v32 offset1:1
	v_mov_b32_e32 v200, 0
	v_mov_b32_e32 v199, 0
	;; [unrolled: 1-line block ×7, first 2 shown]
	s_waitcnt lgkmcnt(7)
	v_and_b32_e32 v157, 0xf0f0f0f, v2
	v_and_b32_e32 v177, 0xf0f0f0f, v3
	s_waitcnt lgkmcnt(5)
	v_and_b32_e32 v158, 0xf0f0f0f, v4
	s_waitcnt lgkmcnt(4)
	;; [unrolled: 2-line block ×4, first 2 shown]
	v_dot4c_i32_i8 v196, v157, v153
	v_and_b32_e32 v181, 0xf0f0f0f, v5
	v_dot4c_i32_i8 v195, v158, v153
	v_dot4c_i32_i8 v194, v159, v153
	;; [unrolled: 1-line block ×3, first 2 shown]
	v_add_nc_u32_e32 v153, 0x2108, v152
	v_and_b32_e32 v182, 0xf0f0f0f, v27
	v_and_b32_e32 v183, 0xf0f0f0f, v29
	v_dot4c_i32_i8 v196, v177, v154
	v_and_b32_e32 v178, 0xf0f0f0f, v30
	ds_read2_b32 v[189:190], v153 offset1:1
	v_add_nc_u32_e32 v153, 0x3188, v152
	v_dot4c_i32_i8 v195, v181, v154
	v_dot4c_i32_i8 v194, v182, v154
	;; [unrolled: 1-line block ×3, first 2 shown]
	s_waitcnt lgkmcnt(1)
	v_and_b32_e32 v184, 0xf0f0f0f, v32
	ds_read2_b32 v[191:192], v153 offset1:1
	v_dot4c_i32_i8 v196, v178, v155
	v_and_b32_e32 v180, 0xf0f0f0f, v31
	v_and_b32_e32 v203, 0xf0f0f0f, v33
	v_dot4c_i32_i8 v195, v184, v155
	v_mov_b32_e32 v168, 0
	v_mov_b32_e32 v176, 0
	v_dot4c_i32_i8 v196, v180, v156
	v_mov_b32_e32 v174, 0
	v_dot4c_i32_i8 v195, v203, v156
	v_mov_b32_e32 v171, 0
	v_mov_b32_e32 v169, 0
	;; [unrolled: 1-line block ×4, first 2 shown]
	s_waitcnt lgkmcnt(1)
	v_and_b32_e32 v201, 0xf0f0f0f, v189
	v_and_b32_e32 v204, 0xf0f0f0f, v190
	v_mov_b32_e32 v163, 0
	v_mov_b32_e32 v161, 0
	v_mov_b32_e32 v173, 0
	v_dot4c_i32_i8 v194, v201, v155
	s_waitcnt lgkmcnt(0)
	v_and_b32_e32 v202, 0xf0f0f0f, v191
	v_and_b32_e32 v205, 0xf0f0f0f, v192
	v_mov_b32_e32 v166, 0
	v_mov_b32_e32 v164, 0
	v_dot4c_i32_i8 v194, v204, v156
	v_dot4c_i32_i8 v193, v202, v155
	ds_read_b128 v[208:211], v142 offset:7200
	v_mov_b32_e32 v162, 0
	v_mov_b32_e32 v160, 0
	v_lshrrev_b32_e32 v2, 4, v2
	v_dot4c_i32_i8 v193, v205, v156
	ds_read_b128 v[153:156], v142 offset:1024
	v_lshrrev_b32_e32 v4, 4, v4
	v_lshrrev_b32_e32 v3, 4, v3
	;; [unrolled: 1-line block ×7, first 2 shown]
	v_and_b32_e32 v212, 0xf0f0f0f, v2
	v_mov_b32_e32 v2, 0
	v_and_b32_e32 v4, 0xf0f0f0f, v4
	v_mov_b32_e32 v206, 0
	v_and_b32_e32 v3, 0xf0f0f0f, v3
	v_and_b32_e32 v213, 0xf0f0f0f, v30
	;; [unrolled: 1-line block ×6, first 2 shown]
	v_mov_b32_e32 v207, 0
	s_lshr_b32 s15, s0, 2
	s_waitcnt lgkmcnt(0)
	v_dot4c_i32_i8 v200, v157, v153
	v_dot4c_i32_i8 v199, v158, v153
	;; [unrolled: 1-line block ×4, first 2 shown]
	s_and_b32 s15, s15, 0x3ffffffc
	v_dot4c_i32_i8 v200, v177, v154
	v_dot4c_i32_i8 v199, v181, v154
	;; [unrolled: 1-line block ×4, first 2 shown]
	s_add_i32 s0, s0, 8
	v_dot4c_i32_i8 v200, v178, v155
	v_dot4c_i32_i8 v199, v184, v155
	v_dot4c_i32_i8 v198, v201, v155
	v_dot4c_i32_i8 v197, v202, v155
	ds_read_b128 v[30:33], v142 offset:6176
	v_dot4c_i32_i8 v200, v180, v156
	v_dot4c_i32_i8 v199, v203, v156
	v_dot4c_i32_i8 v198, v204, v156
	v_dot4c_i32_i8 v197, v205, v156
	ds_read_b128 v[153:156], v142 offset:2048
	s_waitcnt lgkmcnt(0)
	v_dot4c_i32_i8 v175, v157, v153
	v_dot4c_i32_i8 v172, v158, v153
	v_dot4c_i32_i8 v170, v159, v153
	v_dot4c_i32_i8 v168, v179, v153
	v_dot4c_i32_i8 v175, v177, v154
	v_dot4c_i32_i8 v172, v181, v154
	v_dot4c_i32_i8 v170, v182, v154
	v_dot4c_i32_i8 v168, v183, v154
	v_dot4c_i32_i8 v175, v178, v155
	v_dot4c_i32_i8 v172, v184, v155
	v_dot4c_i32_i8 v170, v201, v155
	v_dot4c_i32_i8 v168, v202, v155
	v_dot4c_i32_i8 v175, v180, v156
	v_dot4c_i32_i8 v172, v203, v156
	v_dot4c_i32_i8 v170, v204, v156
	v_dot4c_i32_i8 v168, v205, v156
	ds_read_b128 v[153:156], v142 offset:3072
	s_waitcnt lgkmcnt(0)
	v_dot4c_i32_i8 v176, v157, v153
	v_dot4c_i32_i8 v174, v158, v153
	v_dot4c_i32_i8 v171, v159, v153
	v_dot4c_i32_i8 v169, v179, v153
	v_dot4c_i32_i8 v176, v177, v154
	v_dot4c_i32_i8 v174, v181, v154
	v_dot4c_i32_i8 v171, v182, v154
	v_dot4c_i32_i8 v169, v183, v154
	v_dot4c_i32_i8 v176, v178, v155
	v_dot4c_i32_i8 v174, v184, v155
	v_dot4c_i32_i8 v171, v201, v155
	v_dot4c_i32_i8 v169, v202, v155
	;; [unrolled: 18-line block ×3, first 2 shown]
	v_dot4c_i32_i8 v167, v180, v156
	v_dot4c_i32_i8 v165, v203, v156
	;; [unrolled: 1-line block ×4, first 2 shown]
	ds_read_b128 v[153:156], v142 offset:5120
	s_waitcnt lgkmcnt(0)
	v_dot4c_i32_i8 v173, v157, v153
	v_dot4c_i32_i8 v166, v158, v153
	v_dot4c_i32_i8 v164, v159, v153
	v_dot4c_i32_i8 v162, v179, v153
	v_mov_b32_e32 v153, 0
	v_dot4c_i32_i8 v173, v177, v154
	v_dot4c_i32_i8 v166, v181, v154
	v_dot4c_i32_i8 v164, v182, v154
	v_dot4c_i32_i8 v162, v183, v154
	v_mov_b32_e32 v154, 0
	;; [unrolled: 5-line block ×4, first 2 shown]
	v_dot4c_i32_i8 v153, v158, v185
	v_dot4c_i32_i8 v154, v159, v185
	;; [unrolled: 1-line block ×16, first 2 shown]
	ds_read_b128 v[185:188], v142 offset:7168
	s_waitcnt lgkmcnt(0)
	v_dot4c_i32_i8 v160, v157, v185
	v_mov_b32_e32 v157, 0
	v_dot4c_i32_i8 v160, v177, v186
	v_dot4c_i32_i8 v157, v158, v185
	v_mov_b32_e32 v158, 0
	v_lshrrev_b32_e32 v177, 4, v26
	v_dot4c_i32_i8 v160, v178, v187
	v_dot4c_i32_i8 v157, v181, v186
	;; [unrolled: 1-line block ×3, first 2 shown]
	v_lshrrev_b32_e32 v178, 4, v27
	v_lshrrev_b32_e32 v181, 4, v28
	v_mov_b32_e32 v159, 0
	v_and_b32_e32 v217, 0xf0f0f0f, v177
	v_dot4c_i32_i8 v158, v182, v186
	v_lshrrev_b32_e32 v182, 4, v29
	ds_read_b128 v[26:29], v142 offset:32
	v_dot4c_i32_i8 v159, v179, v185
	v_and_b32_e32 v221, 0xf0f0f0f, v181
	v_dot4c_i32_i8 v158, v201, v187
	v_mov_b32_e32 v201, 0
	v_lshrrev_b32_e32 v179, 4, v189
	v_dot4c_i32_i8 v159, v183, v186
	v_lshrrev_b32_e32 v183, 4, v191
	v_dot4c_i32_i8 v158, v204, v188
	v_mov_b32_e32 v204, 0
	v_and_b32_e32 v218, 0xf0f0f0f, v178
	v_and_b32_e32 v222, 0xf0f0f0f, v182
	v_dot4c_i32_i8 v157, v184, v187
	v_dot4c_i32_i8 v160, v180, v188
	v_lshrrev_b32_e32 v180, 4, v190
	v_lshrrev_b32_e32 v184, 4, v192
	v_and_b32_e32 v219, 0xf0f0f0f, v179
	v_and_b32_e32 v223, 0xf0f0f0f, v183
	v_dot4c_i32_i8 v159, v202, v187
	v_and_b32_e32 v220, 0xf0f0f0f, v180
	s_waitcnt lgkmcnt(0)
	v_dot4c_i32_i8 v2, v212, v26
	v_dot4c_i32_i8 v206, v4, v26
	;; [unrolled: 1-line block ×4, first 2 shown]
	v_and_b32_e32 v224, 0xf0f0f0f, v184
	v_dot4c_i32_i8 v2, v3, v27
	v_dot4c_i32_i8 v206, v5, v27
	;; [unrolled: 1-line block ×14, first 2 shown]
	ds_read_b128 v[26:29], v142 offset:1056
	v_mov_b32_e32 v205, 0
	v_mov_b32_e32 v203, 0
	v_mov_b32_e32 v202, 0
	v_mov_b32_e32 v191, 0
	v_mov_b32_e32 v188, 0
	v_mov_b32_e32 v186, 0
	v_mov_b32_e32 v184, 0
	v_mov_b32_e32 v192, 0
	v_mov_b32_e32 v190, 0
	v_mov_b32_e32 v187, 0
	v_mov_b32_e32 v185, 0
	v_mov_b32_e32 v183, 0
	v_mov_b32_e32 v181, 0
	v_mov_b32_e32 v179, 0
	v_mov_b32_e32 v177, 0
	v_mov_b32_e32 v189, 0
	v_mov_b32_e32 v182, 0
	v_mov_b32_e32 v180, 0
	v_mov_b32_e32 v178, 0
	s_waitcnt lgkmcnt(0)
	v_dot4c_i32_i8 v207, v212, v26
	v_dot4c_i32_i8 v205, v4, v26
	v_dot4c_i32_i8 v203, v217, v26
	v_dot4c_i32_i8 v202, v221, v26
	v_dot4c_i32_i8 v207, v3, v27
	v_dot4c_i32_i8 v205, v5, v27
	v_dot4c_i32_i8 v203, v218, v27
	v_dot4c_i32_i8 v202, v222, v27
	v_dot4c_i32_i8 v207, v213, v28
	v_dot4c_i32_i8 v205, v215, v28
	v_dot4c_i32_i8 v203, v219, v28
	v_dot4c_i32_i8 v202, v223, v28
	v_dot4c_i32_i8 v207, v214, v29
	v_dot4c_i32_i8 v205, v216, v29
	v_dot4c_i32_i8 v203, v220, v29
	v_dot4c_i32_i8 v202, v224, v29
	ds_read_b128 v[26:29], v142 offset:2080
	s_waitcnt lgkmcnt(0)
	v_dot4c_i32_i8 v191, v212, v26
	v_dot4c_i32_i8 v188, v4, v26
	v_dot4c_i32_i8 v186, v217, v26
	v_dot4c_i32_i8 v184, v221, v26
	v_dot4c_i32_i8 v191, v3, v27
	v_dot4c_i32_i8 v188, v5, v27
	v_dot4c_i32_i8 v186, v218, v27
	v_dot4c_i32_i8 v184, v222, v27
	v_dot4c_i32_i8 v191, v213, v28
	v_dot4c_i32_i8 v188, v215, v28
	v_dot4c_i32_i8 v186, v219, v28
	v_dot4c_i32_i8 v184, v223, v28
	v_dot4c_i32_i8 v191, v214, v29
	v_dot4c_i32_i8 v188, v216, v29
	v_dot4c_i32_i8 v186, v220, v29
	v_dot4c_i32_i8 v184, v224, v29
	ds_read_b128 v[26:29], v142 offset:3104
	;; [unrolled: 18-line block ×4, first 2 shown]
	s_waitcnt lgkmcnt(0)
	v_dot4c_i32_i8 v189, v212, v26
	v_dot4c_i32_i8 v182, v4, v26
	v_dot4c_i32_i8 v180, v217, v26
	v_dot4c_i32_i8 v178, v221, v26
	v_mov_b32_e32 v26, 0
	v_dot4c_i32_i8 v189, v3, v27
	v_dot4c_i32_i8 v182, v5, v27
	v_dot4c_i32_i8 v180, v218, v27
	v_dot4c_i32_i8 v178, v222, v27
	v_mov_b32_e32 v27, 0
	;; [unrolled: 5-line block ×4, first 2 shown]
	v_dot4c_i32_i8 v26, v4, v30
	v_dot4c_i32_i8 v27, v217, v30
	;; [unrolled: 1-line block ×7, first 2 shown]
	v_mov_b32_e32 v30, 0
	v_dot4c_i32_i8 v29, v3, v31
	v_dot4c_i32_i8 v26, v215, v32
	v_dot4c_i32_i8 v27, v219, v32
	v_dot4c_i32_i8 v28, v223, v32
	v_dot4c_i32_i8 v30, v4, v208
	v_dot4c_i32_i8 v29, v213, v32
	v_dot4c_i32_i8 v26, v216, v33
	v_dot4c_i32_i8 v27, v220, v33
	v_dot4c_i32_i8 v28, v224, v33
	v_mov_b32_e32 v31, 0
	v_dot4c_i32_i8 v29, v214, v33
	v_mov_b32_e32 v33, 0
	v_mov_b32_e32 v32, 0
	v_dot4c_i32_i8 v30, v5, v209
	v_dot4c_i32_i8 v31, v217, v208
	;; [unrolled: 1-line block ×6, first 2 shown]
	v_add_nc_u32_e32 v212, 0x1090, v152
	v_dot4c_i32_i8 v33, v3, v209
	v_dot4c_i32_i8 v32, v222, v209
	;; [unrolled: 1-line block ×3, first 2 shown]
	v_add_nc_u32_e32 v216, 0x3190, v152
	v_dot4c_i32_i8 v31, v219, v210
	v_dot4c_i32_i8 v33, v213, v210
	v_dot4c_i32_i8 v32, v223, v210
	ds_read2_b32 v[3:4], v152 offset0:4 offset1:5
	ds_read2_b32 v[212:213], v212 offset1:1
	ds_read2_b32 v[216:217], v216 offset1:1
	v_dot4c_i32_i8 v33, v214, v211
	v_add_nc_u32_e32 v214, 0x2110, v152
	v_dot4c_i32_i8 v31, v220, v211
	v_dot4c_i32_i8 v32, v224, v211
	ds_read_b128 v[208:211], v142 offset:16
	ds_read2_b32 v[218:219], v152 offset0:6 offset1:7
	ds_read2_b32 v[214:215], v214 offset1:1
	s_waitcnt lgkmcnt(5)
	v_and_b32_e32 v5, 0xf0f0f0f, v3
	s_waitcnt lgkmcnt(4)
	v_and_b32_e32 v227, 0xf0f0f0f, v212
	;; [unrolled: 2-line block ×3, first 2 shown]
	v_and_b32_e32 v226, 0xf0f0f0f, v4
	v_and_b32_e32 v231, 0xf0f0f0f, v213
	;; [unrolled: 1-line block ×3, first 2 shown]
	v_lshrrev_b32_e32 v3, 4, v3
	s_waitcnt lgkmcnt(2)
	v_dot4c_i32_i8 v196, v5, v208
	v_dot4c_i32_i8 v195, v227, v208
	s_waitcnt lgkmcnt(0)
	v_and_b32_e32 v228, 0xf0f0f0f, v214
	v_dot4c_i32_i8 v193, v229, v208
	v_and_b32_e32 v232, 0xf0f0f0f, v215
	v_dot4c_i32_i8 v196, v226, v209
	v_dot4c_i32_i8 v195, v231, v209
	;; [unrolled: 1-line block ×3, first 2 shown]
	v_add_nc_u32_e32 v208, 0x1098, v152
	v_dot4c_i32_i8 v193, v233, v209
	v_lshrrev_b32_e32 v216, 4, v216
	v_lshrrev_b32_e32 v4, 4, v4
	v_dot4c_i32_i8 v194, v232, v209
	ds_read2_b32 v[220:221], v208 offset1:1
	v_add_nc_u32_e32 v208, 0x2118, v152
	v_and_b32_e32 v230, 0xf0f0f0f, v218
	v_and_b32_e32 v234, 0xf0f0f0f, v219
	v_lshrrev_b32_e32 v217, 4, v217
	v_and_b32_e32 v3, 0xf0f0f0f, v3
	ds_read2_b32 v[222:223], v208 offset1:1
	v_add_nc_u32_e32 v208, 0x3198, v152
	v_dot4c_i32_i8 v196, v230, v210
	v_and_b32_e32 v216, 0xf0f0f0f, v216
	v_and_b32_e32 v4, 0xf0f0f0f, v4
	;; [unrolled: 1-line block ×3, first 2 shown]
	ds_read2_b32 v[224:225], v208 offset1:1
	v_dot4c_i32_i8 v196, v234, v211
	v_add_nc_u32_e32 v152, 32, v152
	s_waitcnt lgkmcnt(2)
	v_and_b32_e32 v235, 0xf0f0f0f, v220
	v_and_b32_e32 v238, 0xf0f0f0f, v221
	v_dot4c_i32_i8 v195, v235, v210
	s_waitcnt lgkmcnt(1)
	v_and_b32_e32 v236, 0xf0f0f0f, v222
	v_and_b32_e32 v239, 0xf0f0f0f, v223
	v_dot4c_i32_i8 v195, v238, v211
	v_dot4c_i32_i8 v194, v236, v210
	s_waitcnt lgkmcnt(0)
	v_and_b32_e32 v237, 0xf0f0f0f, v224
	v_and_b32_e32 v240, 0xf0f0f0f, v225
	v_dot4c_i32_i8 v194, v239, v211
	v_dot4c_i32_i8 v193, v237, v210
	v_dot4c_i32_i8 v193, v240, v211
	ds_read_b128 v[208:211], v142 offset:1040
	s_waitcnt lgkmcnt(0)
	v_dot4c_i32_i8 v200, v5, v208
	v_dot4c_i32_i8 v199, v227, v208
	v_dot4c_i32_i8 v198, v228, v208
	v_dot4c_i32_i8 v197, v229, v208
	v_dot4c_i32_i8 v200, v226, v209
	v_dot4c_i32_i8 v199, v231, v209
	v_dot4c_i32_i8 v198, v232, v209
	v_dot4c_i32_i8 v197, v233, v209
	v_dot4c_i32_i8 v200, v230, v210
	v_dot4c_i32_i8 v199, v235, v210
	v_dot4c_i32_i8 v198, v236, v210
	v_dot4c_i32_i8 v197, v237, v210
	v_dot4c_i32_i8 v200, v234, v211
	v_dot4c_i32_i8 v199, v238, v211
	v_dot4c_i32_i8 v198, v239, v211
	v_dot4c_i32_i8 v197, v240, v211
	ds_read_b128 v[208:211], v142 offset:2064
	s_waitcnt lgkmcnt(0)
	v_dot4c_i32_i8 v175, v5, v208
	v_dot4c_i32_i8 v172, v227, v208
	v_dot4c_i32_i8 v170, v228, v208
	v_dot4c_i32_i8 v168, v229, v208
	v_dot4c_i32_i8 v175, v226, v209
	v_dot4c_i32_i8 v172, v231, v209
	v_dot4c_i32_i8 v170, v232, v209
	v_dot4c_i32_i8 v168, v233, v209
	v_dot4c_i32_i8 v175, v230, v210
	v_dot4c_i32_i8 v172, v235, v210
	v_dot4c_i32_i8 v170, v236, v210
	v_dot4c_i32_i8 v168, v237, v210
	v_dot4c_i32_i8 v175, v234, v211
	;; [unrolled: 18-line block ×6, first 2 shown]
	v_dot4c_i32_i8 v153, v238, v211
	v_dot4c_i32_i8 v154, v239, v211
	;; [unrolled: 1-line block ×3, first 2 shown]
	ds_read_b128 v[208:211], v142 offset:7184
	s_waitcnt lgkmcnt(0)
	v_dot4c_i32_i8 v160, v5, v208
	v_dot4c_i32_i8 v157, v227, v208
	v_dot4c_i32_i8 v158, v228, v208
	v_dot4c_i32_i8 v159, v229, v208
	v_lshrrev_b32_e32 v208, 4, v219
	v_dot4c_i32_i8 v160, v226, v209
	v_dot4c_i32_i8 v157, v231, v209
	v_dot4c_i32_i8 v158, v232, v209
	v_dot4c_i32_i8 v159, v233, v209
	v_lshrrev_b32_e32 v209, 4, v212
	;; [unrolled: 5-line block ×4, first 2 shown]
	v_lshrrev_b32_e32 v5, 4, v218
	v_lshrrev_b32_e32 v212, 4, v221
	;; [unrolled: 1-line block ×7, first 2 shown]
	v_and_b32_e32 v221, 0xf0f0f0f, v208
	v_and_b32_e32 v222, 0xf0f0f0f, v209
	;; [unrolled: 1-line block ×4, first 2 shown]
	ds_read_b128 v[208:211], v142 offset:48
	v_and_b32_e32 v213, 0xf0f0f0f, v213
	v_and_b32_e32 v214, 0xf0f0f0f, v214
	v_lshrrev_b32_e32 v220, 4, v225
	v_and_b32_e32 v5, 0xf0f0f0f, v5
	v_and_b32_e32 v215, 0xf0f0f0f, v215
	;; [unrolled: 1-line block ×6, first 2 shown]
	s_waitcnt lgkmcnt(0)
	v_dot4c_i32_i8 v2, v3, v208
	v_dot4c_i32_i8 v206, v222, v208
	v_dot4c_i32_i8 v204, v213, v208
	v_dot4c_i32_i8 v201, v216, v208
	v_dot4c_i32_i8 v2, v4, v209
	v_dot4c_i32_i8 v206, v223, v209
	v_dot4c_i32_i8 v204, v214, v209
	v_dot4c_i32_i8 v201, v217, v209
	v_dot4c_i32_i8 v2, v5, v210
	v_dot4c_i32_i8 v206, v224, v210
	v_dot4c_i32_i8 v204, v215, v210
	v_dot4c_i32_i8 v201, v219, v210
	v_dot4c_i32_i8 v2, v221, v211
	v_dot4c_i32_i8 v206, v212, v211
	v_dot4c_i32_i8 v204, v218, v211
	v_dot4c_i32_i8 v201, v220, v211
	ds_read_b128 v[208:211], v142 offset:1072
	s_waitcnt lgkmcnt(0)
	v_dot4c_i32_i8 v207, v3, v208
	v_dot4c_i32_i8 v205, v222, v208
	v_dot4c_i32_i8 v203, v213, v208
	v_dot4c_i32_i8 v202, v216, v208
	v_dot4c_i32_i8 v207, v4, v209
	v_dot4c_i32_i8 v205, v223, v209
	v_dot4c_i32_i8 v203, v214, v209
	v_dot4c_i32_i8 v202, v217, v209
	v_dot4c_i32_i8 v207, v5, v210
	v_dot4c_i32_i8 v205, v224, v210
	v_dot4c_i32_i8 v203, v215, v210
	v_dot4c_i32_i8 v202, v219, v210
	v_dot4c_i32_i8 v207, v221, v211
	v_dot4c_i32_i8 v205, v212, v211
	v_dot4c_i32_i8 v203, v218, v211
	v_dot4c_i32_i8 v202, v220, v211
	ds_read_b128 v[208:211], v142 offset:2096
	;; [unrolled: 18-line block ×7, first 2 shown]
	v_add_nc_u32_e32 v142, 64, v142
	s_waitcnt lgkmcnt(0)
	v_dot4c_i32_i8 v30, v222, v208
	v_dot4c_i32_i8 v31, v213, v208
	;; [unrolled: 1-line block ×13, first 2 shown]
	v_add_nc_u32_e32 v212, s1, v121
	v_dot4c_i32_i8 v33, v221, v211
	v_dot4c_i32_i8 v31, v218, v211
	;; [unrolled: 1-line block ×3, first 2 shown]
	s_add_i32 s1, s1, 2
	v_add3_u32 v213, v125, s15, v212
	v_add3_u32 v214, v124, s15, v212
	;; [unrolled: 1-line block ×4, first 2 shown]
	s_add_i32 s15, s11, 8
	ds_read_u16 v3, v213 offset:25088
	s_add_i32 s11, s11, 16
	s_cmp_lt_u32 s11, 24
	s_mov_b32 s11, s15
	s_waitcnt lgkmcnt(0)
	v_and_b32_e32 v209, 0xff, v3
	v_and_b32_sdwa v208, v141, v3 dst_sel:DWORD dst_unused:UNUSED_PAD src0_sel:DWORD src1_sel:BYTE_1
	v_mul_lo_u32 v3, v196, v209
	v_mul_lo_u32 v2, v2, v208
	;; [unrolled: 1-line block ×8, first 2 shown]
	v_cvt_f32_i32_e32 v196, v3
	v_cvt_f32_i32_e32 v210, v2
	ds_read2_b64 v[2:5], v143 offset1:16
	v_cvt_f32_i32_e32 v200, v200
	v_cvt_f32_i32_e32 v207, v207
	;; [unrolled: 1-line block ×6, first 2 shown]
	v_mul_lo_u32 v160, v160, v209
	v_mul_lo_u32 v33, v33, v208
	v_cvt_f32_i32_e32 v33, v33
	s_waitcnt lgkmcnt(0)
	v_fma_mix_f32 v200, v200, v4, 0 op_sel_hi:[0,1,0]
	v_fma_mix_f32 v196, v2, v196, 0 op_sel_hi:[1,0,0]
	;; [unrolled: 1-line block ×3, first 2 shown]
	ds_read_u16 v207, v214 offset:25600
	v_fma_mix_f32 v196, v3, v210, v196 op_sel_hi:[1,0,0]
	s_waitcnt lgkmcnt(0)
	v_and_b32_e32 v210, 0xff, v207
	v_and_b32_sdwa v207, v141, v207 dst_sel:DWORD dst_unused:UNUSED_PAD src0_sel:DWORD src1_sel:BYTE_1
	v_mul_lo_u32 v195, v195, v210
	v_mul_lo_u32 v206, v206, v207
	;; [unrolled: 1-line block ×8, first 2 shown]
	v_cvt_f32_i32_e32 v195, v195
	v_cvt_f32_i32_e32 v206, v206
	;; [unrolled: 1-line block ×5, first 2 shown]
	v_fma_mix_f32 v195, v2, v195, 0 op_sel_hi:[1,0,0]
	v_cvt_f32_i32_e32 v188, v188
	v_fma_mix_f32 v199, v199, v4, 0 op_sel_hi:[0,1,0]
	v_cvt_f32_i32_e32 v166, v166
	v_cvt_f32_i32_e32 v165, v165
	v_fma_mix_f32 v195, v3, v206, v195 op_sel_hi:[1,0,0]
	ds_read_u16 v206, v215 offset:26112
	v_mul_lo_u32 v181, v181, v207
	v_mul_lo_u32 v153, v153, v210
	;; [unrolled: 1-line block ×5, first 2 shown]
	v_cvt_f32_i32_e32 v181, v181
	v_cvt_f32_i32_e32 v153, v153
	v_cvt_f32_i32_e32 v26, v26
	s_waitcnt lgkmcnt(0)
	v_and_b32_e32 v211, 0xff, v206
	v_and_b32_sdwa v206, v141, v206 dst_sel:DWORD dst_unused:UNUSED_PAD src0_sel:DWORD src1_sel:BYTE_1
	v_mul_lo_u32 v194, v194, v211
	v_mul_lo_u32 v204, v204, v206
	;; [unrolled: 1-line block ×8, first 2 shown]
	v_cvt_f32_i32_e32 v194, v194
	v_cvt_f32_i32_e32 v204, v204
	;; [unrolled: 1-line block ×5, first 2 shown]
	v_fma_mix_f32 v194, v2, v194, 0 op_sel_hi:[1,0,0]
	v_cvt_f32_i32_e32 v186, v186
	v_fma_mix_f32 v198, v198, v4, 0 op_sel_hi:[0,1,0]
	v_cvt_f32_i32_e32 v164, v164
	v_mul_lo_u32 v179, v179, v206
	v_fma_mix_f32 v194, v3, v204, v194 op_sel_hi:[1,0,0]
	ds_read_u16 v204, v216 offset:26624
	v_cvt_f32_i32_e32 v163, v163
	v_mul_lo_u32 v154, v154, v211
	v_mul_lo_u32 v27, v27, v206
	;; [unrolled: 1-line block ×4, first 2 shown]
	v_cvt_f32_i32_e32 v179, v179
	v_cvt_f32_i32_e32 v27, v27
	s_waitcnt lgkmcnt(0)
	v_and_b32_e32 v212, 0xff, v204
	v_and_b32_sdwa v204, v141, v204 dst_sel:DWORD dst_unused:UNUSED_PAD src0_sel:DWORD src1_sel:BYTE_1
	v_mul_lo_u32 v193, v193, v212
	v_mul_lo_u32 v201, v201, v204
	;; [unrolled: 1-line block ×8, first 2 shown]
	v_cvt_f32_i32_e32 v193, v193
	v_cvt_f32_i32_e32 v201, v201
	;; [unrolled: 1-line block ×5, first 2 shown]
	v_fma_mix_f32 v193, v2, v193, 0 op_sel_hi:[1,0,0]
	v_cvt_f32_i32_e32 v169, v169
	v_fma_mix_f32 v197, v197, v4, 0 op_sel_hi:[0,1,0]
	v_cvt_f32_i32_e32 v161, v161
	v_cvt_f32_i32_e32 v177, v177
	v_fma_mix_f32 v193, v3, v201, v193 op_sel_hi:[1,0,0]
	v_mul_lo_u32 v201, v205, v207
	v_mul_lo_u32 v162, v162, v212
	;; [unrolled: 1-line block ×6, first 2 shown]
	v_cvt_f32_i32_e32 v201, v201
	v_cvt_f32_i32_e32 v162, v162
	;; [unrolled: 1-line block ×3, first 2 shown]
	v_fma_mix_f32 v199, v201, v5, v199 op_sel_hi:[0,1,0]
	v_mul_lo_u32 v201, v203, v206
	v_cvt_f32_i32_e32 v201, v201
	v_fma_mix_f32 v198, v201, v5, v198 op_sel_hi:[0,1,0]
	v_mul_lo_u32 v201, v202, v204
	v_cvt_f32_i32_e32 v201, v201
	v_fma_mix_f32 v197, v201, v5, v197 op_sel_hi:[0,1,0]
	ds_read_u16 v202, v213 offset:25096
	ds_read_u16 v201, v214 offset:25608
	;; [unrolled: 1-line block ×4, first 2 shown]
	s_waitcnt lgkmcnt(3)
	v_cvt_f32_ubyte0_e32 v213, v202
	s_waitcnt lgkmcnt(2)
	v_cvt_f32_ubyte0_e32 v214, v201
	;; [unrolled: 2-line block ×4, first 2 shown]
	v_cvt_f32_ubyte1_e32 v205, v205
	v_fma_mix_f32 v217, v2, v213, 0 op_sel:[1,0,0] op_sel_hi:[1,0,0]
	v_fma_mix_f32 v218, v2, v214, 0 op_sel:[1,0,0] op_sel_hi:[1,0,0]
	;; [unrolled: 1-line block ×4, first 2 shown]
	v_cvt_f32_ubyte1_e32 v202, v202
	v_cvt_f32_ubyte1_e32 v201, v201
	;; [unrolled: 1-line block ×3, first 2 shown]
	v_fma_mix_f32 v220, v3, v205, v2 op_sel:[1,0,0] op_sel_hi:[1,0,0]
	v_fma_mix_f32 v2, v213, v4, 0 op_sel:[0,1,0] op_sel_hi:[0,1,0]
	;; [unrolled: 1-line block ×12, first 2 shown]
	v_mul_lo_u32 v2, v175, v209
	v_mul_lo_u32 v175, v191, v208
	v_cvt_f32_i32_e32 v191, v2
	ds_read2_b64 v[2:5], v143 offset0:32 offset1:48
	v_cvt_f32_i32_e32 v175, v175
	s_waitcnt lgkmcnt(0)
	v_fma_mix_f32 v168, v168, v2, 0 op_sel_hi:[0,1,0]
	v_fma_mix_f32 v174, v174, v4, 0 op_sel_hi:[0,1,0]
	;; [unrolled: 1-line block ×6, first 2 shown]
	v_mul_lo_u32 v184, v190, v207
	v_fma_mix_f32 v191, v191, v2, 0 op_sel_hi:[0,1,0]
	v_fma_mix_f32 v172, v172, v2, 0 op_sel_hi:[0,1,0]
	;; [unrolled: 1-line block ×3, first 2 shown]
	v_fma_mix_f32 v186, v215, v2, 0 op_sel:[0,1,0] op_sel_hi:[0,1,0]
	v_fma_mix_f32 v176, v176, v4, 0 op_sel_hi:[0,1,0]
	v_fma_mix_f32 v175, v175, v3, v191 op_sel_hi:[0,1,0]
	v_mul_lo_u32 v191, v192, v208
	v_cvt_f32_i32_e32 v184, v184
	v_fma_mix_f32 v172, v188, v3, v172 op_sel_hi:[0,1,0]
	v_fma_mix_f32 v186, v203, v3, v186 op_sel:[0,1,0] op_sel_hi:[0,1,0]
	v_fma_mix_f32 v174, v184, v5, v174 op_sel_hi:[0,1,0]
	v_mul_lo_u32 v184, v187, v206
	v_cvt_f32_i32_e32 v191, v191
	v_fma_mix_f32 v176, v191, v5, v176 op_sel_hi:[0,1,0]
	v_cvt_f32_i32_e32 v184, v184
	v_fma_mix_f32 v171, v184, v5, v171 op_sel_hi:[0,1,0]
	v_mul_lo_u32 v184, v185, v204
	v_fma_mix_f32 v185, v214, v2, 0 op_sel:[0,1,0] op_sel_hi:[0,1,0]
	v_fma_mix_f32 v185, v201, v3, v185 op_sel:[0,1,0] op_sel_hi:[0,1,0]
	v_cvt_f32_i32_e32 v184, v184
	v_fma_mix_f32 v169, v184, v5, v169 op_sel_hi:[0,1,0]
	v_fma_mix_f32 v184, v213, v2, 0 op_sel:[0,1,0] op_sel_hi:[0,1,0]
	v_fma_mix_f32 v2, v216, v2, 0 op_sel:[0,1,0] op_sel_hi:[0,1,0]
	;; [unrolled: 1-line block ×12, first 2 shown]
	v_mul_lo_u32 v2, v167, v209
	v_mul_lo_u32 v167, v183, v208
	v_cvt_f32_i32_e32 v183, v2
	ds_read2_b64 v[2:5], v143 offset0:64 offset1:80
	v_cvt_f32_i32_e32 v167, v167
	s_waitcnt lgkmcnt(0)
	v_fma_mix_f32 v161, v161, v2, 0 op_sel_hi:[0,1,0]
	v_fma_mix_f32 v166, v166, v4, 0 op_sel_hi:[0,1,0]
	;; [unrolled: 1-line block ×6, first 2 shown]
	v_mul_lo_u32 v177, v182, v207
	v_fma_mix_f32 v183, v183, v2, 0 op_sel_hi:[0,1,0]
	v_fma_mix_f32 v165, v165, v2, 0 op_sel_hi:[0,1,0]
	;; [unrolled: 1-line block ×3, first 2 shown]
	v_fma_mix_f32 v179, v215, v2, 0 op_sel:[0,1,0] op_sel_hi:[0,1,0]
	v_fma_mix_f32 v173, v173, v4, 0 op_sel_hi:[0,1,0]
	v_fma_mix_f32 v167, v167, v3, v183 op_sel_hi:[0,1,0]
	v_mul_lo_u32 v183, v189, v208
	v_cvt_f32_i32_e32 v177, v177
	v_fma_mix_f32 v165, v181, v3, v165 op_sel_hi:[0,1,0]
	v_fma_mix_f32 v179, v203, v3, v179 op_sel:[0,1,0] op_sel_hi:[0,1,0]
	v_fma_mix_f32 v166, v177, v5, v166 op_sel_hi:[0,1,0]
	v_mul_lo_u32 v177, v180, v206
	v_cvt_f32_i32_e32 v183, v183
	v_fma_mix_f32 v173, v183, v5, v173 op_sel_hi:[0,1,0]
	v_cvt_f32_i32_e32 v177, v177
	v_fma_mix_f32 v164, v177, v5, v164 op_sel_hi:[0,1,0]
	v_mul_lo_u32 v177, v178, v204
	v_fma_mix_f32 v178, v214, v2, 0 op_sel:[0,1,0] op_sel_hi:[0,1,0]
	v_fma_mix_f32 v178, v201, v3, v178 op_sel:[0,1,0] op_sel_hi:[0,1,0]
	v_cvt_f32_i32_e32 v177, v177
	v_fma_mix_f32 v162, v177, v5, v162 op_sel_hi:[0,1,0]
	v_fma_mix_f32 v177, v213, v2, 0 op_sel:[0,1,0] op_sel_hi:[0,1,0]
	v_fma_mix_f32 v2, v216, v2, 0 op_sel:[0,1,0] op_sel_hi:[0,1,0]
	;; [unrolled: 1-line block ×12, first 2 shown]
	ds_read2_b64 v[2:5], v143 offset0:96 offset1:112
	v_add_nc_u32_e32 v143, 8, v143
	s_waitcnt lgkmcnt(0)
	v_fma_mix_f32 v153, v153, v2, 0 op_sel_hi:[0,1,0]
	v_fma_mix_f32 v225, v213, v2, 0 op_sel:[0,1,0] op_sel_hi:[0,1,0]
	v_fma_mix_f32 v213, v213, v4, 0 op_sel:[0,1,0] op_sel_hi:[0,1,0]
	v_fma_mix_f32 v156, v156, v2, 0 op_sel_hi:[0,1,0]
	v_fma_mix_f32 v26, v26, v3, v153 op_sel_hi:[0,1,0]
	v_cvt_f32_i32_e32 v153, v154
	v_fma_mix_f32 v225, v202, v3, v225 op_sel:[0,1,0] op_sel_hi:[0,1,0]
	v_fma_mix_f32 v202, v202, v5, v213 op_sel:[0,1,0] op_sel_hi:[0,1,0]
	;; [unrolled: 1-line block ×4, first 2 shown]
	v_fma_mix_f32 v153, v153, v2, 0 op_sel_hi:[0,1,0]
	v_fma_mix_f32 v29, v29, v3, v156 op_sel_hi:[0,1,0]
	v_cvt_f32_i32_e32 v156, v160
	v_fma_mix_f32 v213, v201, v3, v213 op_sel:[0,1,0] op_sel_hi:[0,1,0]
	v_fma_mix_f32 v201, v201, v5, v214 op_sel:[0,1,0] op_sel_hi:[0,1,0]
	;; [unrolled: 1-line block ×4, first 2 shown]
	v_fma_mix_f32 v27, v27, v3, v153 op_sel_hi:[0,1,0]
	v_cvt_f32_i32_e32 v153, v155
	v_mul_f32_e32 v155, v225, v145
	v_fma_mix_f32 v214, v203, v3, v214 op_sel:[0,1,0] op_sel_hi:[0,1,0]
	v_fma_mix_f32 v203, v203, v5, v215 op_sel:[0,1,0] op_sel_hi:[0,1,0]
	;; [unrolled: 1-line block ×3, first 2 shown]
	v_fma_mix_f32 v2, v153, v2, 0 op_sel_hi:[0,1,0]
	v_mul_f32_e32 v153, v177, v145
	v_fma_f32 v29, v29, v144, -v155
	v_fma_mix_f32 v216, v216, v4, 0 op_sel:[0,1,0] op_sel_hi:[0,1,0]
	v_fma_mix_f32 v215, v205, v3, v215 op_sel:[0,1,0] op_sel_hi:[0,1,0]
	v_fma_mix_f32 v2, v28, v3, v2 op_sel_hi:[0,1,0]
	v_cvt_f32_i32_e32 v3, v157
	v_cvt_f32_i32_e32 v28, v30
	;; [unrolled: 1-line block ×3, first 2 shown]
	v_fma_f32 v153, v167, v144, -v153
	v_add_f32_e32 v41, v41, v29
	v_fma_mix_f32 v3, v3, v4, 0 op_sel_hi:[0,1,0]
	v_mul_f32_e32 v29, v213, v146
	v_fma_mix_f32 v156, v156, v4, 0 op_sel_hi:[0,1,0]
	v_add_f32_e32 v49, v49, v153
	v_mul_f32_e32 v153, v178, v146
	v_fma_mix_f32 v3, v28, v5, v3 op_sel_hi:[0,1,0]
	v_cvt_f32_i32_e32 v28, v158
	v_fma_f32 v26, v26, v147, -v29
	v_mul_f32_e32 v29, v214, v148
	v_fma_f32 v153, v165, v147, -v153
	v_mul_f32_e32 v165, v179, v148
	v_fma_mix_f32 v28, v28, v4, 0 op_sel_hi:[0,1,0]
	v_fma_mix_f32 v205, v205, v5, v216 op_sel:[0,1,0] op_sel_hi:[0,1,0]
	v_fma_f32 v27, v27, v149, -v29
	v_mul_f32_e32 v29, v215, v150
	v_fma_mix_f32 v33, v33, v5, v156 op_sel_hi:[0,1,0]
	v_fma_mix_f32 v28, v30, v5, v28 op_sel_hi:[0,1,0]
	v_cvt_f32_i32_e32 v30, v159
	v_mul_f32_e32 v31, v184, v145
	v_mul_f32_e32 v154, v181, v145
	v_fma_f32 v163, v163, v149, -v165
	v_mul_f32_e32 v165, v180, v150
	v_fma_mix_f32 v4, v30, v4, 0 op_sel_hi:[0,1,0]
	v_cvt_f32_i32_e32 v30, v32
	v_mul_f32_e32 v32, v188, v145
	v_fma_f32 v2, v2, v151, -v29
	v_mul_f32_e32 v29, v201, v146
	v_fma_f32 v31, v175, v144, -v31
	v_fma_mix_f32 v4, v30, v5, v4 op_sel_hi:[0,1,0]
	v_mul_f32_e32 v5, v217, v145
	v_mul_f32_e32 v30, v221, v145
	v_fma_f32 v32, v176, v144, -v32
	v_fma_f32 v154, v173, v144, -v154
	v_mul_f32_e32 v155, v202, v145
	v_fma_f32 v5, v196, v144, -v5
	v_fma_f32 v30, v200, v144, -v30
	v_mul_f32_e32 v160, v187, v150
	v_fma_f32 v161, v161, v151, -v165
	v_mul_f32_e32 v165, v183, v148
	;; [unrolled: 2-line block ×3, first 2 shown]
	v_fma_f32 v33, v33, v144, -v155
	v_add_f32_e32 v91, v91, v5
	v_mul_f32_e32 v5, v218, v146
	v_mul_f32_e32 v155, v219, v148
	;; [unrolled: 1-line block ×3, first 2 shown]
	v_add_f32_e32 v80, v80, v30
	v_mul_f32_e32 v30, v222, v146
	v_mul_f32_e32 v157, v223, v148
	;; [unrolled: 1-line block ×3, first 2 shown]
	v_add_f32_e32 v63, v63, v31
	v_mul_f32_e32 v31, v185, v146
	v_mul_f32_e32 v159, v186, v148
	v_fma_f32 v160, v168, v151, -v160
	v_add_f32_e32 v54, v54, v32
	v_mul_f32_e32 v32, v190, v146
	v_mul_f32_e32 v167, v191, v148
	;; [unrolled: 1-line block ×3, first 2 shown]
	v_add_f32_e32 v45, v45, v154
	v_mul_f32_e32 v154, v182, v146
	v_fma_f32 v164, v164, v149, -v165
	v_mul_f32_e32 v165, v189, v150
	v_fma_f32 v28, v28, v149, -v29
	;; [unrolled: 2-line block ×3, first 2 shown]
	v_fma_f32 v155, v194, v149, -v155
	v_fma_f32 v156, v193, v151, -v156
	;; [unrolled: 1-line block ×13, first 2 shown]
	v_add_f32_e32 v37, v37, v33
	v_add_f32_e32 v86, v86, v5
	v_add_f32_e32 v85, v85, v155
	v_add_f32_e32 v84, v84, v156
	v_add_f32_e32 v77, v77, v30
	v_add_f32_e32 v70, v70, v157
	v_add_f32_e32 v69, v69, v158
	v_add_f32_e32 v58, v58, v31
	v_add_f32_e32 v56, v56, v159
	v_add_f32_e32 v55, v55, v160
	v_add_f32_e32 v53, v53, v32
	v_add_f32_e32 v51, v51, v167
	v_add_f32_e32 v50, v50, v168
	v_add_f32_e32 v48, v48, v153
	v_add_f32_e32 v47, v47, v163
	v_add_f32_e32 v46, v46, v161
	v_add_f32_e32 v44, v44, v154
	v_add_f32_e32 v43, v43, v164
	v_add_f32_e32 v42, v42, v162
	v_add_f32_e32 v40, v40, v26
	v_add_f32_e32 v39, v39, v27
	v_add_f32_e32 v38, v38, v2
	v_add_f32_e32 v36, v36, v3
	v_add_f32_e32 v35, v35, v28
	v_add_f32_e32 v34, v34, v4
	s_cbranch_scc1 .LBB172_8
; %bb.9:                                ;   in Loop: Header=BB172_5 Depth=1
	s_add_i32 s9, s9, 1
	s_cmp_eq_u32 s9, s4
	s_barrier
	buffer_gl0_inv
	s_cbranch_scc0 .LBB172_5
; %bb.10:
	v_mov_b32_e32 v2, v52
.LBB172_11:
	s_mov_b32 s0, exec_lo
	v_cmpx_gt_u32_e64 s10, v2
	s_cbranch_execz .LBB172_62
; %bb.12:
	v_add_nc_u32_e32 v0, s6, v0
	v_mul_lo_u32 v5, v2, s14
	v_cmp_gt_u32_e64 s0, s14, v0
	s_and_saveexec_b32 s1, s0
	s_cbranch_execz .LBB172_14
; %bb.13:
	v_add_nc_u32_e32 v2, v0, v5
	v_mov_b32_e32 v3, 0
	v_bfe_u32 v4, v91, 16, 1
	v_cmp_o_f32_e32 vcc_lo, v91, v91
	v_mov_b32_e32 v6, 0x7fc0
	v_lshlrev_b64 v[2:3], 1, v[2:3]
	v_add3_u32 v4, v91, v4, 0x7fff
	v_cndmask_b32_sdwa v4, v6, v4, vcc_lo dst_sel:DWORD dst_unused:UNUSED_PAD src0_sel:DWORD src1_sel:WORD_1
	s_waitcnt lgkmcnt(0)
	v_add_co_u32 v2, vcc_lo, s12, v2
	v_add_co_ci_u32_e64 v3, null, s13, v3, vcc_lo
	global_store_short v[2:3], v4, off
.LBB172_14:
	s_or_b32 exec_lo, exec_lo, s1
	v_add_nc_u32_e32 v2, 32, v0
	v_cmp_gt_u32_e64 s1, s14, v2
	s_and_saveexec_b32 s2, s1
	s_cbranch_execz .LBB172_16
; %bb.15:
	v_add_nc_u32_e32 v3, v2, v5
	v_mov_b32_e32 v4, 0
	v_bfe_u32 v6, v86, 16, 1
	v_cmp_o_f32_e32 vcc_lo, v86, v86
	v_mov_b32_e32 v7, 0x7fc0
	v_lshlrev_b64 v[3:4], 1, v[3:4]
	v_add3_u32 v6, v86, v6, 0x7fff
	v_cndmask_b32_sdwa v6, v7, v6, vcc_lo dst_sel:DWORD dst_unused:UNUSED_PAD src0_sel:DWORD src1_sel:WORD_1
	s_waitcnt lgkmcnt(0)
	v_add_co_u32 v3, vcc_lo, s12, v3
	v_add_co_ci_u32_e64 v4, null, s13, v4, vcc_lo
	global_store_short v[3:4], v6, off
.LBB172_16:
	s_or_b32 exec_lo, exec_lo, s2
	v_add_nc_u32_e32 v3, 64, v0
	;; [unrolled: 19-line block ×3, first 2 shown]
	v_cmp_gt_u32_e64 s3, s14, v4
	s_and_saveexec_b32 s4, s3
	s_cbranch_execz .LBB172_20
; %bb.19:
	v_add_nc_u32_e32 v5, v4, v5
	v_mov_b32_e32 v6, 0
	v_bfe_u32 v7, v84, 16, 1
	v_cmp_o_f32_e32 vcc_lo, v84, v84
	v_mov_b32_e32 v8, 0x7fc0
	v_lshlrev_b64 v[5:6], 1, v[5:6]
	v_add3_u32 v7, v84, v7, 0x7fff
	v_cndmask_b32_sdwa v7, v8, v7, vcc_lo dst_sel:DWORD dst_unused:UNUSED_PAD src0_sel:DWORD src1_sel:WORD_1
	s_waitcnt lgkmcnt(0)
	v_add_co_u32 v5, vcc_lo, s12, v5
	v_add_co_ci_u32_e64 v6, null, s13, v6, vcc_lo
	global_store_short v[5:6], v7, off
.LBB172_20:
	s_or_b32 exec_lo, exec_lo, s4
	v_add3_u32 v5, v1, s7, 8
	v_cmp_gt_u32_e32 vcc_lo, s10, v5
	s_and_b32 exec_lo, exec_lo, vcc_lo
	s_cbranch_execz .LBB172_62
; %bb.21:
	v_mul_lo_u32 v5, v5, s14
	s_and_saveexec_b32 s4, s0
	s_cbranch_execnz .LBB172_63
; %bb.22:
	s_or_b32 exec_lo, exec_lo, s4
	s_and_saveexec_b32 s4, s1
	s_cbranch_execnz .LBB172_64
.LBB172_23:
	s_or_b32 exec_lo, exec_lo, s4
	s_and_saveexec_b32 s4, s2
	s_cbranch_execnz .LBB172_65
.LBB172_24:
	s_or_b32 exec_lo, exec_lo, s4
	s_and_saveexec_b32 s4, s3
	s_cbranch_execz .LBB172_26
.LBB172_25:
	v_add_nc_u32_e32 v5, v5, v4
	v_mov_b32_e32 v6, 0
	v_bfe_u32 v7, v69, 16, 1
	v_cmp_o_f32_e32 vcc_lo, v69, v69
	v_mov_b32_e32 v8, 0x7fc0
	v_lshlrev_b64 v[5:6], 1, v[5:6]
	v_add3_u32 v7, v69, v7, 0x7fff
	v_cndmask_b32_sdwa v7, v8, v7, vcc_lo dst_sel:DWORD dst_unused:UNUSED_PAD src0_sel:DWORD src1_sel:WORD_1
	s_waitcnt lgkmcnt(0)
	v_add_co_u32 v5, vcc_lo, s12, v5
	v_add_co_ci_u32_e64 v6, null, s13, v6, vcc_lo
	global_store_short v[5:6], v7, off
.LBB172_26:
	s_or_b32 exec_lo, exec_lo, s4
	v_add3_u32 v5, v1, s7, 16
	v_cmp_gt_u32_e32 vcc_lo, s10, v5
	s_and_b32 exec_lo, exec_lo, vcc_lo
	s_cbranch_execz .LBB172_62
; %bb.27:
	v_mul_lo_u32 v5, v5, s14
	s_and_saveexec_b32 s4, s0
	s_cbranch_execnz .LBB172_66
; %bb.28:
	s_or_b32 exec_lo, exec_lo, s4
	s_and_saveexec_b32 s4, s1
	s_cbranch_execnz .LBB172_67
.LBB172_29:
	s_or_b32 exec_lo, exec_lo, s4
	s_and_saveexec_b32 s4, s2
	s_cbranch_execnz .LBB172_68
.LBB172_30:
	s_or_b32 exec_lo, exec_lo, s4
	s_and_saveexec_b32 s4, s3
	s_cbranch_execz .LBB172_32
.LBB172_31:
	v_add_nc_u32_e32 v5, v5, v4
	v_mov_b32_e32 v6, 0
	v_bfe_u32 v7, v55, 16, 1
	v_cmp_o_f32_e32 vcc_lo, v55, v55
	v_mov_b32_e32 v8, 0x7fc0
	v_lshlrev_b64 v[5:6], 1, v[5:6]
	v_add3_u32 v7, v55, v7, 0x7fff
	v_cndmask_b32_sdwa v7, v8, v7, vcc_lo dst_sel:DWORD dst_unused:UNUSED_PAD src0_sel:DWORD src1_sel:WORD_1
	s_waitcnt lgkmcnt(0)
	v_add_co_u32 v5, vcc_lo, s12, v5
	v_add_co_ci_u32_e64 v6, null, s13, v6, vcc_lo
	global_store_short v[5:6], v7, off
.LBB172_32:
	s_or_b32 exec_lo, exec_lo, s4
	v_add3_u32 v5, v1, s7, 24
	v_cmp_gt_u32_e32 vcc_lo, s10, v5
	s_and_b32 exec_lo, exec_lo, vcc_lo
	s_cbranch_execz .LBB172_62
; %bb.33:
	v_mul_lo_u32 v5, v5, s14
	s_and_saveexec_b32 s4, s0
	s_cbranch_execnz .LBB172_69
; %bb.34:
	s_or_b32 exec_lo, exec_lo, s4
	s_and_saveexec_b32 s4, s1
	s_cbranch_execnz .LBB172_70
.LBB172_35:
	s_or_b32 exec_lo, exec_lo, s4
	s_and_saveexec_b32 s4, s2
	s_cbranch_execnz .LBB172_71
.LBB172_36:
	s_or_b32 exec_lo, exec_lo, s4
	s_and_saveexec_b32 s4, s3
	s_cbranch_execz .LBB172_38
.LBB172_37:
	v_add_nc_u32_e32 v5, v5, v4
	v_mov_b32_e32 v6, 0
	v_bfe_u32 v7, v50, 16, 1
	v_cmp_o_f32_e32 vcc_lo, v50, v50
	v_mov_b32_e32 v8, 0x7fc0
	v_lshlrev_b64 v[5:6], 1, v[5:6]
	v_add3_u32 v7, v50, v7, 0x7fff
	v_cndmask_b32_sdwa v7, v8, v7, vcc_lo dst_sel:DWORD dst_unused:UNUSED_PAD src0_sel:DWORD src1_sel:WORD_1
	s_waitcnt lgkmcnt(0)
	v_add_co_u32 v5, vcc_lo, s12, v5
	v_add_co_ci_u32_e64 v6, null, s13, v6, vcc_lo
	global_store_short v[5:6], v7, off
.LBB172_38:
	s_or_b32 exec_lo, exec_lo, s4
	v_add3_u32 v5, v1, s7, 32
	v_cmp_gt_u32_e32 vcc_lo, s10, v5
	s_and_b32 exec_lo, exec_lo, vcc_lo
	s_cbranch_execz .LBB172_62
; %bb.39:
	v_mul_lo_u32 v5, v5, s14
	s_and_saveexec_b32 s4, s0
	s_cbranch_execnz .LBB172_72
; %bb.40:
	s_or_b32 exec_lo, exec_lo, s4
	s_and_saveexec_b32 s4, s1
	s_cbranch_execnz .LBB172_73
.LBB172_41:
	s_or_b32 exec_lo, exec_lo, s4
	s_and_saveexec_b32 s4, s2
	s_cbranch_execnz .LBB172_74
.LBB172_42:
	s_or_b32 exec_lo, exec_lo, s4
	s_and_saveexec_b32 s4, s3
	s_cbranch_execz .LBB172_44
.LBB172_43:
	v_add_nc_u32_e32 v5, v5, v4
	v_mov_b32_e32 v6, 0
	v_bfe_u32 v7, v46, 16, 1
	v_cmp_o_f32_e32 vcc_lo, v46, v46
	v_mov_b32_e32 v8, 0x7fc0
	v_lshlrev_b64 v[5:6], 1, v[5:6]
	v_add3_u32 v7, v46, v7, 0x7fff
	v_cndmask_b32_sdwa v7, v8, v7, vcc_lo dst_sel:DWORD dst_unused:UNUSED_PAD src0_sel:DWORD src1_sel:WORD_1
	s_waitcnt lgkmcnt(0)
	v_add_co_u32 v5, vcc_lo, s12, v5
	v_add_co_ci_u32_e64 v6, null, s13, v6, vcc_lo
	global_store_short v[5:6], v7, off
.LBB172_44:
	s_or_b32 exec_lo, exec_lo, s4
	v_add3_u32 v5, v1, s7, 40
	v_cmp_gt_u32_e32 vcc_lo, s10, v5
	s_and_b32 exec_lo, exec_lo, vcc_lo
	s_cbranch_execz .LBB172_62
; %bb.45:
	v_mul_lo_u32 v5, v5, s14
	s_and_saveexec_b32 s4, s0
	s_cbranch_execnz .LBB172_75
; %bb.46:
	s_or_b32 exec_lo, exec_lo, s4
	s_and_saveexec_b32 s4, s1
	s_cbranch_execnz .LBB172_76
.LBB172_47:
	s_or_b32 exec_lo, exec_lo, s4
	s_and_saveexec_b32 s4, s2
	s_cbranch_execnz .LBB172_77
.LBB172_48:
	s_or_b32 exec_lo, exec_lo, s4
	s_and_saveexec_b32 s4, s3
	s_cbranch_execz .LBB172_50
.LBB172_49:
	v_add_nc_u32_e32 v5, v5, v4
	v_mov_b32_e32 v6, 0
	v_bfe_u32 v7, v42, 16, 1
	v_cmp_o_f32_e32 vcc_lo, v42, v42
	v_mov_b32_e32 v8, 0x7fc0
	v_lshlrev_b64 v[5:6], 1, v[5:6]
	v_add3_u32 v7, v42, v7, 0x7fff
	v_cndmask_b32_sdwa v7, v8, v7, vcc_lo dst_sel:DWORD dst_unused:UNUSED_PAD src0_sel:DWORD src1_sel:WORD_1
	s_waitcnt lgkmcnt(0)
	v_add_co_u32 v5, vcc_lo, s12, v5
	v_add_co_ci_u32_e64 v6, null, s13, v6, vcc_lo
	global_store_short v[5:6], v7, off
.LBB172_50:
	s_or_b32 exec_lo, exec_lo, s4
	v_add3_u32 v5, v1, s7, 48
	v_cmp_gt_u32_e32 vcc_lo, s10, v5
	s_and_b32 exec_lo, exec_lo, vcc_lo
	s_cbranch_execz .LBB172_62
; %bb.51:
	v_mul_lo_u32 v5, v5, s14
	s_and_saveexec_b32 s4, s0
	s_cbranch_execnz .LBB172_78
; %bb.52:
	s_or_b32 exec_lo, exec_lo, s4
	s_and_saveexec_b32 s4, s1
	s_cbranch_execnz .LBB172_79
.LBB172_53:
	s_or_b32 exec_lo, exec_lo, s4
	s_and_saveexec_b32 s4, s2
	s_cbranch_execnz .LBB172_80
.LBB172_54:
	s_or_b32 exec_lo, exec_lo, s4
	s_and_saveexec_b32 s4, s3
	s_cbranch_execz .LBB172_56
.LBB172_55:
	v_add_nc_u32_e32 v5, v5, v4
	v_mov_b32_e32 v6, 0
	v_bfe_u32 v7, v38, 16, 1
	v_cmp_o_f32_e32 vcc_lo, v38, v38
	v_mov_b32_e32 v8, 0x7fc0
	v_lshlrev_b64 v[5:6], 1, v[5:6]
	v_add3_u32 v7, v38, v7, 0x7fff
	v_cndmask_b32_sdwa v7, v8, v7, vcc_lo dst_sel:DWORD dst_unused:UNUSED_PAD src0_sel:DWORD src1_sel:WORD_1
	s_waitcnt lgkmcnt(0)
	v_add_co_u32 v5, vcc_lo, s12, v5
	v_add_co_ci_u32_e64 v6, null, s13, v6, vcc_lo
	global_store_short v[5:6], v7, off
.LBB172_56:
	s_or_b32 exec_lo, exec_lo, s4
	v_add3_u32 v1, v1, s7, 56
	v_cmp_gt_u32_e32 vcc_lo, s10, v1
	s_and_b32 exec_lo, exec_lo, vcc_lo
	s_cbranch_execz .LBB172_62
; %bb.57:
	v_mul_lo_u32 v1, v1, s14
	s_and_saveexec_b32 s4, s0
	s_cbranch_execnz .LBB172_81
; %bb.58:
	s_or_b32 exec_lo, exec_lo, s4
	s_and_saveexec_b32 s0, s1
	s_cbranch_execnz .LBB172_82
.LBB172_59:
	s_or_b32 exec_lo, exec_lo, s0
	s_and_saveexec_b32 s0, s2
	s_cbranch_execnz .LBB172_83
.LBB172_60:
	s_or_b32 exec_lo, exec_lo, s0
	s_and_b32 exec_lo, exec_lo, s3
	s_cbranch_execz .LBB172_62
.LBB172_61:
	v_add_nc_u32_e32 v0, v1, v4
	v_mov_b32_e32 v1, 0
	v_bfe_u32 v2, v34, 16, 1
	v_cmp_o_f32_e32 vcc_lo, v34, v34
	v_mov_b32_e32 v3, 0x7fc0
	v_lshlrev_b64 v[0:1], 1, v[0:1]
	v_add3_u32 v2, v34, v2, 0x7fff
	v_cndmask_b32_sdwa v2, v3, v2, vcc_lo dst_sel:DWORD dst_unused:UNUSED_PAD src0_sel:DWORD src1_sel:WORD_1
	s_waitcnt lgkmcnt(0)
	v_add_co_u32 v0, vcc_lo, s12, v0
	v_add_co_ci_u32_e64 v1, null, s13, v1, vcc_lo
	global_store_short v[0:1], v2, off
.LBB172_62:
	s_endpgm
.LBB172_63:
	v_add_nc_u32_e32 v6, v5, v0
	v_mov_b32_e32 v7, 0
	v_bfe_u32 v8, v80, 16, 1
	v_cmp_o_f32_e32 vcc_lo, v80, v80
	v_mov_b32_e32 v9, 0x7fc0
	v_lshlrev_b64 v[6:7], 1, v[6:7]
	v_add3_u32 v8, v80, v8, 0x7fff
	v_cndmask_b32_sdwa v8, v9, v8, vcc_lo dst_sel:DWORD dst_unused:UNUSED_PAD src0_sel:DWORD src1_sel:WORD_1
	s_waitcnt lgkmcnt(0)
	v_add_co_u32 v6, vcc_lo, s12, v6
	v_add_co_ci_u32_e64 v7, null, s13, v7, vcc_lo
	global_store_short v[6:7], v8, off
	s_or_b32 exec_lo, exec_lo, s4
	s_and_saveexec_b32 s4, s1
	s_cbranch_execz .LBB172_23
.LBB172_64:
	v_add_nc_u32_e32 v6, v5, v2
	v_mov_b32_e32 v7, 0
	v_bfe_u32 v8, v77, 16, 1
	v_cmp_o_f32_e32 vcc_lo, v77, v77
	v_mov_b32_e32 v9, 0x7fc0
	v_lshlrev_b64 v[6:7], 1, v[6:7]
	v_add3_u32 v8, v77, v8, 0x7fff
	v_cndmask_b32_sdwa v8, v9, v8, vcc_lo dst_sel:DWORD dst_unused:UNUSED_PAD src0_sel:DWORD src1_sel:WORD_1
	s_waitcnt lgkmcnt(0)
	v_add_co_u32 v6, vcc_lo, s12, v6
	v_add_co_ci_u32_e64 v7, null, s13, v7, vcc_lo
	global_store_short v[6:7], v8, off
	s_or_b32 exec_lo, exec_lo, s4
	s_and_saveexec_b32 s4, s2
	s_cbranch_execz .LBB172_24
.LBB172_65:
	v_add_nc_u32_e32 v6, v5, v3
	v_mov_b32_e32 v7, 0
	v_bfe_u32 v8, v70, 16, 1
	v_cmp_o_f32_e32 vcc_lo, v70, v70
	v_mov_b32_e32 v9, 0x7fc0
	v_lshlrev_b64 v[6:7], 1, v[6:7]
	v_add3_u32 v8, v70, v8, 0x7fff
	v_cndmask_b32_sdwa v8, v9, v8, vcc_lo dst_sel:DWORD dst_unused:UNUSED_PAD src0_sel:DWORD src1_sel:WORD_1
	s_waitcnt lgkmcnt(0)
	v_add_co_u32 v6, vcc_lo, s12, v6
	v_add_co_ci_u32_e64 v7, null, s13, v7, vcc_lo
	global_store_short v[6:7], v8, off
	s_or_b32 exec_lo, exec_lo, s4
	s_and_saveexec_b32 s4, s3
	s_cbranch_execnz .LBB172_25
	s_branch .LBB172_26
.LBB172_66:
	v_add_nc_u32_e32 v6, v5, v0
	v_mov_b32_e32 v7, 0
	v_bfe_u32 v8, v63, 16, 1
	v_cmp_o_f32_e32 vcc_lo, v63, v63
	v_mov_b32_e32 v9, 0x7fc0
	v_lshlrev_b64 v[6:7], 1, v[6:7]
	v_add3_u32 v8, v63, v8, 0x7fff
	v_cndmask_b32_sdwa v8, v9, v8, vcc_lo dst_sel:DWORD dst_unused:UNUSED_PAD src0_sel:DWORD src1_sel:WORD_1
	s_waitcnt lgkmcnt(0)
	v_add_co_u32 v6, vcc_lo, s12, v6
	v_add_co_ci_u32_e64 v7, null, s13, v7, vcc_lo
	global_store_short v[6:7], v8, off
	s_or_b32 exec_lo, exec_lo, s4
	s_and_saveexec_b32 s4, s1
	s_cbranch_execz .LBB172_29
.LBB172_67:
	v_add_nc_u32_e32 v6, v5, v2
	v_mov_b32_e32 v7, 0
	v_bfe_u32 v8, v58, 16, 1
	v_cmp_o_f32_e32 vcc_lo, v58, v58
	v_mov_b32_e32 v9, 0x7fc0
	v_lshlrev_b64 v[6:7], 1, v[6:7]
	v_add3_u32 v8, v58, v8, 0x7fff
	v_cndmask_b32_sdwa v8, v9, v8, vcc_lo dst_sel:DWORD dst_unused:UNUSED_PAD src0_sel:DWORD src1_sel:WORD_1
	s_waitcnt lgkmcnt(0)
	v_add_co_u32 v6, vcc_lo, s12, v6
	v_add_co_ci_u32_e64 v7, null, s13, v7, vcc_lo
	global_store_short v[6:7], v8, off
	s_or_b32 exec_lo, exec_lo, s4
	s_and_saveexec_b32 s4, s2
	s_cbranch_execz .LBB172_30
.LBB172_68:
	v_add_nc_u32_e32 v6, v5, v3
	v_mov_b32_e32 v7, 0
	v_bfe_u32 v8, v56, 16, 1
	v_cmp_o_f32_e32 vcc_lo, v56, v56
	v_mov_b32_e32 v9, 0x7fc0
	v_lshlrev_b64 v[6:7], 1, v[6:7]
	v_add3_u32 v8, v56, v8, 0x7fff
	v_cndmask_b32_sdwa v8, v9, v8, vcc_lo dst_sel:DWORD dst_unused:UNUSED_PAD src0_sel:DWORD src1_sel:WORD_1
	s_waitcnt lgkmcnt(0)
	v_add_co_u32 v6, vcc_lo, s12, v6
	v_add_co_ci_u32_e64 v7, null, s13, v7, vcc_lo
	global_store_short v[6:7], v8, off
	s_or_b32 exec_lo, exec_lo, s4
	s_and_saveexec_b32 s4, s3
	s_cbranch_execnz .LBB172_31
	s_branch .LBB172_32
.LBB172_69:
	v_add_nc_u32_e32 v6, v5, v0
	v_mov_b32_e32 v7, 0
	v_bfe_u32 v8, v54, 16, 1
	v_cmp_o_f32_e32 vcc_lo, v54, v54
	v_mov_b32_e32 v9, 0x7fc0
	v_lshlrev_b64 v[6:7], 1, v[6:7]
	v_add3_u32 v8, v54, v8, 0x7fff
	v_cndmask_b32_sdwa v8, v9, v8, vcc_lo dst_sel:DWORD dst_unused:UNUSED_PAD src0_sel:DWORD src1_sel:WORD_1
	s_waitcnt lgkmcnt(0)
	v_add_co_u32 v6, vcc_lo, s12, v6
	v_add_co_ci_u32_e64 v7, null, s13, v7, vcc_lo
	global_store_short v[6:7], v8, off
	s_or_b32 exec_lo, exec_lo, s4
	s_and_saveexec_b32 s4, s1
	s_cbranch_execz .LBB172_35
.LBB172_70:
	v_add_nc_u32_e32 v6, v5, v2
	v_mov_b32_e32 v7, 0
	v_bfe_u32 v8, v53, 16, 1
	v_cmp_o_f32_e32 vcc_lo, v53, v53
	v_mov_b32_e32 v9, 0x7fc0
	v_lshlrev_b64 v[6:7], 1, v[6:7]
	v_add3_u32 v8, v53, v8, 0x7fff
	v_cndmask_b32_sdwa v8, v9, v8, vcc_lo dst_sel:DWORD dst_unused:UNUSED_PAD src0_sel:DWORD src1_sel:WORD_1
	s_waitcnt lgkmcnt(0)
	v_add_co_u32 v6, vcc_lo, s12, v6
	v_add_co_ci_u32_e64 v7, null, s13, v7, vcc_lo
	global_store_short v[6:7], v8, off
	s_or_b32 exec_lo, exec_lo, s4
	s_and_saveexec_b32 s4, s2
	s_cbranch_execz .LBB172_36
.LBB172_71:
	v_add_nc_u32_e32 v6, v5, v3
	v_mov_b32_e32 v7, 0
	v_bfe_u32 v8, v51, 16, 1
	v_cmp_o_f32_e32 vcc_lo, v51, v51
	v_mov_b32_e32 v9, 0x7fc0
	v_lshlrev_b64 v[6:7], 1, v[6:7]
	v_add3_u32 v8, v51, v8, 0x7fff
	v_cndmask_b32_sdwa v8, v9, v8, vcc_lo dst_sel:DWORD dst_unused:UNUSED_PAD src0_sel:DWORD src1_sel:WORD_1
	s_waitcnt lgkmcnt(0)
	v_add_co_u32 v6, vcc_lo, s12, v6
	v_add_co_ci_u32_e64 v7, null, s13, v7, vcc_lo
	global_store_short v[6:7], v8, off
	s_or_b32 exec_lo, exec_lo, s4
	s_and_saveexec_b32 s4, s3
	s_cbranch_execnz .LBB172_37
	s_branch .LBB172_38
.LBB172_72:
	v_add_nc_u32_e32 v6, v5, v0
	v_mov_b32_e32 v7, 0
	v_bfe_u32 v8, v49, 16, 1
	v_cmp_o_f32_e32 vcc_lo, v49, v49
	v_mov_b32_e32 v9, 0x7fc0
	v_lshlrev_b64 v[6:7], 1, v[6:7]
	v_add3_u32 v8, v49, v8, 0x7fff
	v_cndmask_b32_sdwa v8, v9, v8, vcc_lo dst_sel:DWORD dst_unused:UNUSED_PAD src0_sel:DWORD src1_sel:WORD_1
	s_waitcnt lgkmcnt(0)
	v_add_co_u32 v6, vcc_lo, s12, v6
	v_add_co_ci_u32_e64 v7, null, s13, v7, vcc_lo
	global_store_short v[6:7], v8, off
	s_or_b32 exec_lo, exec_lo, s4
	s_and_saveexec_b32 s4, s1
	s_cbranch_execz .LBB172_41
.LBB172_73:
	v_add_nc_u32_e32 v6, v5, v2
	v_mov_b32_e32 v7, 0
	v_bfe_u32 v8, v48, 16, 1
	v_cmp_o_f32_e32 vcc_lo, v48, v48
	v_mov_b32_e32 v9, 0x7fc0
	v_lshlrev_b64 v[6:7], 1, v[6:7]
	v_add3_u32 v8, v48, v8, 0x7fff
	v_cndmask_b32_sdwa v8, v9, v8, vcc_lo dst_sel:DWORD dst_unused:UNUSED_PAD src0_sel:DWORD src1_sel:WORD_1
	s_waitcnt lgkmcnt(0)
	v_add_co_u32 v6, vcc_lo, s12, v6
	v_add_co_ci_u32_e64 v7, null, s13, v7, vcc_lo
	global_store_short v[6:7], v8, off
	s_or_b32 exec_lo, exec_lo, s4
	s_and_saveexec_b32 s4, s2
	s_cbranch_execz .LBB172_42
.LBB172_74:
	v_add_nc_u32_e32 v6, v5, v3
	v_mov_b32_e32 v7, 0
	v_bfe_u32 v8, v47, 16, 1
	v_cmp_o_f32_e32 vcc_lo, v47, v47
	v_mov_b32_e32 v9, 0x7fc0
	v_lshlrev_b64 v[6:7], 1, v[6:7]
	v_add3_u32 v8, v47, v8, 0x7fff
	v_cndmask_b32_sdwa v8, v9, v8, vcc_lo dst_sel:DWORD dst_unused:UNUSED_PAD src0_sel:DWORD src1_sel:WORD_1
	s_waitcnt lgkmcnt(0)
	v_add_co_u32 v6, vcc_lo, s12, v6
	v_add_co_ci_u32_e64 v7, null, s13, v7, vcc_lo
	global_store_short v[6:7], v8, off
	s_or_b32 exec_lo, exec_lo, s4
	s_and_saveexec_b32 s4, s3
	s_cbranch_execnz .LBB172_43
	s_branch .LBB172_44
.LBB172_75:
	v_add_nc_u32_e32 v6, v5, v0
	v_mov_b32_e32 v7, 0
	v_bfe_u32 v8, v45, 16, 1
	v_cmp_o_f32_e32 vcc_lo, v45, v45
	v_mov_b32_e32 v9, 0x7fc0
	v_lshlrev_b64 v[6:7], 1, v[6:7]
	v_add3_u32 v8, v45, v8, 0x7fff
	v_cndmask_b32_sdwa v8, v9, v8, vcc_lo dst_sel:DWORD dst_unused:UNUSED_PAD src0_sel:DWORD src1_sel:WORD_1
	s_waitcnt lgkmcnt(0)
	v_add_co_u32 v6, vcc_lo, s12, v6
	v_add_co_ci_u32_e64 v7, null, s13, v7, vcc_lo
	global_store_short v[6:7], v8, off
	s_or_b32 exec_lo, exec_lo, s4
	s_and_saveexec_b32 s4, s1
	s_cbranch_execz .LBB172_47
.LBB172_76:
	v_add_nc_u32_e32 v6, v5, v2
	v_mov_b32_e32 v7, 0
	v_bfe_u32 v8, v44, 16, 1
	v_cmp_o_f32_e32 vcc_lo, v44, v44
	v_mov_b32_e32 v9, 0x7fc0
	v_lshlrev_b64 v[6:7], 1, v[6:7]
	v_add3_u32 v8, v44, v8, 0x7fff
	v_cndmask_b32_sdwa v8, v9, v8, vcc_lo dst_sel:DWORD dst_unused:UNUSED_PAD src0_sel:DWORD src1_sel:WORD_1
	s_waitcnt lgkmcnt(0)
	v_add_co_u32 v6, vcc_lo, s12, v6
	v_add_co_ci_u32_e64 v7, null, s13, v7, vcc_lo
	global_store_short v[6:7], v8, off
	s_or_b32 exec_lo, exec_lo, s4
	s_and_saveexec_b32 s4, s2
	s_cbranch_execz .LBB172_48
.LBB172_77:
	v_add_nc_u32_e32 v6, v5, v3
	v_mov_b32_e32 v7, 0
	v_bfe_u32 v8, v43, 16, 1
	v_cmp_o_f32_e32 vcc_lo, v43, v43
	v_mov_b32_e32 v9, 0x7fc0
	v_lshlrev_b64 v[6:7], 1, v[6:7]
	v_add3_u32 v8, v43, v8, 0x7fff
	v_cndmask_b32_sdwa v8, v9, v8, vcc_lo dst_sel:DWORD dst_unused:UNUSED_PAD src0_sel:DWORD src1_sel:WORD_1
	s_waitcnt lgkmcnt(0)
	v_add_co_u32 v6, vcc_lo, s12, v6
	v_add_co_ci_u32_e64 v7, null, s13, v7, vcc_lo
	global_store_short v[6:7], v8, off
	s_or_b32 exec_lo, exec_lo, s4
	s_and_saveexec_b32 s4, s3
	s_cbranch_execnz .LBB172_49
	s_branch .LBB172_50
.LBB172_78:
	v_add_nc_u32_e32 v6, v5, v0
	v_mov_b32_e32 v7, 0
	v_bfe_u32 v8, v41, 16, 1
	v_cmp_o_f32_e32 vcc_lo, v41, v41
	v_mov_b32_e32 v9, 0x7fc0
	v_lshlrev_b64 v[6:7], 1, v[6:7]
	v_add3_u32 v8, v41, v8, 0x7fff
	v_cndmask_b32_sdwa v8, v9, v8, vcc_lo dst_sel:DWORD dst_unused:UNUSED_PAD src0_sel:DWORD src1_sel:WORD_1
	s_waitcnt lgkmcnt(0)
	v_add_co_u32 v6, vcc_lo, s12, v6
	v_add_co_ci_u32_e64 v7, null, s13, v7, vcc_lo
	global_store_short v[6:7], v8, off
	s_or_b32 exec_lo, exec_lo, s4
	s_and_saveexec_b32 s4, s1
	s_cbranch_execz .LBB172_53
.LBB172_79:
	v_add_nc_u32_e32 v6, v5, v2
	v_mov_b32_e32 v7, 0
	v_bfe_u32 v8, v40, 16, 1
	v_cmp_o_f32_e32 vcc_lo, v40, v40
	v_mov_b32_e32 v9, 0x7fc0
	v_lshlrev_b64 v[6:7], 1, v[6:7]
	v_add3_u32 v8, v40, v8, 0x7fff
	v_cndmask_b32_sdwa v8, v9, v8, vcc_lo dst_sel:DWORD dst_unused:UNUSED_PAD src0_sel:DWORD src1_sel:WORD_1
	s_waitcnt lgkmcnt(0)
	v_add_co_u32 v6, vcc_lo, s12, v6
	v_add_co_ci_u32_e64 v7, null, s13, v7, vcc_lo
	global_store_short v[6:7], v8, off
	s_or_b32 exec_lo, exec_lo, s4
	s_and_saveexec_b32 s4, s2
	s_cbranch_execz .LBB172_54
.LBB172_80:
	v_add_nc_u32_e32 v6, v5, v3
	v_mov_b32_e32 v7, 0
	v_bfe_u32 v8, v39, 16, 1
	v_cmp_o_f32_e32 vcc_lo, v39, v39
	v_mov_b32_e32 v9, 0x7fc0
	v_lshlrev_b64 v[6:7], 1, v[6:7]
	v_add3_u32 v8, v39, v8, 0x7fff
	v_cndmask_b32_sdwa v8, v9, v8, vcc_lo dst_sel:DWORD dst_unused:UNUSED_PAD src0_sel:DWORD src1_sel:WORD_1
	s_waitcnt lgkmcnt(0)
	v_add_co_u32 v6, vcc_lo, s12, v6
	v_add_co_ci_u32_e64 v7, null, s13, v7, vcc_lo
	global_store_short v[6:7], v8, off
	s_or_b32 exec_lo, exec_lo, s4
	s_and_saveexec_b32 s4, s3
	s_cbranch_execnz .LBB172_55
	s_branch .LBB172_56
.LBB172_81:
	v_add_nc_u32_e32 v5, v1, v0
	v_mov_b32_e32 v6, 0
	v_bfe_u32 v7, v37, 16, 1
	v_cmp_o_f32_e32 vcc_lo, v37, v37
	v_mov_b32_e32 v0, 0x7fc0
	v_lshlrev_b64 v[5:6], 1, v[5:6]
	v_add3_u32 v7, v37, v7, 0x7fff
	v_cndmask_b32_sdwa v0, v0, v7, vcc_lo dst_sel:DWORD dst_unused:UNUSED_PAD src0_sel:DWORD src1_sel:WORD_1
	s_waitcnt lgkmcnt(0)
	v_add_co_u32 v5, vcc_lo, s12, v5
	v_add_co_ci_u32_e64 v6, null, s13, v6, vcc_lo
	global_store_short v[5:6], v0, off
	s_or_b32 exec_lo, exec_lo, s4
	s_and_saveexec_b32 s0, s1
	s_cbranch_execz .LBB172_59
.LBB172_82:
	v_add_nc_u32_e32 v5, v1, v2
	v_mov_b32_e32 v6, 0
	v_bfe_u32 v0, v36, 16, 1
	v_cmp_o_f32_e32 vcc_lo, v36, v36
	v_mov_b32_e32 v2, 0x7fc0
	v_lshlrev_b64 v[5:6], 1, v[5:6]
	v_add3_u32 v0, v36, v0, 0x7fff
	v_cndmask_b32_sdwa v0, v2, v0, vcc_lo dst_sel:DWORD dst_unused:UNUSED_PAD src0_sel:DWORD src1_sel:WORD_1
	s_waitcnt lgkmcnt(0)
	v_add_co_u32 v5, vcc_lo, s12, v5
	v_add_co_ci_u32_e64 v6, null, s13, v6, vcc_lo
	global_store_short v[5:6], v0, off
	s_or_b32 exec_lo, exec_lo, s0
	s_and_saveexec_b32 s0, s2
	s_cbranch_execz .LBB172_60
.LBB172_83:
	v_add_nc_u32_e32 v2, v1, v3
	v_mov_b32_e32 v3, 0
	v_bfe_u32 v0, v35, 16, 1
	v_cmp_o_f32_e32 vcc_lo, v35, v35
	v_mov_b32_e32 v5, 0x7fc0
	v_lshlrev_b64 v[2:3], 1, v[2:3]
	v_add3_u32 v0, v35, v0, 0x7fff
	v_cndmask_b32_sdwa v0, v5, v0, vcc_lo dst_sel:DWORD dst_unused:UNUSED_PAD src0_sel:DWORD src1_sel:WORD_1
	s_waitcnt lgkmcnt(0)
	v_add_co_u32 v2, vcc_lo, s12, v2
	v_add_co_ci_u32_e64 v3, null, s13, v3, vcc_lo
	global_store_short v[2:3], v0, off
	s_or_b32 exec_lo, exec_lo, s0
	s_and_b32 exec_lo, exec_lo, s3
	s_cbranch_execnz .LBB172_61
	s_branch .LBB172_62
	.section	.rodata,"a",@progbits
	.p2align	6, 0x0
	.amdhsa_kernel _ZL12mul_mat_q4_KIN3c108BFloat16ELb1EEvPKvS3_PT_iiiii
		.amdhsa_group_segment_fixed_size 28752
		.amdhsa_private_segment_fixed_size 0
		.amdhsa_kernarg_size 44
		.amdhsa_user_sgpr_count 6
		.amdhsa_user_sgpr_private_segment_buffer 1
		.amdhsa_user_sgpr_dispatch_ptr 0
		.amdhsa_user_sgpr_queue_ptr 0
		.amdhsa_user_sgpr_kernarg_segment_ptr 1
		.amdhsa_user_sgpr_dispatch_id 0
		.amdhsa_user_sgpr_flat_scratch_init 0
		.amdhsa_user_sgpr_private_segment_size 0
		.amdhsa_wavefront_size32 1
		.amdhsa_uses_dynamic_stack 0
		.amdhsa_system_sgpr_private_segment_wavefront_offset 0
		.amdhsa_system_sgpr_workgroup_id_x 1
		.amdhsa_system_sgpr_workgroup_id_y 1
		.amdhsa_system_sgpr_workgroup_id_z 0
		.amdhsa_system_sgpr_workgroup_info 0
		.amdhsa_system_vgpr_workitem_id 1
		.amdhsa_next_free_vgpr 255
		.amdhsa_next_free_sgpr 17
		.amdhsa_reserve_vcc 1
		.amdhsa_reserve_flat_scratch 0
		.amdhsa_float_round_mode_32 0
		.amdhsa_float_round_mode_16_64 0
		.amdhsa_float_denorm_mode_32 3
		.amdhsa_float_denorm_mode_16_64 3
		.amdhsa_dx10_clamp 1
		.amdhsa_ieee_mode 1
		.amdhsa_fp16_overflow 0
		.amdhsa_workgroup_processor_mode 1
		.amdhsa_memory_ordered 1
		.amdhsa_forward_progress 1
		.amdhsa_shared_vgpr_count 0
		.amdhsa_exception_fp_ieee_invalid_op 0
		.amdhsa_exception_fp_denorm_src 0
		.amdhsa_exception_fp_ieee_div_zero 0
		.amdhsa_exception_fp_ieee_overflow 0
		.amdhsa_exception_fp_ieee_underflow 0
		.amdhsa_exception_fp_ieee_inexact 0
		.amdhsa_exception_int_div_zero 0
	.end_amdhsa_kernel
	.section	.text._ZL12mul_mat_q4_KIN3c108BFloat16ELb1EEvPKvS3_PT_iiiii,"axG",@progbits,_ZL12mul_mat_q4_KIN3c108BFloat16ELb1EEvPKvS3_PT_iiiii,comdat
.Lfunc_end172:
	.size	_ZL12mul_mat_q4_KIN3c108BFloat16ELb1EEvPKvS3_PT_iiiii, .Lfunc_end172-_ZL12mul_mat_q4_KIN3c108BFloat16ELb1EEvPKvS3_PT_iiiii
                                        ; -- End function
	.set _ZL12mul_mat_q4_KIN3c108BFloat16ELb1EEvPKvS3_PT_iiiii.num_vgpr, 255
	.set _ZL12mul_mat_q4_KIN3c108BFloat16ELb1EEvPKvS3_PT_iiiii.num_agpr, 0
	.set _ZL12mul_mat_q4_KIN3c108BFloat16ELb1EEvPKvS3_PT_iiiii.numbered_sgpr, 17
	.set _ZL12mul_mat_q4_KIN3c108BFloat16ELb1EEvPKvS3_PT_iiiii.num_named_barrier, 0
	.set _ZL12mul_mat_q4_KIN3c108BFloat16ELb1EEvPKvS3_PT_iiiii.private_seg_size, 0
	.set _ZL12mul_mat_q4_KIN3c108BFloat16ELb1EEvPKvS3_PT_iiiii.uses_vcc, 1
	.set _ZL12mul_mat_q4_KIN3c108BFloat16ELb1EEvPKvS3_PT_iiiii.uses_flat_scratch, 0
	.set _ZL12mul_mat_q4_KIN3c108BFloat16ELb1EEvPKvS3_PT_iiiii.has_dyn_sized_stack, 0
	.set _ZL12mul_mat_q4_KIN3c108BFloat16ELb1EEvPKvS3_PT_iiiii.has_recursion, 0
	.set _ZL12mul_mat_q4_KIN3c108BFloat16ELb1EEvPKvS3_PT_iiiii.has_indirect_call, 0
	.section	.AMDGPU.csdata,"",@progbits
; Kernel info:
; codeLenInByte = 19876
; TotalNumSgprs: 19
; NumVgprs: 255
; ScratchSize: 0
; MemoryBound: 0
; FloatMode: 240
; IeeeMode: 1
; LDSByteSize: 28752 bytes/workgroup (compile time only)
; SGPRBlocks: 0
; VGPRBlocks: 31
; NumSGPRsForWavesPerEU: 19
; NumVGPRsForWavesPerEU: 255
; Occupancy: 4
; WaveLimiterHint : 0
; COMPUTE_PGM_RSRC2:SCRATCH_EN: 0
; COMPUTE_PGM_RSRC2:USER_SGPR: 6
; COMPUTE_PGM_RSRC2:TRAP_HANDLER: 0
; COMPUTE_PGM_RSRC2:TGID_X_EN: 1
; COMPUTE_PGM_RSRC2:TGID_Y_EN: 1
; COMPUTE_PGM_RSRC2:TGID_Z_EN: 0
; COMPUTE_PGM_RSRC2:TIDIG_COMP_CNT: 1
	.section	.text._ZL12mul_mat_q5_KIN3c108BFloat16ELb0EEvPKvS3_PT_iiiii,"axG",@progbits,_ZL12mul_mat_q5_KIN3c108BFloat16ELb0EEvPKvS3_PT_iiiii,comdat
	.globl	_ZL12mul_mat_q5_KIN3c108BFloat16ELb0EEvPKvS3_PT_iiiii ; -- Begin function _ZL12mul_mat_q5_KIN3c108BFloat16ELb0EEvPKvS3_PT_iiiii
	.p2align	8
	.type	_ZL12mul_mat_q5_KIN3c108BFloat16ELb0EEvPKvS3_PT_iiiii,@function
_ZL12mul_mat_q5_KIN3c108BFloat16ELb0EEvPKvS3_PT_iiiii: ; @_ZL12mul_mat_q5_KIN3c108BFloat16ELb0EEvPKvS3_PT_iiiii
; %bb.0:
	s_clause 0x1
	s_load_dword s14, s[4:5], 0x18
	s_load_dwordx4 s[8:11], s[4:5], 0x20
	s_lshl_b32 s7, s7, 6
	v_add_nc_u32_e32 v41, s7, v1
	s_waitcnt lgkmcnt(0)
	s_cmpk_gt_i32 s14, 0xff
	s_cbranch_scc1 .LBB173_2
; %bb.1:
	v_add_nc_u32_e32 v2, s7, v1
	s_mov_b32 s0, 0
	s_branch .LBB173_3
.LBB173_2:
	s_mov_b32 s0, -1
                                        ; implicit-def: $vgpr2
.LBB173_3:
	s_load_dwordx2 s[12:13], s[4:5], 0x10
	v_mov_b32_e32 v21, 0
	v_mov_b32_e32 v25, 0
	;; [unrolled: 1-line block ×32, first 2 shown]
	s_andn2_b32 vcc_lo, exec_lo, s0
	s_lshl_b32 s6, s6, 7
	s_cbranch_vccnz .LBB173_11
; %bb.4:
	s_load_dwordx4 s[0:3], s[4:5], 0x0
	s_ashr_i32 s4, s14, 31
	s_ashr_i32 s5, s9, 31
	s_lshr_b32 s4, s4, 24
	s_lshr_b32 s5, s5, 27
	s_add_i32 s14, s14, s4
	s_add_i32 s5, s9, s5
	s_ashr_i32 s4, s14, 8
	v_lshrrev_b32_e32 v5, 2, v0
	s_mul_i32 s9, s4, s6
	v_and_b32_e32 v6, 7, v0
	s_ashr_i32 s11, s5, 5
	s_mul_i32 s5, s9, 0xb0
	v_lshlrev_b32_e32 v7, 3, v1
	v_add_nc_u32_e32 v8, 8, v41
	s_mul_hi_i32 s9, s9, 0xb0
	v_add_nc_u32_e32 v9, 16, v41
	v_add_nc_u32_e32 v11, 32, v41
	v_and_b32_e32 v61, 6, v5
	v_lshlrev_b32_e32 v30, 2, v6
	s_waitcnt lgkmcnt(0)
	s_add_u32 s5, s0, s5
	s_addc_u32 s9, s1, s9
	s_add_i32 s14, s8, -1
	v_add_nc_u32_e32 v32, v5, v7
	v_add_nc_u16 v35, v5, v7
	v_cvt_f64_u32_e32 v[5:6], v8
	v_cvt_f64_i32_e32 v[17:18], s14
	v_cvt_f64_u32_e32 v[3:4], v41
	v_add_nc_u32_e32 v10, 24, v41
	v_add_nc_u32_e32 v13, 40, v41
	;; [unrolled: 1-line block ×4, first 2 shown]
	v_cvt_f64_u32_e32 v[7:8], v9
	v_cvt_f64_u32_e32 v[11:12], v11
	v_cvt_f64_u32_e32 v[9:10], v10
	v_cvt_f64_u32_e32 v[13:14], v13
	v_cvt_f64_u32_e32 v[15:16], v15
	v_cvt_f64_u32_e32 v[19:20], v19
	s_lshl_b32 s1, s4, 3
	v_lshlrev_b32_e32 v47, 2, v0
	v_mad_i32_i24 v49, s4, v1, s1
	v_lshlrev_b32_e32 v52, 5, v1
	v_and_b32_e32 v2, 3, v0
	v_lshlrev_b32_e32 v22, 3, v0
	v_and_b32_e32 v34, 4, v47
	v_add_nc_u32_e32 v50, s1, v49
	v_add_nc_u32_e32 v31, v52, v0
	v_cmp_lt_u32_e32 vcc_lo, 1, v2
	v_min_f64 v[5:6], v[5:6], v[17:18]
	v_min_f64 v[3:4], v[3:4], v[17:18]
	v_add_nc_u32_e32 v54, s1, v50
	v_mul_u32_u24_e32 v21, 0x41, v1
	v_and_or_b32 v22, 0xc0, v22, v30
	v_and_b32_e32 v30, 0x7f, v31
	v_min_f64 v[7:8], v[7:8], v[17:18]
	v_min_f64 v[11:12], v[11:12], v[17:18]
	;; [unrolled: 1-line block ×6, first 2 shown]
	v_lshrrev_b32_e32 v31, 3, v31
	v_cndmask_b32_e32 v71, 0, v34, vcc_lo
	v_and_b32_e32 v34, 0x7f, v32
	v_add_nc_u32_e32 v56, s1, v54
	v_lshl_add_u32 v73, v21, 2, v22
	v_and_b32_e32 v21, 12, v31
	v_lshlrev_b32_e32 v22, 2, v30
	v_xor_b32_e32 v36, 64, v34
	v_add_nc_u32_e32 v58, s1, v56
	v_add_nc_u32_e32 v33, 0xfe, v2
	v_cvt_i32_f64_e32 v5, v[5:6]
	v_add3_u32 v77, v22, v21, 0xae40
	v_lshlrev_b32_e32 v22, 2, v2
	v_lshrrev_b32_e32 v19, 1, v36
	v_and_b32_e32 v6, 63, v32
	v_add_nc_u32_e32 v62, s1, v58
	v_cvt_i32_f64_e32 v4, v[3:4]
	v_lshl_or_b32 v3, v36, 4, v22
	v_cvt_i32_f64_e32 v7, v[7:8]
	v_and_b32_e32 v8, 60, v19
	v_cvt_i32_f64_e32 v11, v[11:12]
	v_or_b32_e32 v12, s7, v6
	v_add_nc_u32_e32 v63, s1, v62
	v_cvt_i32_f64_e32 v9, v[9:10]
	v_add3_u32 v85, v3, v8, 0xa200
	v_cvt_i32_f64_e32 v13, v[13:14]
	v_min_i32_e32 v3, s14, v12
	v_cvt_i32_f64_e32 v12, v[17:18]
	v_add_nc_u32_e32 v65, s1, v63
	v_cvt_i32_f64_e32 v8, v[15:16]
	v_and_b32_e32 v33, 0xff, v33
	v_cmp_gt_u32_e64 s0, 2, v2
	v_mul_i32_i24_e32 v74, s4, v30
	v_add_nc_u32_e32 v66, s1, v65
	v_lshrrev_b32_e32 v46, 5, v0
	v_add_nc_u32_e32 v23, 8, v1
	v_cndmask_b32_e64 v30, v33, v2, s0
	v_cmp_ne_u32_e64 s0, 0, v2
	v_add_nc_u32_e32 v68, s1, v66
	v_mad_u64_u32 v[2:3], null, v3, s11, v[2:3]
	v_add_nc_u32_e32 v3, 32, v0
	v_mul_lo_u32 v88, s11, v4
	v_add_nc_u32_e32 v70, s1, v68
	v_add_nc_u32_e32 v4, 64, v0
	;; [unrolled: 1-line block ×3, first 2 shown]
	v_lshrrev_b32_e32 v96, 3, v3
	v_add_nc_u32_e32 v25, 24, v1
	v_add_nc_u32_e32 v72, s1, v70
	v_mul_lo_u32 v95, s11, v12
	v_add_nc_u32_e32 v12, 0x60, v0
	v_add_nc_u32_e32 v26, 32, v1
	;; [unrolled: 1-line block ×5, first 2 shown]
	v_lshrrev_b32_e32 v98, 3, v12
	v_add_nc_u32_e32 v29, 56, v1
	v_lshrrev_b16 v31, 1, v35
	v_and_b32_e32 v10, 31, v0
	v_lshl_or_b32 v6, v6, 4, v22
	v_lshlrev_b32_e32 v14, 2, v46
	v_lshrrev_b32_e32 v97, 3, v4
	v_and_b32_e32 v16, 60, v96
	v_and_b32_e32 v60, 28, v47
	v_add_nc_u32_e32 v78, s1, v75
	v_lshlrev_b32_e32 v17, 2, v3
	v_and_b32_e32 v3, 60, v98
	v_add_co_ci_u32_e64 v21, null, 0, v30, s0
	s_movk_i32 s0, 0x2080
	v_cndmask_b32_e64 v33, 0, 1, vcc_lo
	v_lshl_or_b32 v35, v34, 4, v22
	v_and_b32_e32 v31, 60, v31
	v_lshl_or_b32 v10, v10, 2, 0x8200
	v_add_nc_u32_e32 v86, 0xaa40, v6
	v_lshlrev_b32_e32 v6, 7, v1
	v_mul_lo_u32 v89, s11, v5
	v_lshlrev_b32_e32 v5, 7, v23
	v_mul_lo_u32 v90, s11, v7
	;; [unrolled: 2-line block ×6, first 2 shown]
	v_lshlrev_b32_e32 v8, 7, v28
	v_lshlrev_b32_e32 v15, 7, v29
	v_add3_u32 v99, v47, v14, 0xae40
	v_and_b32_e32 v14, 60, v97
	v_add3_u32 v100, v47, v16, 0xae40
	v_lshlrev_b32_e32 v16, 2, v4
	v_lshlrev_b32_e32 v12, 2, v12
	v_mad_u32_u24 v111, 0x104, v0, s0
	s_movk_i32 s0, 0x4100
	v_add_nc_u32_e32 v79, s1, v78
	v_add3_u32 v102, v47, v3, 0xae40
	s_movk_i32 s1, 0x6180
	v_mad_u32_u24 v112, 0x104, v0, s0
	v_add_co_u32 v3, s0, s2, v60
	v_and_b32_e32 v59, 0x7c, v47
	v_mul_i32_i24_e32 v67, s4, v1
	v_or_b32_e32 v69, 1, v61
	v_lshlrev_b32_e32 v80, 1, v30
	v_mul_i32_i24_e32 v81, s4, v34
	v_add3_u32 v82, v35, v31, 0xa200
	v_mul_i32_i24_e32 v83, s4, v36
	v_lshrrev_b32_e32 v87, 3, v0
	v_add3_u32 v101, v47, v14, 0xae40
	v_lshlrev_b32_e32 v103, 5, v23
	v_lshlrev_b32_e32 v104, 5, v24
	;; [unrolled: 1-line block ×7, first 2 shown]
	v_mul_u32_u24_e32 v110, 0x104, v0
	v_mad_u32_u24 v113, 0x104, v0, s1
	v_add_co_ci_u32_e64 v4, null, s3, 0, s0
	v_lshlrev_b32_e32 v114, 2, v21
	v_lshlrev_b32_e32 v115, 2, v33
	v_add_nc_u32_e32 v116, v10, v6
	v_add_nc_u32_e32 v117, v10, v5
	;; [unrolled: 1-line block ×23, first 2 shown]
	v_mov_b32_e32 v139, 0xffff
	v_lshlrev_b32_e32 v140, 2, v17
	v_lshlrev_b32_e32 v141, 2, v16
	;; [unrolled: 1-line block ×3, first 2 shown]
	v_mov_b32_e32 v84, 0
	v_mov_b32_e32 v55, 0
	;; [unrolled: 1-line block ×32, first 2 shown]
	s_mov_b32 s11, 0
.LBB173_5:                              ; =>This Loop Header: Depth=1
                                        ;     Child Loop BB173_6 Depth 2
                                        ;     Child Loop BB173_8 Depth 2
	s_mul_i32 s0, s11, 0xb0
	s_mul_hi_u32 s1, s11, 0xb0
	s_add_u32 s0, s5, s0
	s_addc_u32 s1, s9, s1
	s_mov_b32 s14, -1
	v_mad_u64_u32 v[5:6], null, 0xb0, v46, s[0:1]
	v_mad_u64_u32 v[7:8], null, 0xb0, v67, v[5:6]
	;; [unrolled: 1-line block ×5, first 2 shown]
	v_add_co_u32 v11, vcc_lo, v7, v59
	v_add_co_ci_u32_e64 v12, null, 0, v8, vcc_lo
	v_add_co_u32 v7, vcc_lo, v7, v60
	v_add_co_ci_u32_e64 v8, null, 0, v8, vcc_lo
	;; [unrolled: 2-line block ×6, first 2 shown]
	v_add_co_u32 v143, vcc_lo, v17, v59
	v_mad_u64_u32 v[145:146], null, 0xb0, v56, v[5:6]
	v_add_co_ci_u32_e64 v144, null, 0, v18, vcc_lo
	v_add_co_u32 v17, vcc_lo, v17, v60
	v_add_co_ci_u32_e64 v18, null, 0, v18, vcc_lo
	s_clause 0x7
	global_load_dword v151, v[11:12], off offset:48
	global_load_dword v152, v[7:8], off offset:16
	;; [unrolled: 1-line block ×8, first 2 shown]
	v_mad_u64_u32 v[9:10], null, 0xb0, v58, v[5:6]
	v_add_co_u32 v7, vcc_lo, v145, v59
	v_mad_u64_u32 v[13:14], null, 0xb0, v62, v[5:6]
	v_add_co_ci_u32_e64 v8, null, 0, v146, vcc_lo
	v_add_co_u32 v11, vcc_lo, v145, v60
	v_add_co_ci_u32_e64 v12, null, 0, v146, vcc_lo
	v_add_co_u32 v15, vcc_lo, v9, v59
	v_mad_u64_u32 v[19:20], null, 0xb0, v63, v[5:6]
	v_add_co_ci_u32_e64 v16, null, 0, v10, vcc_lo
	v_add_co_u32 v9, vcc_lo, v9, v60
	v_add_co_ci_u32_e64 v10, null, 0, v10, vcc_lo
	;; [unrolled: 5-line block ×3, first 2 shown]
	v_add_co_u32 v145, vcc_lo, v19, v59
	v_add_co_ci_u32_e64 v146, null, 0, v20, vcc_lo
	v_add_co_u32 v19, vcc_lo, v19, v60
	v_add_co_ci_u32_e64 v20, null, 0, v20, vcc_lo
	v_add_co_u32 v147, vcc_lo, v143, v59
	v_mad_u64_u32 v[149:150], null, 0xb0, v66, v[5:6]
	v_add_co_ci_u32_e64 v148, null, 0, v144, vcc_lo
	v_add_co_u32 v143, vcc_lo, v143, v60
	v_add_co_ci_u32_e64 v144, null, 0, v144, vcc_lo
	s_clause 0x9
	global_load_dword v159, v[7:8], off offset:48
	global_load_dword v160, v[11:12], off offset:16
	global_load_dword v161, v[15:16], off offset:48
	global_load_dword v162, v[9:10], off offset:16
	global_load_dword v163, v[17:18], off offset:48
	global_load_dword v164, v[13:14], off offset:16
	global_load_dword v145, v[145:146], off offset:48
	global_load_dword v146, v[19:20], off offset:16
	global_load_dword v147, v[147:148], off offset:48
	global_load_dword v165, v[143:144], off offset:16
	v_mad_u64_u32 v[7:8], null, 0xb0, v68, v[5:6]
	v_add_co_u32 v9, vcc_lo, v149, v59
	v_add_co_ci_u32_e64 v10, null, 0, v150, vcc_lo
	v_add_co_u32 v11, vcc_lo, v149, v60
	v_add_co_ci_u32_e64 v12, null, 0, v150, vcc_lo
	;; [unrolled: 2-line block ×4, first 2 shown]
	s_clause 0x3
	global_load_dword v149, v[9:10], off offset:48
	global_load_dword v150, v[11:12], off offset:16
	;; [unrolled: 1-line block ×4, first 2 shown]
	v_mad_u64_u32 v[7:8], null, 0xb0, v70, v[5:6]
	v_mad_u64_u32 v[11:12], null, 0xb0, v72, v[5:6]
	;; [unrolled: 1-line block ×4, first 2 shown]
	v_add_co_u32 v9, vcc_lo, v7, v59
	v_add_co_ci_u32_e64 v10, null, 0, v8, vcc_lo
	v_add_co_u32 v7, vcc_lo, v7, v60
	v_add_co_ci_u32_e64 v8, null, 0, v8, vcc_lo
	s_clause 0x1
	global_load_dword v168, v[9:10], off offset:48
	global_load_dword v169, v[7:8], off offset:16
	v_mad_u64_u32 v[7:8], null, 0xb0, v75, v[5:6]
	v_add_co_u32 v9, vcc_lo, v11, v59
	v_add_co_ci_u32_e64 v10, null, 0, v12, vcc_lo
	v_add_co_u32 v11, vcc_lo, v11, v60
	v_add_co_ci_u32_e64 v12, null, 0, v12, vcc_lo
	v_add_co_u32 v13, vcc_lo, v7, v59
	v_mad_u64_u32 v[5:6], null, 0xb0, v79, v[5:6]
	v_add_co_ci_u32_e64 v14, null, 0, v8, vcc_lo
	v_add_co_u32 v7, vcc_lo, v7, v60
	v_add_co_ci_u32_e64 v8, null, 0, v8, vcc_lo
	v_add_co_u32 v17, vcc_lo, v15, v59
	v_add_co_ci_u32_e64 v18, null, 0, v16, vcc_lo
	v_add_co_u32 v15, vcc_lo, v15, v60
	v_add_co_ci_u32_e64 v16, null, 0, v16, vcc_lo
	v_add_co_u32 v19, vcc_lo, v5, v59
	v_add_co_ci_u32_e64 v20, null, 0, v6, vcc_lo
	v_add_co_u32 v5, vcc_lo, v5, v60
	v_add_co_ci_u32_e64 v6, null, 0, v6, vcc_lo
	s_clause 0x7
	global_load_dword v170, v[9:10], off offset:48
	global_load_dword v171, v[11:12], off offset:16
	;; [unrolled: 1-line block ×8, first 2 shown]
	v_mad_u64_u32 v[7:8], null, 0xb0, v83, s[0:1]
	v_add_co_u32 v9, vcc_lo, v143, v114
	v_mad_u64_u32 v[5:6], null, 0xb0, v74, s[0:1]
	s_lshl_b32 s0, s11, 3
	v_add_co_ci_u32_e64 v10, null, 0, v144, vcc_lo
	v_add_co_u32 v11, vcc_lo, v143, v115
	v_add_nc_u32_e32 v15, s0, v87
	v_add_co_ci_u32_e64 v12, null, 0, v144, vcc_lo
	v_add_co_u32 v13, vcc_lo, v7, v114
	v_add_co_ci_u32_e64 v14, null, 0, v8, vcc_lo
	v_add_co_u32 v7, vcc_lo, v7, v115
	v_add_co_ci_u32_e64 v8, null, 0, v8, vcc_lo
	v_add_nc_u32_e32 v16, v15, v88
	s_clause 0x4
	global_load_dword v178, v[5:6], off
	global_load_dword v179, v[9:10], off offset:4
	global_load_dword v180, v[11:12], off offset:4
	;; [unrolled: 1-line block ×4, first 2 shown]
	v_add_nc_u32_e32 v7, v15, v89
	v_add_nc_u32_e32 v9, v15, v90
	;; [unrolled: 1-line block ×4, first 2 shown]
	v_mad_i64_i32 v[5:6], null, v16, 36, v[3:4]
	v_add_nc_u32_e32 v16, v15, v93
	v_mad_i64_i32 v[7:8], null, v7, 36, v[3:4]
	v_add_nc_u32_e32 v17, v15, v94
	;; [unrolled: 2-line block ×3, first 2 shown]
	v_add_nc_u32_e32 v148, s0, v2
	v_mad_i64_i32 v[11:12], null, v11, 36, v[3:4]
	v_mad_i64_i32 v[13:14], null, v13, 36, v[3:4]
	v_mad_i64_i32 v[15:16], null, v16, 36, v[3:4]
	v_mad_i64_i32 v[17:18], null, v17, 36, v[3:4]
	v_mad_i64_i32 v[19:20], null, v19, 36, v[3:4]
	v_mad_u64_u32 v[143:144], null, v148, 36, s[2:3]
	s_clause 0x8
	global_load_dword v5, v[5:6], off offset:4
	global_load_dword v6, v[7:8], off offset:4
	;; [unrolled: 1-line block ×8, first 2 shown]
	global_load_dword v13, v[143:144], off
	s_mov_b32 s1, 0
	s_waitcnt vmcnt(45)
	v_lshrrev_b32_e32 v15, 4, v151
	s_waitcnt vmcnt(44)
	v_ashrrev_i32_e32 v16, v61, v152
	v_ashrrev_i32_e32 v17, v69, v152
	s_waitcnt vmcnt(43)
	v_lshrrev_b32_e32 v19, 4, v153
	s_waitcnt vmcnt(42)
	v_ashrrev_i32_e32 v20, v61, v154
	v_ashrrev_i32_e32 v143, v69, v154
	v_and_b32_e32 v14, 0xf0f0f0f, v151
	v_and_b32_e32 v18, 0xf0f0f0f, v153
	s_waitcnt vmcnt(41)
	v_lshrrev_b32_e32 v151, 4, v155
	s_waitcnt vmcnt(40)
	v_ashrrev_i32_e32 v152, v61, v156
	v_ashrrev_i32_e32 v153, v69, v156
	v_and_b32_e32 v144, 0xf0f0f0f, v155
	s_waitcnt vmcnt(39)
	v_and_b32_e32 v154, 0xf0f0f0f, v157
	v_lshrrev_b32_e32 v155, 4, v157
	s_waitcnt vmcnt(38)
	v_ashrrev_i32_e32 v156, v61, v158
	v_ashrrev_i32_e32 v157, v69, v158
	v_and_b32_e32 v15, 0xf0f0f0f, v15
	v_lshlrev_b32_e32 v16, 4, v16
	v_lshlrev_b32_e32 v17, 4, v17
	v_and_b32_e32 v19, 0xf0f0f0f, v19
	v_lshlrev_b32_e32 v20, 4, v20
	v_lshlrev_b32_e32 v143, 4, v143
	;; [unrolled: 3-line block ×4, first 2 shown]
	v_and_or_b32 v14, 0x10101010, v16, v14
	v_and_or_b32 v15, 0x10101010, v17, v15
	;; [unrolled: 1-line block ×8, first 2 shown]
	s_waitcnt vmcnt(37)
	v_and_b32_e32 v158, 0xf0f0f0f, v159
	v_lshrrev_b32_e32 v159, 4, v159
	s_waitcnt vmcnt(36)
	v_ashrrev_i32_e32 v183, v61, v160
	v_ashrrev_i32_e32 v160, v69, v160
	s_waitcnt vmcnt(35)
	v_and_b32_e32 v184, 0xf0f0f0f, v161
	v_lshrrev_b32_e32 v161, 4, v161
	s_waitcnt vmcnt(34)
	v_ashrrev_i32_e32 v185, v61, v162
	v_ashrrev_i32_e32 v162, v69, v162
	;; [unrolled: 6-line block ×5, first 2 shown]
	v_and_b32_e32 v159, 0xf0f0f0f, v159
	v_lshlrev_b32_e32 v183, 4, v183
	v_lshlrev_b32_e32 v160, 4, v160
	v_and_b32_e32 v161, 0xf0f0f0f, v161
	v_lshlrev_b32_e32 v185, 4, v185
	s_waitcnt vmcnt(27)
	v_and_b32_e32 v192, 0xf0f0f0f, v149
	v_lshrrev_b32_e32 v149, 4, v149
	s_waitcnt vmcnt(26)
	v_ashrrev_i32_e32 v193, v61, v150
	v_ashrrev_i32_e32 v150, v69, v150
	s_waitcnt vmcnt(24)
	v_ashrrev_i32_e32 v195, v61, v167
	v_lshlrev_b32_e32 v162, 4, v162
	v_and_b32_e32 v163, 0xf0f0f0f, v163
	v_lshlrev_b32_e32 v187, 4, v187
	v_lshlrev_b32_e32 v164, 4, v164
	v_and_b32_e32 v145, 0xf0f0f0f, v145
	v_lshlrev_b32_e32 v189, 4, v189
	;; [unrolled: 3-line block ×3, first 2 shown]
	v_lshlrev_b32_e32 v165, 4, v165
	v_lshrrev_b32_e32 v194, 4, v166
	v_ashrrev_i32_e32 v167, v69, v167
	v_and_or_b32 v144, 0x10101010, v183, v158
	v_and_or_b32 v151, 0x10101010, v160, v159
	v_and_b32_e32 v149, 0xf0f0f0f, v149
	v_lshlrev_b32_e32 v193, 4, v193
	v_and_or_b32 v152, 0x10101010, v185, v184
	v_and_or_b32 v153, 0x10101010, v162, v161
	;; [unrolled: 1-line block ×8, first 2 shown]
	ds_write2_b32 v73, v14, v15 offset1:8
	ds_write2_b32 v124, v16, v17 offset0:8 offset1:16
	ds_write2_b32 v125, v18, v19 offset0:16 offset1:24
	;; [unrolled: 1-line block ×8, first 2 shown]
	v_lshlrev_b32_e32 v14, 4, v150
	v_and_b32_e32 v15, 0xf0f0f0f, v166
	v_lshlrev_b32_e32 v16, 4, v195
	v_and_b32_e32 v17, 0xf0f0f0f, v194
	v_lshlrev_b32_e32 v18, 4, v167
	v_and_or_b32 v19, 0x10101010, v193, v192
	v_and_or_b32 v14, 0x10101010, v14, v149
	;; [unrolled: 1-line block ×3, first 2 shown]
	s_waitcnt vmcnt(22)
	v_ashrrev_i32_e32 v16, v61, v169
	v_lshrrev_b32_e32 v20, 4, v168
	v_ashrrev_i32_e32 v143, v69, v169
	v_and_or_b32 v17, 0x10101010, v18, v17
	v_and_b32_e32 v18, 0xf0f0f0f, v168
	v_lshlrev_b32_e32 v16, 4, v16
	ds_write2_b32 v132, v19, v14 offset0:72 offset1:80
	ds_write2_b32 v133, v15, v17 offset0:80 offset1:88
	v_and_b32_e32 v14, 0xf0f0f0f, v20
	v_lshlrev_b32_e32 v15, 4, v143
	v_and_or_b32 v16, 0x10101010, v16, v18
	s_waitcnt vmcnt(21)
	v_lshrrev_b32_e32 v18, 4, v170
	s_waitcnt vmcnt(20)
	v_ashrrev_i32_e32 v17, v61, v171
	v_ashrrev_i32_e32 v19, v69, v171
	v_and_or_b32 v14, 0x10101010, v15, v14
	v_and_b32_e32 v15, 0xf0f0f0f, v170
	v_and_b32_e32 v18, 0xf0f0f0f, v18
	v_lshlrev_b32_e32 v17, 4, v17
	v_lshlrev_b32_e32 v19, 4, v19
	ds_write2_b32 v134, v16, v14 offset0:88 offset1:96
	s_waitcnt vmcnt(18)
	v_ashrrev_i32_e32 v16, v61, v173
	s_waitcnt vmcnt(17)
	v_lshrrev_b32_e32 v20, 4, v174
	s_waitcnt vmcnt(16)
	v_ashrrev_i32_e32 v143, v61, v175
	v_ashrrev_i32_e32 v144, v69, v175
	v_lshrrev_b32_e32 v14, 4, v172
	v_and_or_b32 v15, 0x10101010, v17, v15
	v_and_or_b32 v17, 0x10101010, v19, v18
	v_and_b32_e32 v18, 0xf0f0f0f, v172
	v_ashrrev_i32_e32 v19, v69, v173
	v_lshlrev_b32_e32 v16, 4, v16
	v_and_b32_e32 v145, 0xf0f0f0f, v174
	v_and_b32_e32 v20, 0xf0f0f0f, v20
	v_lshlrev_b32_e32 v143, 4, v143
	v_lshlrev_b32_e32 v144, 4, v144
	v_and_b32_e32 v14, 0xf0f0f0f, v14
	v_lshlrev_b32_e32 v19, 4, v19
	ds_write2_b32 v135, v15, v17 offset0:96 offset1:104
	v_and_or_b32 v15, 0x10101010, v16, v18
	v_and_or_b32 v16, 0x10101010, v143, v145
	;; [unrolled: 1-line block ×3, first 2 shown]
	s_waitcnt vmcnt(15)
	v_lshrrev_b32_e32 v18, 4, v176
	s_waitcnt vmcnt(14)
	v_ashrrev_i32_e32 v20, v61, v177
	v_ashrrev_i32_e32 v143, v69, v177
	s_waitcnt vmcnt(12)
	v_ashrrev_i32_e32 v144, v71, v179
	s_waitcnt vmcnt(10)
	v_ashrrev_i32_e32 v145, v71, v181
	v_and_or_b32 v14, 0x10101010, v19, v14
	v_and_b32_e32 v19, 0xf0f0f0f, v176
	v_and_b32_e32 v18, 0xf0f0f0f, v18
	v_lshlrev_b32_e32 v20, 4, v20
	v_lshlrev_b32_e32 v143, 4, v143
	v_and_b32_e32 v144, 0xf0f0f0f, v144
	v_ashrrev_i32_e32 v146, v80, v180
	v_and_b32_e32 v145, 0xf0f0f0f, v145
	s_waitcnt vmcnt(9)
	v_ashrrev_i32_e32 v147, v80, v182
	v_and_or_b32 v19, 0x10101010, v20, v19
	v_and_or_b32 v18, 0x10101010, v143, v18
	ds_write2_b32 v136, v15, v14 offset0:104 offset1:112
	v_and_or_b32 v14, 0x30303030, v146, v144
	v_and_or_b32 v15, 0x30303030, v147, v145
	ds_write2_b32 v137, v16, v17 offset0:112 offset1:120
	ds_write2_b32 v138, v19, v18 offset0:120 offset1:128
	ds_write_b32 v77, v178
	ds_write_b32 v82, v14
	;; [unrolled: 1-line block ×3, first 2 shown]
	s_waitcnt vmcnt(8)
	ds_write_b32 v116, v5
	s_waitcnt vmcnt(7)
	ds_write_b32 v117, v6
	;; [unrolled: 2-line block ×9, first 2 shown]
	s_waitcnt lgkmcnt(0)
	s_barrier
	buffer_gl0_inv
	ds_read_b32 v5, v99
	ds_read_b32 v6, v100 offset:128
	ds_read_b32 v7, v101 offset:256
	;; [unrolled: 1-line block ×3, first 2 shown]
	s_waitcnt lgkmcnt(3)
	v_cvt_f32_f16_e32 v149, v5
	v_cvt_f32_f16_sdwa v150, v5 dst_sel:DWORD dst_unused:UNUSED_PAD src0_sel:WORD_1
	s_waitcnt lgkmcnt(2)
	v_cvt_f32_f16_sdwa v151, v6 dst_sel:DWORD dst_unused:UNUSED_PAD src0_sel:WORD_1
	v_cvt_f32_f16_e32 v152, v6
	s_waitcnt lgkmcnt(1)
	v_cvt_f32_f16_sdwa v153, v7 dst_sel:DWORD dst_unused:UNUSED_PAD src0_sel:WORD_1
	v_cvt_f32_f16_e32 v154, v7
	;; [unrolled: 3-line block ×3, first 2 shown]
.LBB173_6:                              ;   Parent Loop BB173_5 Depth=1
                                        ; =>  This Inner Loop Header: Depth=2
	s_lshl_b32 s15, s1, 1
	s_lshl_b32 s16, s1, 3
	v_or_b32_e32 v143, s15, v52
	v_add_nc_u32_e32 v144, s16, v110
	v_add_nc_u32_e32 v158, s16, v111
	;; [unrolled: 1-line block ×4, first 2 shown]
	v_lshlrev_b32_e32 v147, 2, v143
	v_mov_b32_e32 v145, 0
	v_mov_b32_e32 v146, 0
	;; [unrolled: 1-line block ×3, first 2 shown]
	ds_read2_b32 v[5:6], v144 offset1:1
	ds_read_b128 v[165:168], v147 offset:33280
	ds_read2_b32 v[7:8], v158 offset1:1
	ds_read2_b32 v[9:10], v160 offset1:1
	ds_read2_b32 v[15:16], v158 offset0:2 offset1:3
	ds_read2_b32 v[13:14], v144 offset0:2 offset1:3
	ds_read2_b32 v[11:12], v164 offset1:1
	ds_read2_b32 v[19:20], v164 offset0:2 offset1:3
	ds_read2_b32 v[17:18], v160 offset0:2 offset1:3
	v_mov_b32_e32 v159, 0
	v_or_b32_e32 v162, s15, v103
	v_mov_b32_e32 v161, 0
	v_mov_b32_e32 v163, 0
	;; [unrolled: 1-line block ×7, first 2 shown]
	v_or_b32_e32 v198, s15, v109
	v_mov_b32_e32 v197, 0
	v_mov_b32_e32 v238, 0
	s_waitcnt lgkmcnt(7)
	v_dot4c_i32_i8 v145, v5, v165
	s_waitcnt lgkmcnt(6)
	v_dot4c_i32_i8 v146, v7, v165
	;; [unrolled: 2-line block ×3, first 2 shown]
	v_mov_b32_e32 v239, 0
	v_mov_b32_e32 v217, 0
	s_waitcnt lgkmcnt(2)
	v_dot4c_i32_i8 v159, v11, v165
	v_dot4c_i32_i8 v145, v6, v166
	;; [unrolled: 1-line block ×4, first 2 shown]
	v_mov_b32_e32 v165, 0
	v_dot4c_i32_i8 v159, v12, v166
	v_dot4c_i32_i8 v145, v13, v167
	;; [unrolled: 1-line block ×3, first 2 shown]
	s_waitcnt lgkmcnt(0)
	v_dot4c_i32_i8 v157, v17, v167
	v_lshlrev_b32_e32 v166, 2, v162
	v_dot4c_i32_i8 v159, v19, v167
	v_dot4c_i32_i8 v145, v14, v168
	;; [unrolled: 1-line block ×4, first 2 shown]
	v_mov_b32_e32 v167, 0
	v_dot4c_i32_i8 v159, v20, v168
	ds_read_b128 v[168:171], v166 offset:33280
	v_mov_b32_e32 v216, 0
	v_mov_b32_e32 v215, 0
	v_mov_b32_e32 v214, 0
	v_mov_b32_e32 v213, 0
	v_mov_b32_e32 v212, 0
	v_mov_b32_e32 v211, 0
	v_mov_b32_e32 v210, 0
	v_mov_b32_e32 v209, 0
	v_mov_b32_e32 v208, 0
	v_mov_b32_e32 v207, 0
	v_mov_b32_e32 v206, 0
	v_mov_b32_e32 v205, 0
	s_lshr_b32 s1, s1, 2
	s_and_b32 vcc_lo, exec_lo, s14
	s_add_i32 s1, s1, 0xa200
	s_mov_b32 s14, 0
	s_waitcnt lgkmcnt(0)
	v_dot4c_i32_i8 v161, v5, v168
	v_dot4c_i32_i8 v163, v7, v168
	v_dot4c_i32_i8 v165, v9, v168
	v_dot4c_i32_i8 v167, v11, v168
	v_mov_b32_e32 v168, 0
	v_dot4c_i32_i8 v161, v6, v169
	v_dot4c_i32_i8 v163, v8, v169
	v_dot4c_i32_i8 v165, v10, v169
	v_dot4c_i32_i8 v167, v12, v169
	v_or_b32_e32 v169, s15, v104
	v_dot4c_i32_i8 v161, v13, v170
	v_dot4c_i32_i8 v163, v15, v170
	v_dot4c_i32_i8 v165, v17, v170
	v_dot4c_i32_i8 v167, v19, v170
	v_lshlrev_b32_e32 v173, 2, v169
	v_dot4c_i32_i8 v161, v14, v171
	v_dot4c_i32_i8 v163, v16, v171
	v_dot4c_i32_i8 v165, v18, v171
	v_dot4c_i32_i8 v167, v20, v171
	ds_read_b128 v[174:177], v173 offset:33280
	v_mov_b32_e32 v170, 0
	v_mov_b32_e32 v171, 0
	s_waitcnt lgkmcnt(0)
	v_dot4c_i32_i8 v168, v5, v174
	v_dot4c_i32_i8 v170, v7, v174
	v_dot4c_i32_i8 v171, v9, v174
	v_dot4c_i32_i8 v172, v11, v174
	v_mov_b32_e32 v174, 0
	v_dot4c_i32_i8 v168, v6, v175
	v_dot4c_i32_i8 v170, v8, v175
	v_dot4c_i32_i8 v171, v10, v175
	v_dot4c_i32_i8 v172, v12, v175
	v_or_b32_e32 v175, s15, v105
	v_dot4c_i32_i8 v168, v13, v176
	v_dot4c_i32_i8 v170, v15, v176
	v_dot4c_i32_i8 v171, v17, v176
	v_dot4c_i32_i8 v172, v19, v176
	v_lshlrev_b32_e32 v179, 2, v175
	v_dot4c_i32_i8 v168, v14, v177
	v_dot4c_i32_i8 v170, v16, v177
	v_dot4c_i32_i8 v171, v18, v177
	v_dot4c_i32_i8 v172, v20, v177
	ds_read_b128 v[180:183], v179 offset:33280
	v_mov_b32_e32 v176, 0
	v_mov_b32_e32 v177, 0
	;; [unrolled: 23-line block ×5, first 2 shown]
	s_waitcnt lgkmcnt(0)
	v_dot4c_i32_i8 v192, v5, v200
	v_dot4c_i32_i8 v194, v7, v200
	;; [unrolled: 1-line block ×4, first 2 shown]
	v_lshlrev_b32_e32 v200, 2, v198
	v_dot4c_i32_i8 v192, v6, v201
	v_dot4c_i32_i8 v194, v8, v201
	;; [unrolled: 1-line block ×12, first 2 shown]
	ds_read_b128 v[201:204], v200 offset:33280
	s_waitcnt lgkmcnt(0)
	v_dot4c_i32_i8 v197, v5, v201
	v_mov_b32_e32 v5, 0
	v_dot4c_i32_i8 v197, v6, v202
	v_mov_b32_e32 v6, 0
	;; [unrolled: 2-line block ×3, first 2 shown]
	v_dot4c_i32_i8 v197, v13, v203
	v_dot4c_i32_i8 v6, v9, v201
	;; [unrolled: 1-line block ×4, first 2 shown]
	v_mov_b32_e32 v201, 0
	v_dot4c_i32_i8 v197, v14, v204
	v_dot4c_i32_i8 v6, v10, v202
	ds_read2_b32 v[222:223], v144 offset0:8 offset1:9
	ds_read_b128 v[8:11], v147 offset:33312
	ds_read2_b32 v[224:225], v158 offset0:8 offset1:9
	ds_read2_b32 v[226:227], v160 offset0:8 offset1:9
	;; [unrolled: 1-line block ×7, first 2 shown]
	ds_read_b128 v[218:221], v199 offset:33312
	v_dot4c_i32_i8 v7, v12, v202
	v_dot4c_i32_i8 v5, v15, v203
	;; [unrolled: 1-line block ×3, first 2 shown]
	v_mov_b32_e32 v202, 0
	v_mov_b32_e32 v15, 0
	v_dot4c_i32_i8 v7, v19, v203
	v_dot4c_i32_i8 v5, v16, v204
	;; [unrolled: 1-line block ×3, first 2 shown]
	v_mov_b32_e32 v203, 0
	v_mov_b32_e32 v19, 0
	v_dot4c_i32_i8 v7, v20, v204
	s_waitcnt lgkmcnt(8)
	v_dot4c_i32_i8 v238, v222, v8
	s_waitcnt lgkmcnt(7)
	v_dot4c_i32_i8 v239, v224, v8
	s_waitcnt lgkmcnt(6)
	v_dot4c_i32_i8 v217, v226, v8
	v_mov_b32_e32 v204, 0
	v_mov_b32_e32 v20, 0
	s_waitcnt lgkmcnt(3)
	v_dot4c_i32_i8 v216, v228, v8
	v_dot4c_i32_i8 v238, v223, v9
	;; [unrolled: 1-line block ×4, first 2 shown]
	v_mov_b32_e32 v18, 0
	v_dot4c_i32_i8 v216, v229, v9
	v_dot4c_i32_i8 v238, v230, v10
	;; [unrolled: 1-line block ×3, first 2 shown]
	s_waitcnt lgkmcnt(1)
	v_dot4c_i32_i8 v217, v234, v10
	v_mov_b32_e32 v16, 0
	v_dot4c_i32_i8 v216, v236, v10
	v_dot4c_i32_i8 v238, v231, v11
	;; [unrolled: 1-line block ×4, first 2 shown]
	v_mov_b32_e32 v14, 0
	v_dot4c_i32_i8 v216, v237, v11
	ds_read_b128 v[8:11], v166 offset:33312
	v_mov_b32_e32 v13, 0
	v_mov_b32_e32 v12, 0
	s_waitcnt lgkmcnt(1)
	v_dot4c_i32_i8 v14, v222, v218
	v_mov_b32_e32 v17, 0
	v_dot4c_i32_i8 v13, v224, v218
	v_dot4c_i32_i8 v12, v226, v218
	;; [unrolled: 1-line block ×9, first 2 shown]
	s_waitcnt lgkmcnt(0)
	v_dot4c_i32_i8 v215, v222, v8
	v_dot4c_i32_i8 v214, v224, v8
	;; [unrolled: 1-line block ×18, first 2 shown]
	ds_read_b128 v[8:11], v173 offset:33312
	s_waitcnt lgkmcnt(0)
	v_dot4c_i32_i8 v211, v222, v8
	v_dot4c_i32_i8 v210, v224, v8
	v_dot4c_i32_i8 v209, v226, v8
	v_dot4c_i32_i8 v208, v228, v8
	v_dot4c_i32_i8 v211, v223, v9
	v_dot4c_i32_i8 v210, v225, v9
	v_dot4c_i32_i8 v209, v227, v9
	v_dot4c_i32_i8 v208, v229, v9
	v_dot4c_i32_i8 v211, v230, v10
	v_dot4c_i32_i8 v210, v232, v10
	v_dot4c_i32_i8 v209, v234, v10
	v_dot4c_i32_i8 v208, v236, v10
	v_dot4c_i32_i8 v211, v231, v11
	v_dot4c_i32_i8 v210, v233, v11
	v_dot4c_i32_i8 v209, v235, v11
	v_dot4c_i32_i8 v208, v237, v11
	ds_read_b128 v[8:11], v179 offset:33312
	s_waitcnt lgkmcnt(0)
	v_dot4c_i32_i8 v207, v222, v8
	v_dot4c_i32_i8 v206, v224, v8
	v_dot4c_i32_i8 v205, v226, v8
	v_dot4c_i32_i8 v204, v228, v8
	v_dot4c_i32_i8 v207, v223, v9
	v_dot4c_i32_i8 v206, v225, v9
	v_dot4c_i32_i8 v205, v227, v9
	v_dot4c_i32_i8 v204, v229, v9
	v_dot4c_i32_i8 v207, v230, v10
	v_dot4c_i32_i8 v206, v232, v10
	v_dot4c_i32_i8 v205, v234, v10
	v_dot4c_i32_i8 v204, v236, v10
	v_dot4c_i32_i8 v207, v231, v11
	v_dot4c_i32_i8 v206, v233, v11
	v_dot4c_i32_i8 v205, v235, v11
	v_dot4c_i32_i8 v204, v237, v11
	ds_read_b128 v[8:11], v185 offset:33312
	s_waitcnt lgkmcnt(0)
	v_dot4c_i32_i8 v203, v222, v8
	v_dot4c_i32_i8 v202, v224, v8
	v_dot4c_i32_i8 v201, v226, v8
	v_dot4c_i32_i8 v20, v228, v8
	v_dot4c_i32_i8 v203, v223, v9
	v_dot4c_i32_i8 v202, v225, v9
	v_dot4c_i32_i8 v201, v227, v9
	v_dot4c_i32_i8 v20, v229, v9
	v_dot4c_i32_i8 v203, v230, v10
	v_dot4c_i32_i8 v202, v232, v10
	v_dot4c_i32_i8 v201, v234, v10
	v_dot4c_i32_i8 v20, v236, v10
	v_dot4c_i32_i8 v203, v231, v11
	v_dot4c_i32_i8 v202, v233, v11
	v_dot4c_i32_i8 v201, v235, v11
	v_dot4c_i32_i8 v20, v237, v11
	ds_read_b128 v[8:11], v191 offset:33312
	s_waitcnt lgkmcnt(0)
	v_dot4c_i32_i8 v19, v222, v8
	v_dot4c_i32_i8 v18, v224, v8
	v_dot4c_i32_i8 v16, v226, v8
	v_dot4c_i32_i8 v15, v228, v8
	v_mov_b32_e32 v8, 0
	v_dot4c_i32_i8 v19, v223, v9
	v_dot4c_i32_i8 v18, v225, v9
	v_dot4c_i32_i8 v16, v227, v9
	v_dot4c_i32_i8 v15, v229, v9
	v_mov_b32_e32 v9, 0
	;; [unrolled: 5-line block ×4, first 2 shown]
	v_dot4c_i32_i8 v11, v228, v218
	v_dot4c_i32_i8 v11, v229, v219
	;; [unrolled: 1-line block ×4, first 2 shown]
	ds_read_b128 v[218:221], v200 offset:33312
	s_waitcnt lgkmcnt(0)
	v_dot4c_i32_i8 v8, v222, v218
	v_dot4c_i32_i8 v9, v224, v218
	;; [unrolled: 1-line block ×16, first 2 shown]
	ds_read2_b32 v[222:223], v144 offset0:4 offset1:5
	ds_read_b128 v[218:221], v147 offset:33296
	ds_read2_b32 v[224:225], v158 offset0:4 offset1:5
	ds_read2_b32 v[226:227], v160 offset0:4 offset1:5
	ds_read2_b32 v[232:233], v158 offset0:6 offset1:7
	ds_read2_b32 v[230:231], v144 offset0:6 offset1:7
	ds_read2_b32 v[228:229], v164 offset0:4 offset1:5
	ds_read2_b32 v[236:237], v164 offset0:6 offset1:7
	ds_read2_b32 v[234:235], v160 offset0:6 offset1:7
	s_waitcnt lgkmcnt(7)
	v_dot4c_i32_i8 v145, v222, v218
	s_waitcnt lgkmcnt(6)
	v_dot4c_i32_i8 v146, v224, v218
	;; [unrolled: 2-line block ×4, first 2 shown]
	v_dot4c_i32_i8 v145, v223, v219
	v_dot4c_i32_i8 v146, v225, v219
	;; [unrolled: 1-line block ×6, first 2 shown]
	s_waitcnt lgkmcnt(0)
	v_dot4c_i32_i8 v157, v234, v220
	v_dot4c_i32_i8 v159, v236, v220
	v_dot4c_i32_i8 v145, v231, v221
	v_dot4c_i32_i8 v146, v233, v221
	v_dot4c_i32_i8 v157, v235, v221
	v_dot4c_i32_i8 v159, v237, v221
	ds_read_b128 v[218:221], v166 offset:33296
	s_waitcnt lgkmcnt(0)
	v_dot4c_i32_i8 v161, v222, v218
	v_dot4c_i32_i8 v163, v224, v218
	v_dot4c_i32_i8 v165, v226, v218
	v_dot4c_i32_i8 v167, v228, v218
	v_dot4c_i32_i8 v161, v223, v219
	v_dot4c_i32_i8 v163, v225, v219
	v_dot4c_i32_i8 v165, v227, v219
	v_dot4c_i32_i8 v167, v229, v219
	v_dot4c_i32_i8 v161, v230, v220
	v_dot4c_i32_i8 v163, v232, v220
	v_dot4c_i32_i8 v165, v234, v220
	v_dot4c_i32_i8 v167, v236, v220
	v_dot4c_i32_i8 v161, v231, v221
	v_dot4c_i32_i8 v163, v233, v221
	v_dot4c_i32_i8 v165, v235, v221
	v_dot4c_i32_i8 v167, v237, v221
	ds_read_b128 v[218:221], v173 offset:33296
	s_waitcnt lgkmcnt(0)
	v_dot4c_i32_i8 v168, v222, v218
	v_dot4c_i32_i8 v170, v224, v218
	v_dot4c_i32_i8 v171, v226, v218
	v_dot4c_i32_i8 v172, v228, v218
	v_dot4c_i32_i8 v168, v223, v219
	v_dot4c_i32_i8 v170, v225, v219
	v_dot4c_i32_i8 v171, v227, v219
	v_dot4c_i32_i8 v172, v229, v219
	v_dot4c_i32_i8 v168, v230, v220
	v_dot4c_i32_i8 v170, v232, v220
	;; [unrolled: 18-line block ×7, first 2 shown]
	v_dot4c_i32_i8 v6, v234, v220
	v_dot4c_i32_i8 v7, v236, v220
	;; [unrolled: 1-line block ×6, first 2 shown]
	ds_read2_b32 v[222:223], v144 offset0:12 offset1:13
	ds_read_b128 v[218:221], v147 offset:33328
	ds_read2_b32 v[224:225], v158 offset0:12 offset1:13
	ds_read2_b32 v[226:227], v160 offset0:12 offset1:13
	;; [unrolled: 1-line block ×7, first 2 shown]
	v_lshrrev_b32_e32 v147, 1, v143
	v_lshlrev_b32_e32 v143, 2, v87
	v_lshlrev_b32_e32 v144, 2, v47
	v_add3_u32 v158, s1, v143, v144
	s_waitcnt lgkmcnt(7)
	v_dot4c_i32_i8 v238, v222, v218
	s_waitcnt lgkmcnt(6)
	v_dot4c_i32_i8 v239, v224, v218
	;; [unrolled: 2-line block ×3, first 2 shown]
	ds_read_u16 v160, v158
	s_waitcnt lgkmcnt(3)
	v_dot4c_i32_i8 v216, v228, v218
	v_dot4c_i32_i8 v238, v223, v219
	;; [unrolled: 1-line block ×7, first 2 shown]
	s_waitcnt lgkmcnt(2)
	v_dot4c_i32_i8 v217, v234, v220
	s_waitcnt lgkmcnt(1)
	v_dot4c_i32_i8 v216, v236, v220
	v_dot4c_i32_i8 v238, v231, v221
	v_dot4c_i32_i8 v239, v233, v221
	v_dot4c_i32_i8 v217, v235, v221
	v_dot4c_i32_i8 v216, v237, v221
	ds_read_b128 v[218:221], v166 offset:33328
	s_waitcnt lgkmcnt(0)
	v_dot4c_i32_i8 v215, v222, v218
	v_dot4c_i32_i8 v214, v224, v218
	v_dot4c_i32_i8 v213, v226, v218
	v_dot4c_i32_i8 v212, v228, v218
	v_dot4c_i32_i8 v215, v223, v219
	v_dot4c_i32_i8 v214, v225, v219
	v_dot4c_i32_i8 v213, v227, v219
	v_dot4c_i32_i8 v212, v229, v219
	v_dot4c_i32_i8 v215, v230, v220
	v_dot4c_i32_i8 v214, v232, v220
	v_dot4c_i32_i8 v213, v234, v220
	v_dot4c_i32_i8 v212, v236, v220
	v_dot4c_i32_i8 v215, v231, v221
	v_dot4c_i32_i8 v214, v233, v221
	v_dot4c_i32_i8 v213, v235, v221
	v_dot4c_i32_i8 v212, v237, v221
	ds_read_b128 v[218:221], v173 offset:33328
	s_waitcnt lgkmcnt(0)
	v_dot4c_i32_i8 v211, v222, v218
	v_dot4c_i32_i8 v210, v224, v218
	v_dot4c_i32_i8 v209, v226, v218
	v_dot4c_i32_i8 v208, v228, v218
	v_dot4c_i32_i8 v211, v223, v219
	v_dot4c_i32_i8 v210, v225, v219
	v_dot4c_i32_i8 v209, v227, v219
	v_dot4c_i32_i8 v208, v229, v219
	v_dot4c_i32_i8 v211, v230, v220
	v_dot4c_i32_i8 v210, v232, v220
	v_dot4c_i32_i8 v209, v234, v220
	;; [unrolled: 18-line block ×6, first 2 shown]
	v_dot4c_i32_i8 v11, v236, v220
	v_dot4c_i32_i8 v14, v231, v221
	;; [unrolled: 1-line block ×5, first 2 shown]
	ds_read_b128 v[218:221], v200 offset:33328
	ds_read_b64 v[199:200], v147 offset:43584
	v_and_b32_sdwa v164, v139, v160 dst_sel:DWORD dst_unused:UNUSED_PAD src0_sel:DWORD src1_sel:BYTE_1
	v_and_b32_e32 v160, 0xff, v160
	v_mul_lo_u32 v166, v238, v164
	v_mul_lo_u32 v145, v145, v160
	;; [unrolled: 1-line block ×4, first 2 shown]
	v_cvt_f32_i32_e32 v166, v166
	v_cvt_f32_i32_e32 v145, v145
	s_waitcnt lgkmcnt(1)
	v_dot4c_i32_i8 v8, v222, v218
	s_waitcnt lgkmcnt(0)
	v_fma_mix_f32 v145, v199, v145, 0 op_sel_hi:[1,0,0]
	v_dot4c_i32_i8 v9, v224, v218
	v_dot4c_i32_i8 v10, v226, v218
	;; [unrolled: 1-line block ×4, first 2 shown]
	v_fma_mix_f32 v166, v200, v166, v145 op_sel_hi:[1,0,0]
	v_lshlrev_b32_e32 v145, 2, v96
	v_dot4c_i32_i8 v9, v225, v219
	v_dot4c_i32_i8 v10, v227, v219
	;; [unrolled: 1-line block ×4, first 2 shown]
	v_add3_u32 v173, s1, v145, v140
	v_dot4c_i32_i8 v9, v232, v220
	v_dot4c_i32_i8 v10, v234, v220
	;; [unrolled: 1-line block ×4, first 2 shown]
	ds_read_u16 v147, v173
	v_dot4c_i32_i8 v9, v233, v221
	v_dot4c_i32_i8 v10, v235, v221
	;; [unrolled: 1-line block ×3, first 2 shown]
	v_mul_lo_u32 v8, v8, v164
	v_cvt_f32_i32_e32 v8, v8
	s_waitcnt lgkmcnt(0)
	v_and_b32_e32 v179, 0xff, v147
	v_and_b32_sdwa v185, v139, v147 dst_sel:DWORD dst_unused:UNUSED_PAD src0_sel:DWORD src1_sel:BYTE_1
	v_mul_lo_u32 v146, v146, v179
	v_mul_lo_u32 v147, v239, v185
	;; [unrolled: 1-line block ×6, first 2 shown]
	v_cvt_f32_i32_e32 v146, v146
	v_cvt_f32_i32_e32 v147, v147
	;; [unrolled: 1-line block ×5, first 2 shown]
	v_fma_mix_f32 v146, v199, v146, 0 op_sel_hi:[1,0,0]
	v_cvt_f32_i32_e32 v9, v9
	v_fma_mix_f32 v191, v200, v147, v146 op_sel_hi:[1,0,0]
	v_lshlrev_b32_e32 v146, 2, v97
	v_add3_u32 v218, s1, v146, v141
	ds_read_u16 v147, v218
	s_waitcnt lgkmcnt(0)
	v_and_b32_e32 v219, 0xff, v147
	v_and_b32_sdwa v220, v139, v147 dst_sel:DWORD dst_unused:UNUSED_PAD src0_sel:DWORD src1_sel:BYTE_1
	v_mul_lo_u32 v147, v157, v219
	v_mul_lo_u32 v157, v217, v220
	;; [unrolled: 1-line block ×6, first 2 shown]
	v_cvt_f32_i32_e32 v147, v147
	v_cvt_f32_i32_e32 v157, v157
	;; [unrolled: 1-line block ×5, first 2 shown]
	v_fma_mix_f32 v147, v199, v147, 0 op_sel_hi:[1,0,0]
	v_fma_mix_f32 v217, v200, v157, v147 op_sel_hi:[1,0,0]
	v_lshlrev_b32_e32 v147, 2, v98
	v_add3_u32 v157, s1, v147, v142
	s_mov_b32 s1, 8
	ds_read_u16 v221, v157
	s_waitcnt lgkmcnt(0)
	v_and_b32_e32 v222, 0xff, v221
	v_and_b32_sdwa v221, v139, v221 dst_sel:DWORD dst_unused:UNUSED_PAD src0_sel:DWORD src1_sel:BYTE_1
	v_mul_lo_u32 v159, v159, v222
	v_mul_lo_u32 v216, v216, v221
	;; [unrolled: 1-line block ×7, first 2 shown]
	v_cvt_f32_i32_e32 v159, v159
	v_cvt_f32_i32_e32 v216, v216
	;; [unrolled: 1-line block ×5, first 2 shown]
	v_fma_mix_f32 v159, v199, v159, 0 op_sel_hi:[1,0,0]
	v_cvt_f32_i32_e32 v7, v7
	v_fma_mix_f32 v159, v200, v216, v159 op_sel_hi:[1,0,0]
	ds_read_u8 v216, v158 offset:8
	ds_read_u8 v158, v158 offset:9
	ds_read_u16 v173, v173 offset:8
	ds_read_u16 v218, v218 offset:8
	;; [unrolled: 1-line block ×3, first 2 shown]
	s_waitcnt lgkmcnt(4)
	v_cvt_f32_ubyte0_e32 v216, v216
	s_waitcnt lgkmcnt(3)
	v_cvt_f32_ubyte0_e32 v223, v158
	;; [unrolled: 2-line block ×3, first 2 shown]
	v_cvt_f32_ubyte1_e32 v173, v173
	s_waitcnt lgkmcnt(0)
	v_cvt_f32_ubyte0_e32 v226, v157
	v_cvt_f32_ubyte1_e32 v227, v157
	v_fma_mix_f32 v157, v199, v216, 0 op_sel:[1,0,0] op_sel_hi:[1,0,0]
	v_cvt_f32_ubyte0_e32 v225, v218
	v_cvt_f32_ubyte1_e32 v218, v218
	v_mul_lo_u32 v158, v161, v160
	v_mul_lo_u32 v161, v215, v164
	v_fma_mix_f32 v228, v200, v223, v157 op_sel:[1,0,0] op_sel_hi:[1,0,0]
	v_fma_mix_f32 v157, v199, v224, 0 op_sel:[1,0,0] op_sel_hi:[1,0,0]
	;; [unrolled: 1-line block ×4, first 2 shown]
	v_cvt_f32_i32_e32 v161, v161
	v_fma_mix_f32 v230, v200, v218, v157 op_sel:[1,0,0] op_sel_hi:[1,0,0]
	v_fma_mix_f32 v157, v199, v226, 0 op_sel:[1,0,0] op_sel_hi:[1,0,0]
	;; [unrolled: 1-line block ×3, first 2 shown]
	v_lshrrev_b32_e32 v157, 1, v162
	v_cvt_f32_i32_e32 v162, v158
	ds_read_b64 v[157:158], v157 offset:43584
	s_waitcnt lgkmcnt(0)
	v_fma_mix_f32 v162, v162, v157, 0 op_sel_hi:[0,1,0]
	v_fma_mix_f32 v200, v224, v157, 0 op_sel:[0,1,0] op_sel_hi:[0,1,0]
	v_fma_mix_f32 v161, v161, v158, v162 op_sel_hi:[0,1,0]
	v_mul_lo_u32 v162, v163, v179
	v_mul_lo_u32 v163, v214, v185
	v_fma_mix_f32 v200, v173, v158, v200 op_sel:[0,1,0] op_sel_hi:[0,1,0]
	v_cvt_f32_i32_e32 v162, v162
	v_cvt_f32_i32_e32 v163, v163
	v_fma_mix_f32 v162, v162, v157, 0 op_sel_hi:[0,1,0]
	v_fma_mix_f32 v162, v163, v158, v162 op_sel_hi:[0,1,0]
	v_mul_lo_u32 v163, v165, v219
	v_mul_lo_u32 v165, v213, v220
	v_cvt_f32_i32_e32 v163, v163
	v_cvt_f32_i32_e32 v165, v165
	v_fma_mix_f32 v163, v163, v157, 0 op_sel_hi:[0,1,0]
	v_fma_mix_f32 v163, v165, v158, v163 op_sel_hi:[0,1,0]
	v_mul_lo_u32 v165, v167, v222
	v_mul_lo_u32 v167, v212, v221
	v_fma_mix_f32 v212, v225, v157, 0 op_sel:[0,1,0] op_sel_hi:[0,1,0]
	v_fma_mix_f32 v212, v218, v158, v212 op_sel:[0,1,0] op_sel_hi:[0,1,0]
	v_cvt_f32_i32_e32 v165, v165
	v_cvt_f32_i32_e32 v167, v167
	v_fma_mix_f32 v165, v165, v157, 0 op_sel_hi:[0,1,0]
	v_fma_mix_f32 v165, v167, v158, v165 op_sel_hi:[0,1,0]
	v_fma_mix_f32 v167, v216, v157, 0 op_sel:[0,1,0] op_sel_hi:[0,1,0]
	v_fma_mix_f32 v157, v226, v157, 0 op_sel:[0,1,0] op_sel_hi:[0,1,0]
	;; [unrolled: 1-line block ×4, first 2 shown]
	v_mul_lo_u32 v158, v168, v160
	v_lshrrev_b32_e32 v157, 1, v169
	v_mul_lo_u32 v168, v211, v164
	v_cvt_f32_i32_e32 v169, v158
	ds_read_b64 v[157:158], v157 offset:43584
	v_cvt_f32_i32_e32 v168, v168
	s_waitcnt lgkmcnt(0)
	v_fma_mix_f32 v169, v169, v157, 0 op_sel_hi:[0,1,0]
	v_fma_mix_f32 v168, v168, v158, v169 op_sel_hi:[0,1,0]
	v_mul_lo_u32 v169, v170, v179
	v_mul_lo_u32 v170, v210, v185
	v_cvt_f32_i32_e32 v169, v169
	v_cvt_f32_i32_e32 v170, v170
	v_fma_mix_f32 v169, v169, v157, 0 op_sel_hi:[0,1,0]
	v_fma_mix_f32 v169, v170, v158, v169 op_sel_hi:[0,1,0]
	v_mul_lo_u32 v170, v171, v219
	v_mul_lo_u32 v171, v209, v220
	v_fma_mix_f32 v209, v225, v157, 0 op_sel:[0,1,0] op_sel_hi:[0,1,0]
	v_fma_mix_f32 v209, v218, v158, v209 op_sel:[0,1,0] op_sel_hi:[0,1,0]
	v_cvt_f32_i32_e32 v170, v170
	v_cvt_f32_i32_e32 v171, v171
	v_fma_mix_f32 v170, v170, v157, 0 op_sel_hi:[0,1,0]
	v_fma_mix_f32 v170, v171, v158, v170 op_sel_hi:[0,1,0]
	v_mul_lo_u32 v171, v172, v222
	v_mul_lo_u32 v172, v208, v221
	v_fma_mix_f32 v208, v224, v157, 0 op_sel:[0,1,0] op_sel_hi:[0,1,0]
	v_fma_mix_f32 v208, v173, v158, v208 op_sel:[0,1,0] op_sel_hi:[0,1,0]
	v_cvt_f32_i32_e32 v171, v171
	v_cvt_f32_i32_e32 v172, v172
	v_fma_mix_f32 v171, v171, v157, 0 op_sel_hi:[0,1,0]
	v_fma_mix_f32 v171, v172, v158, v171 op_sel_hi:[0,1,0]
	v_fma_mix_f32 v172, v216, v157, 0 op_sel:[0,1,0] op_sel_hi:[0,1,0]
	v_fma_mix_f32 v157, v226, v157, 0 op_sel:[0,1,0] op_sel_hi:[0,1,0]
	v_fma_mix_f32 v172, v223, v158, v172 op_sel:[0,1,0] op_sel_hi:[0,1,0]
	v_fma_mix_f32 v210, v227, v158, v157 op_sel:[0,1,0] op_sel_hi:[0,1,0]
	v_mul_lo_u32 v158, v174, v160
	v_lshrrev_b32_e32 v157, 1, v175
	v_mul_lo_u32 v174, v207, v164
	v_cvt_f32_i32_e32 v175, v158
	ds_read_b64 v[157:158], v157 offset:43584
	v_cvt_f32_i32_e32 v174, v174
	s_waitcnt lgkmcnt(0)
	v_fma_mix_f32 v175, v175, v157, 0 op_sel_hi:[0,1,0]
	v_fma_mix_f32 v174, v174, v158, v175 op_sel_hi:[0,1,0]
	v_mul_lo_u32 v175, v176, v179
	v_mul_lo_u32 v176, v206, v185
	v_cvt_f32_i32_e32 v175, v175
	v_cvt_f32_i32_e32 v176, v176
	v_fma_mix_f32 v175, v175, v157, 0 op_sel_hi:[0,1,0]
	v_fma_mix_f32 v175, v176, v158, v175 op_sel_hi:[0,1,0]
	v_mul_lo_u32 v176, v177, v219
	v_mul_lo_u32 v177, v205, v220
	v_fma_mix_f32 v205, v225, v157, 0 op_sel:[0,1,0] op_sel_hi:[0,1,0]
	v_fma_mix_f32 v205, v218, v158, v205 op_sel:[0,1,0] op_sel_hi:[0,1,0]
	v_cvt_f32_i32_e32 v176, v176
	v_cvt_f32_i32_e32 v177, v177
	v_fma_mix_f32 v176, v176, v157, 0 op_sel_hi:[0,1,0]
	v_fma_mix_f32 v176, v177, v158, v176 op_sel_hi:[0,1,0]
	v_mul_lo_u32 v177, v178, v222
	v_mul_lo_u32 v178, v204, v221
	v_fma_mix_f32 v204, v224, v157, 0 op_sel:[0,1,0] op_sel_hi:[0,1,0]
	v_fma_mix_f32 v204, v173, v158, v204 op_sel:[0,1,0] op_sel_hi:[0,1,0]
	v_cvt_f32_i32_e32 v177, v177
	v_cvt_f32_i32_e32 v178, v178
	v_fma_mix_f32 v177, v177, v157, 0 op_sel_hi:[0,1,0]
	v_fma_mix_f32 v177, v178, v158, v177 op_sel_hi:[0,1,0]
	v_fma_mix_f32 v178, v216, v157, 0 op_sel:[0,1,0] op_sel_hi:[0,1,0]
	v_fma_mix_f32 v157, v226, v157, 0 op_sel:[0,1,0] op_sel_hi:[0,1,0]
	;; [unrolled: 1-line block ×4, first 2 shown]
	v_mul_lo_u32 v158, v180, v160
	v_lshrrev_b32_e32 v157, 1, v181
	v_mul_lo_u32 v180, v203, v164
	v_mul_f32_e32 v164, v209, v153
	v_cvt_f32_i32_e32 v181, v158
	ds_read_b64 v[157:158], v157 offset:43584
	v_cvt_f32_i32_e32 v180, v180
	v_fma_f32 v164, v170, v154, -v164
	v_add_f32_e32 v43, v43, v164
	s_waitcnt lgkmcnt(0)
	v_fma_mix_f32 v181, v181, v157, 0 op_sel_hi:[0,1,0]
	v_fma_mix_f32 v180, v180, v158, v181 op_sel_hi:[0,1,0]
	v_mul_lo_u32 v181, v182, v179
	v_mul_lo_u32 v182, v202, v185
	v_cvt_f32_i32_e32 v181, v181
	v_cvt_f32_i32_e32 v182, v182
	v_fma_mix_f32 v181, v181, v157, 0 op_sel_hi:[0,1,0]
	v_fma_mix_f32 v181, v182, v158, v181 op_sel_hi:[0,1,0]
	v_mul_lo_u32 v182, v183, v219
	v_mul_lo_u32 v183, v201, v220
	v_cvt_f32_i32_e32 v182, v182
	v_cvt_f32_i32_e32 v183, v183
	v_fma_mix_f32 v182, v182, v157, 0 op_sel_hi:[0,1,0]
	v_fma_mix_f32 v182, v183, v158, v182 op_sel_hi:[0,1,0]
	v_mul_lo_u32 v183, v184, v222
	v_cvt_f32_i32_e32 v183, v183
	v_fma_mix_f32 v183, v183, v157, 0 op_sel_hi:[0,1,0]
	v_fma_mix_f32 v183, v20, v158, v183 op_sel_hi:[0,1,0]
	v_fma_mix_f32 v20, v216, v157, 0 op_sel:[0,1,0] op_sel_hi:[0,1,0]
	v_fma_mix_f32 v184, v223, v158, v20 op_sel:[0,1,0] op_sel_hi:[0,1,0]
	;; [unrolled: 1-line block ×3, first 2 shown]
	v_mul_f32_e32 v170, v184, v150
	v_fma_mix_f32 v201, v173, v158, v20 op_sel:[0,1,0] op_sel_hi:[0,1,0]
	v_fma_mix_f32 v20, v225, v157, 0 op_sel:[0,1,0] op_sel_hi:[0,1,0]
	v_fma_f32 v170, v180, v149, -v170
	v_fma_mix_f32 v202, v218, v158, v20 op_sel:[0,1,0] op_sel_hi:[0,1,0]
	v_fma_mix_f32 v20, v226, v157, 0 op_sel:[0,1,0] op_sel_hi:[0,1,0]
	v_add_f32_e32 v36, v36, v170
	v_fma_mix_f32 v157, v227, v158, v20 op_sel:[0,1,0] op_sel_hi:[0,1,0]
	v_lshrrev_b32_e32 v20, 1, v187
	v_mul_lo_u32 v158, v186, v160
	v_cvt_f32_i32_e32 v186, v19
	v_mul_f32_e32 v157, v157, v155
	ds_read_b64 v[19:20], v20 offset:43584
	v_cvt_f32_i32_e32 v158, v158
	v_fma_f32 v157, v183, v156, -v157
	v_add_f32_e32 v33, v33, v157
	s_waitcnt lgkmcnt(0)
	v_fma_mix_f32 v158, v158, v19, 0 op_sel_hi:[0,1,0]
	v_fma_mix_f32 v158, v186, v20, v158 op_sel_hi:[0,1,0]
	v_mul_lo_u32 v186, v188, v179
	v_cvt_f32_i32_e32 v186, v186
	v_fma_mix_f32 v186, v186, v19, 0 op_sel_hi:[0,1,0]
	v_fma_mix_f32 v18, v18, v20, v186 op_sel_hi:[0,1,0]
	v_mul_lo_u32 v186, v189, v219
	v_cvt_f32_i32_e32 v186, v186
	;; [unrolled: 4-line block ×3, first 2 shown]
	v_cvt_f32_i32_e32 v186, v186
	v_fma_mix_f32 v186, v186, v19, 0 op_sel_hi:[0,1,0]
	v_fma_mix_f32 v186, v15, v20, v186 op_sel_hi:[0,1,0]
	v_fma_mix_f32 v15, v216, v19, 0 op_sel:[0,1,0] op_sel_hi:[0,1,0]
	v_fma_mix_f32 v187, v223, v20, v15 op_sel:[0,1,0] op_sel_hi:[0,1,0]
	v_fma_mix_f32 v15, v224, v19, 0 op_sel:[0,1,0] op_sel_hi:[0,1,0]
	v_fma_mix_f32 v188, v173, v20, v15 op_sel:[0,1,0] op_sel_hi:[0,1,0]
	v_fma_mix_f32 v15, v225, v19, 0 op_sel:[0,1,0] op_sel_hi:[0,1,0]
	v_fma_mix_f32 v189, v218, v20, v15 op_sel:[0,1,0] op_sel_hi:[0,1,0]
	v_fma_mix_f32 v15, v226, v19, 0 op_sel:[0,1,0] op_sel_hi:[0,1,0]
	v_fma_mix_f32 v19, v227, v20, v15 op_sel:[0,1,0] op_sel_hi:[0,1,0]
	v_lshrrev_b32_e32 v15, 1, v193
	v_mul_lo_u32 v20, v192, v160
	v_mul_lo_u32 v160, v197, v160
	v_mul_f32_e32 v19, v19, v155
	ds_read_b64 v[14:15], v15 offset:43584
	v_cvt_f32_i32_e32 v20, v20
	v_cvt_f32_i32_e32 v160, v160
	v_fma_f32 v19, v186, v156, -v19
	v_add_f32_e32 v29, v29, v19
	s_waitcnt lgkmcnt(0)
	v_fma_mix_f32 v20, v20, v14, 0 op_sel_hi:[0,1,0]
	v_fma_mix_f32 v20, v190, v15, v20 op_sel_hi:[0,1,0]
	v_mul_lo_u32 v190, v194, v179
	v_cvt_f32_i32_e32 v190, v190
	v_fma_mix_f32 v190, v190, v14, 0 op_sel_hi:[0,1,0]
	v_fma_mix_f32 v13, v13, v15, v190 op_sel_hi:[0,1,0]
	v_mul_lo_u32 v190, v195, v219
	v_cvt_f32_i32_e32 v190, v190
	;; [unrolled: 4-line block ×3, first 2 shown]
	v_fma_mix_f32 v12, v12, v14, 0 op_sel_hi:[0,1,0]
	v_fma_mix_f32 v192, v11, v15, v12 op_sel_hi:[0,1,0]
	v_fma_mix_f32 v11, v216, v14, 0 op_sel:[0,1,0] op_sel_hi:[0,1,0]
	v_fma_mix_f32 v193, v223, v15, v11 op_sel:[0,1,0] op_sel_hi:[0,1,0]
	;; [unrolled: 1-line block ×8, first 2 shown]
	v_lshrrev_b32_e32 v11, 1, v198
	v_mul_f32_e32 v14, v14, v155
	ds_read_b64 v[11:12], v11 offset:43584
	v_fma_f32 v14, v192, v156, -v14
	v_add_f32_e32 v25, v25, v14
	s_waitcnt lgkmcnt(0)
	v_fma_mix_f32 v5, v5, v11, 0 op_sel_hi:[0,1,0]
	v_fma_mix_f32 v6, v6, v11, 0 op_sel_hi:[0,1,0]
	;; [unrolled: 1-line block ×3, first 2 shown]
	v_fma_mix_f32 v15, v216, v11, 0 op_sel:[0,1,0] op_sel_hi:[0,1,0]
	v_fma_mix_f32 v196, v224, v11, 0 op_sel:[0,1,0] op_sel_hi:[0,1,0]
	v_fma_mix_f32 v5, v9, v12, v5 op_sel_hi:[0,1,0]
	v_cvt_f32_i32_e32 v9, v10
	v_fma_mix_f32 v198, v226, v11, 0 op_sel:[0,1,0] op_sel_hi:[0,1,0]
	v_fma_mix_f32 v15, v223, v12, v15 op_sel:[0,1,0] op_sel_hi:[0,1,0]
	;; [unrolled: 1-line block ×4, first 2 shown]
	v_fma_mix_f32 v6, v9, v12, v6 op_sel_hi:[0,1,0]
	v_cvt_f32_i32_e32 v9, v17
	v_fma_mix_f32 v160, v160, v11, 0 op_sel_hi:[0,1,0]
	v_fma_mix_f32 v198, v227, v12, v198 op_sel:[0,1,0] op_sel_hi:[0,1,0]
	v_fma_mix_f32 v196, v218, v12, v196 op_sel:[0,1,0] op_sel_hi:[0,1,0]
	v_mul_f32_e32 v17, v167, v150
	v_fma_mix_f32 v7, v9, v12, v7 op_sel_hi:[0,1,0]
	v_mul_f32_e32 v9, v228, v150
	v_fma_mix_f32 v8, v8, v12, v160 op_sel_hi:[0,1,0]
	v_mul_f32_e32 v12, v199, v155
	v_mul_f32_e32 v15, v15, v150
	v_fma_f32 v17, v161, v149, -v17
	v_fma_f32 v9, v166, v149, -v9
	v_mul_f32_e32 v166, v178, v150
	v_fma_f32 v12, v159, v156, -v12
	v_mul_f32_e32 v159, v200, v151
	v_mul_f32_e32 v160, v212, v153
	;; [unrolled: 1-line block ×3, first 2 shown]
	v_fma_f32 v166, v174, v149, -v166
	v_mul_f32_e32 v174, v187, v150
	v_fma_f32 v8, v8, v149, -v15
	v_mul_f32_e32 v15, v173, v151
	v_fma_f32 v159, v162, v152, -v159
	v_fma_f32 v160, v163, v154, -v160
	;; [unrolled: 1-line block ×3, first 2 shown]
	v_mul_f32_e32 v174, v188, v151
	v_fma_f32 v161, v165, v156, -v161
	v_mul_f32_e32 v162, v172, v150
	v_mul_f32_e32 v163, v208, v151
	;; [unrolled: 1-line block ×3, first 2 shown]
	v_fma_f32 v18, v18, v152, -v174
	v_mul_f32_e32 v174, v189, v153
	v_fma_f32 v5, v5, v152, -v15
	v_mul_f32_e32 v15, v196, v153
	v_mul_f32_e32 v10, v229, v151
	;; [unrolled: 1-line block ×3, first 2 shown]
	v_fma_f32 v16, v16, v154, -v174
	v_mul_f32_e32 v174, v193, v150
	v_fma_f32 v162, v168, v149, -v162
	v_fma_f32 v163, v169, v152, -v163
	;; [unrolled: 1-line block ×3, first 2 shown]
	v_mul_f32_e32 v167, v204, v151
	v_fma_f32 v20, v20, v149, -v174
	v_mul_f32_e32 v174, v194, v151
	v_mul_f32_e32 v168, v205, v153
	;; [unrolled: 1-line block ×5, first 2 shown]
	v_fma_f32 v13, v13, v152, -v174
	v_mul_f32_e32 v174, v195, v153
	v_fma_f32 v6, v6, v154, -v15
	v_mul_f32_e32 v15, v198, v155
	v_fma_f32 v10, v191, v152, -v10
	v_fma_f32 v11, v217, v154, -v11
	;; [unrolled: 1-line block ×9, first 2 shown]
	v_add_f32_e32 v84, v84, v9
	v_add_f32_e32 v76, v76, v10
	;; [unrolled: 1-line block ×27, first 2 shown]
	s_cbranch_vccnz .LBB173_6
; %bb.7:                                ;   in Loop: Header=BB173_5 Depth=1
	v_add_nc_u32_e32 v17, s0, v96
	v_add_nc_u32_e32 v15, 4, v148
	s_barrier
	buffer_gl0_inv
	v_add_nc_u32_e32 v5, v17, v88
	v_add_nc_u32_e32 v7, v17, v89
	;; [unrolled: 1-line block ×5, first 2 shown]
	v_mad_u64_u32 v[15:16], null, v15, 36, s[2:3]
	v_mad_i64_i32 v[5:6], null, v5, 36, v[3:4]
	v_add_nc_u32_e32 v18, v17, v93
	v_mad_i64_i32 v[7:8], null, v7, 36, v[3:4]
	v_add_nc_u32_e32 v19, v17, v94
	;; [unrolled: 2-line block ×3, first 2 shown]
	v_mad_i64_i32 v[11:12], null, v11, 36, v[3:4]
	v_mad_i64_i32 v[13:14], null, v13, 36, v[3:4]
	;; [unrolled: 1-line block ×5, first 2 shown]
	s_clause 0x8
	global_load_dword v15, v[15:16], off
	global_load_dword v5, v[5:6], off offset:4
	global_load_dword v6, v[7:8], off offset:4
	;; [unrolled: 1-line block ×8, first 2 shown]
	s_mov_b32 s0, 16
	s_waitcnt vmcnt(8)
	ds_write_b32 v86, v15
	s_waitcnt vmcnt(7)
	ds_write_b32 v116, v5
	;; [unrolled: 2-line block ×9, first 2 shown]
	s_waitcnt lgkmcnt(0)
	s_barrier
	buffer_gl0_inv
	ds_read_b32 v5, v99
	ds_read_b32 v6, v100 offset:128
	ds_read_b32 v7, v101 offset:256
	;; [unrolled: 1-line block ×3, first 2 shown]
	s_waitcnt lgkmcnt(3)
	v_cvt_f32_f16_e32 v148, v5
	v_cvt_f32_f16_sdwa v149, v5 dst_sel:DWORD dst_unused:UNUSED_PAD src0_sel:WORD_1
	s_waitcnt lgkmcnt(2)
	v_cvt_f32_f16_sdwa v150, v6 dst_sel:DWORD dst_unused:UNUSED_PAD src0_sel:WORD_1
	v_cvt_f32_f16_e32 v151, v6
	s_waitcnt lgkmcnt(1)
	v_cvt_f32_f16_sdwa v152, v7 dst_sel:DWORD dst_unused:UNUSED_PAD src0_sel:WORD_1
	v_cvt_f32_f16_e32 v153, v7
	;; [unrolled: 3-line block ×3, first 2 shown]
.LBB173_8:                              ;   Parent Loop BB173_5 Depth=1
                                        ; =>  This Inner Loop Header: Depth=2
	s_lshl_b32 s1, s0, 1
	s_lshl_b32 s14, s0, 3
	s_and_b32 s1, s1, 16
	v_add_nc_u32_e32 v159, s14, v110
	v_or_b32_e32 v157, s1, v52
	v_add_nc_u32_e32 v162, s14, v111
	v_add_nc_u32_e32 v164, s14, v112
	v_add_nc_u32_e32 v167, s14, v113
	v_mov_b32_e32 v156, 0
	v_lshlrev_b32_e32 v160, 2, v157
	v_mov_b32_e32 v158, 0
	v_mov_b32_e32 v161, 0
	;; [unrolled: 1-line block ×3, first 2 shown]
	ds_read2_b32 v[5:6], v159 offset1:1
	ds_read_b128 v[168:171], v160 offset:33280
	ds_read2_b32 v[7:8], v162 offset1:1
	ds_read2_b32 v[9:10], v164 offset1:1
	ds_read2_b32 v[15:16], v162 offset0:2 offset1:3
	ds_read2_b32 v[13:14], v159 offset0:2 offset1:3
	ds_read2_b32 v[11:12], v167 offset1:1
	ds_read2_b32 v[19:20], v167 offset0:2 offset1:3
	ds_read2_b32 v[17:18], v164 offset0:2 offset1:3
	v_or_b32_e32 v166, s1, v103
	v_mov_b32_e32 v165, 0
	v_mov_b32_e32 v176, 0
	;; [unrolled: 1-line block ×11, first 2 shown]
	s_waitcnt lgkmcnt(7)
	v_dot4c_i32_i8 v156, v5, v168
	s_waitcnt lgkmcnt(6)
	v_dot4c_i32_i8 v158, v7, v168
	;; [unrolled: 2-line block ×3, first 2 shown]
	v_mov_b32_e32 v232, 0
	v_mov_b32_e32 v231, 0
	s_waitcnt lgkmcnt(2)
	v_dot4c_i32_i8 v163, v11, v168
	v_dot4c_i32_i8 v156, v6, v169
	;; [unrolled: 1-line block ×4, first 2 shown]
	v_mov_b32_e32 v168, 0
	v_dot4c_i32_i8 v163, v12, v169
	v_dot4c_i32_i8 v156, v13, v170
	;; [unrolled: 1-line block ×3, first 2 shown]
	s_waitcnt lgkmcnt(0)
	v_dot4c_i32_i8 v161, v17, v170
	v_mov_b32_e32 v169, 0
	v_dot4c_i32_i8 v163, v19, v170
	v_lshlrev_b32_e32 v170, 2, v166
	v_dot4c_i32_i8 v156, v14, v171
	v_dot4c_i32_i8 v158, v16, v171
	;; [unrolled: 1-line block ×4, first 2 shown]
	ds_read_b128 v[172:175], v170 offset:33280
	v_mov_b32_e32 v171, 0
	v_mov_b32_e32 v230, 0
	;; [unrolled: 1-line block ×19, first 2 shown]
	s_waitcnt lgkmcnt(0)
	v_dot4c_i32_i8 v165, v5, v172
	v_dot4c_i32_i8 v168, v7, v172
	;; [unrolled: 1-line block ×4, first 2 shown]
	v_mov_b32_e32 v172, 0
	v_dot4c_i32_i8 v165, v6, v173
	v_dot4c_i32_i8 v168, v8, v173
	;; [unrolled: 1-line block ×4, first 2 shown]
	v_or_b32_e32 v173, s1, v104
	v_dot4c_i32_i8 v165, v13, v174
	v_dot4c_i32_i8 v168, v15, v174
	;; [unrolled: 1-line block ×4, first 2 shown]
	v_lshlrev_b32_e32 v177, 2, v173
	v_dot4c_i32_i8 v165, v14, v175
	v_dot4c_i32_i8 v168, v16, v175
	;; [unrolled: 1-line block ×4, first 2 shown]
	ds_read_b128 v[178:181], v177 offset:33280
	v_mov_b32_e32 v174, 0
	v_mov_b32_e32 v175, 0
	;; [unrolled: 1-line block ×3, first 2 shown]
	s_waitcnt lgkmcnt(0)
	v_dot4c_i32_i8 v172, v5, v178
	v_dot4c_i32_i8 v174, v7, v178
	v_dot4c_i32_i8 v175, v9, v178
	v_dot4c_i32_i8 v176, v11, v178
	v_mov_b32_e32 v178, 0
	v_dot4c_i32_i8 v172, v6, v179
	v_dot4c_i32_i8 v174, v8, v179
	v_dot4c_i32_i8 v175, v10, v179
	v_dot4c_i32_i8 v176, v12, v179
	v_or_b32_e32 v179, s1, v105
	v_dot4c_i32_i8 v172, v13, v180
	v_dot4c_i32_i8 v174, v15, v180
	v_dot4c_i32_i8 v175, v17, v180
	v_dot4c_i32_i8 v176, v19, v180
	v_lshlrev_b32_e32 v183, 2, v179
	v_dot4c_i32_i8 v172, v14, v181
	v_dot4c_i32_i8 v174, v16, v181
	v_dot4c_i32_i8 v175, v18, v181
	v_dot4c_i32_i8 v176, v20, v181
	ds_read_b128 v[184:187], v183 offset:33280
	v_mov_b32_e32 v180, 0
	v_mov_b32_e32 v181, 0
	s_waitcnt lgkmcnt(0)
	v_dot4c_i32_i8 v178, v5, v184
	v_dot4c_i32_i8 v180, v7, v184
	v_dot4c_i32_i8 v181, v9, v184
	v_dot4c_i32_i8 v182, v11, v184
	v_mov_b32_e32 v184, 0
	v_dot4c_i32_i8 v178, v6, v185
	v_dot4c_i32_i8 v180, v8, v185
	v_dot4c_i32_i8 v181, v10, v185
	v_dot4c_i32_i8 v182, v12, v185
	v_or_b32_e32 v185, s1, v106
	v_dot4c_i32_i8 v178, v13, v186
	v_dot4c_i32_i8 v180, v15, v186
	v_dot4c_i32_i8 v181, v17, v186
	v_dot4c_i32_i8 v182, v19, v186
	v_lshlrev_b32_e32 v189, 2, v185
	v_dot4c_i32_i8 v178, v14, v187
	v_dot4c_i32_i8 v180, v16, v187
	v_dot4c_i32_i8 v181, v18, v187
	v_dot4c_i32_i8 v182, v20, v187
	ds_read_b128 v[190:193], v189 offset:33280
	v_mov_b32_e32 v186, 0
	v_mov_b32_e32 v187, 0
	;; [unrolled: 23-line block ×4, first 2 shown]
	s_waitcnt lgkmcnt(0)
	v_dot4c_i32_i8 v196, v5, v206
	v_dot4c_i32_i8 v199, v7, v206
	;; [unrolled: 1-line block ×4, first 2 shown]
	v_or_b32_e32 v206, s1, v109
	v_dot4c_i32_i8 v196, v6, v207
	v_dot4c_i32_i8 v199, v8, v207
	;; [unrolled: 1-line block ×4, first 2 shown]
	v_lshlrev_b32_e32 v207, 2, v206
	v_dot4c_i32_i8 v196, v13, v208
	v_dot4c_i32_i8 v199, v15, v208
	v_dot4c_i32_i8 v201, v17, v208
	v_dot4c_i32_i8 v203, v19, v208
	s_lshr_b32 s1, s0, 2
	v_dot4c_i32_i8 v196, v14, v209
	v_dot4c_i32_i8 v199, v16, v209
	;; [unrolled: 1-line block ×4, first 2 shown]
	ds_read_b128 v[208:211], v207 offset:33280
	s_and_b32 s1, s1, 0x3ffffffe
	s_add_i32 s1, s1, 0xa200
	s_waitcnt lgkmcnt(0)
	v_dot4c_i32_i8 v198, v5, v208
	v_dot4c_i32_i8 v200, v7, v208
	v_dot4c_i32_i8 v202, v9, v208
	v_dot4c_i32_i8 v204, v11, v208
	v_mov_b32_e32 v208, 0
	v_dot4c_i32_i8 v198, v6, v209
	v_dot4c_i32_i8 v200, v8, v209
	v_dot4c_i32_i8 v202, v10, v209
	v_dot4c_i32_i8 v204, v12, v209
	v_mov_b32_e32 v209, 0
	;; [unrolled: 5-line block ×3, first 2 shown]
	v_dot4c_i32_i8 v198, v14, v211
	v_dot4c_i32_i8 v200, v16, v211
	ds_read2_b32 v[238:239], v159 offset0:8 offset1:9
	ds_read_b128 v[13:16], v160 offset:33312
	ds_read2_b32 v[240:241], v162 offset0:8 offset1:9
	ds_read2_b32 v[242:243], v164 offset0:8 offset1:9
	;; [unrolled: 1-line block ×5, first 2 shown]
	ds_read_b128 v[234:237], v207 offset:33312
	ds_read2_b32 v[5:6], v167 offset0:10 offset1:11
	v_dot4c_i32_i8 v202, v18, v211
	v_dot4c_i32_i8 v204, v20, v211
	v_mov_b32_e32 v211, 0
	v_mov_b32_e32 v20, 0
	;; [unrolled: 1-line block ×3, first 2 shown]
	s_waitcnt lgkmcnt(7)
	v_dot4c_i32_i8 v233, v238, v13
	s_waitcnt lgkmcnt(6)
	v_dot4c_i32_i8 v232, v240, v13
	;; [unrolled: 2-line block ×4, first 2 shown]
	v_dot4c_i32_i8 v233, v239, v14
	v_dot4c_i32_i8 v232, v241, v14
	;; [unrolled: 1-line block ×4, first 2 shown]
	ds_read2_b32 v[13:14], v164 offset0:10 offset1:11
	v_dot4c_i32_i8 v233, v9, v15
	v_dot4c_i32_i8 v232, v11, v15
	s_waitcnt lgkmcnt(1)
	v_dot4c_i32_i8 v230, v5, v15
	v_dot4c_i32_i8 v233, v10, v16
	;; [unrolled: 1-line block ×4, first 2 shown]
	s_waitcnt lgkmcnt(0)
	v_dot4c_i32_i8 v231, v13, v15
	v_dot4c_i32_i8 v231, v14, v16
	ds_read_b128 v[15:18], v170 offset:33312
	s_waitcnt lgkmcnt(0)
	v_dot4c_i32_i8 v229, v238, v15
	v_dot4c_i32_i8 v228, v240, v15
	v_dot4c_i32_i8 v227, v242, v15
	v_dot4c_i32_i8 v226, v7, v15
	v_dot4c_i32_i8 v229, v239, v16
	v_dot4c_i32_i8 v228, v241, v16
	v_dot4c_i32_i8 v227, v243, v16
	v_dot4c_i32_i8 v226, v8, v16
	v_dot4c_i32_i8 v229, v9, v17
	v_dot4c_i32_i8 v228, v11, v17
	v_dot4c_i32_i8 v227, v13, v17
	v_dot4c_i32_i8 v226, v5, v17
	v_dot4c_i32_i8 v229, v10, v18
	v_dot4c_i32_i8 v228, v12, v18
	v_dot4c_i32_i8 v227, v14, v18
	v_dot4c_i32_i8 v226, v6, v18
	ds_read_b128 v[15:18], v177 offset:33312
	s_waitcnt lgkmcnt(0)
	v_dot4c_i32_i8 v225, v238, v15
	v_dot4c_i32_i8 v224, v240, v15
	v_dot4c_i32_i8 v223, v242, v15
	v_dot4c_i32_i8 v222, v7, v15
	v_dot4c_i32_i8 v225, v239, v16
	v_dot4c_i32_i8 v224, v241, v16
	v_dot4c_i32_i8 v223, v243, v16
	v_dot4c_i32_i8 v222, v8, v16
	v_dot4c_i32_i8 v225, v9, v17
	v_dot4c_i32_i8 v224, v11, v17
	v_dot4c_i32_i8 v223, v13, v17
	v_dot4c_i32_i8 v222, v5, v17
	v_dot4c_i32_i8 v225, v10, v18
	v_dot4c_i32_i8 v224, v12, v18
	;; [unrolled: 18-line block ×5, first 2 shown]
	v_dot4c_i32_i8 v211, v14, v18
	v_dot4c_i32_i8 v210, v6, v18
	ds_read_b128 v[15:18], v205 offset:33312
	s_waitcnt lgkmcnt(0)
	v_dot4c_i32_i8 v209, v238, v15
	v_dot4c_i32_i8 v208, v240, v15
	v_dot4c_i32_i8 v20, v242, v15
	v_dot4c_i32_i8 v19, v7, v15
	v_mov_b32_e32 v15, 0
	v_dot4c_i32_i8 v209, v239, v16
	v_dot4c_i32_i8 v208, v241, v16
	v_dot4c_i32_i8 v20, v243, v16
	v_dot4c_i32_i8 v19, v8, v16
	v_mov_b32_e32 v16, 0
	v_dot4c_i32_i8 v209, v9, v17
	v_dot4c_i32_i8 v208, v11, v17
	v_dot4c_i32_i8 v20, v13, v17
	v_dot4c_i32_i8 v19, v5, v17
	v_mov_b32_e32 v17, 0
	v_dot4c_i32_i8 v209, v10, v18
	v_dot4c_i32_i8 v208, v12, v18
	v_dot4c_i32_i8 v20, v14, v18
	v_dot4c_i32_i8 v19, v6, v18
	v_mov_b32_e32 v18, 0
	v_dot4c_i32_i8 v15, v238, v234
	v_dot4c_i32_i8 v16, v240, v234
	v_dot4c_i32_i8 v17, v242, v234
	v_dot4c_i32_i8 v18, v7, v234
	v_dot4c_i32_i8 v15, v239, v235
	v_dot4c_i32_i8 v16, v241, v235
	v_dot4c_i32_i8 v17, v243, v235
	v_dot4c_i32_i8 v18, v8, v235
	v_dot4c_i32_i8 v15, v9, v236
	v_dot4c_i32_i8 v16, v11, v236
	v_dot4c_i32_i8 v17, v13, v236
	v_dot4c_i32_i8 v18, v5, v236
	v_dot4c_i32_i8 v15, v10, v237
	v_dot4c_i32_i8 v16, v12, v237
	v_dot4c_i32_i8 v17, v14, v237
	v_dot4c_i32_i8 v18, v6, v237
	ds_read2_b32 v[9:10], v159 offset0:4 offset1:5
	ds_read_b128 v[5:8], v160 offset:33296
	ds_read2_b32 v[11:12], v162 offset0:4 offset1:5
	ds_read2_b32 v[13:14], v164 offset0:4 offset1:5
	;; [unrolled: 1-line block ×7, first 2 shown]
	s_waitcnt lgkmcnt(7)
	v_dot4c_i32_i8 v156, v9, v5
	s_waitcnt lgkmcnt(6)
	v_dot4c_i32_i8 v158, v11, v5
	;; [unrolled: 2-line block ×4, first 2 shown]
	v_dot4c_i32_i8 v156, v10, v6
	v_dot4c_i32_i8 v158, v12, v6
	;; [unrolled: 1-line block ×6, first 2 shown]
	s_waitcnt lgkmcnt(0)
	v_dot4c_i32_i8 v161, v240, v7
	v_dot4c_i32_i8 v163, v242, v7
	v_dot4c_i32_i8 v156, v237, v8
	v_dot4c_i32_i8 v158, v239, v8
	v_dot4c_i32_i8 v161, v241, v8
	v_dot4c_i32_i8 v163, v243, v8
	ds_read_b128 v[5:8], v170 offset:33296
	s_waitcnt lgkmcnt(0)
	v_dot4c_i32_i8 v165, v9, v5
	v_dot4c_i32_i8 v168, v11, v5
	v_dot4c_i32_i8 v169, v13, v5
	v_dot4c_i32_i8 v171, v234, v5
	v_dot4c_i32_i8 v165, v10, v6
	v_dot4c_i32_i8 v168, v12, v6
	v_dot4c_i32_i8 v169, v14, v6
	v_dot4c_i32_i8 v171, v235, v6
	v_dot4c_i32_i8 v165, v236, v7
	v_dot4c_i32_i8 v168, v238, v7
	v_dot4c_i32_i8 v169, v240, v7
	v_dot4c_i32_i8 v171, v242, v7
	v_dot4c_i32_i8 v165, v237, v8
	v_dot4c_i32_i8 v168, v239, v8
	v_dot4c_i32_i8 v169, v241, v8
	v_dot4c_i32_i8 v171, v243, v8
	ds_read_b128 v[5:8], v177 offset:33296
	s_waitcnt lgkmcnt(0)
	v_dot4c_i32_i8 v172, v9, v5
	v_dot4c_i32_i8 v174, v11, v5
	v_dot4c_i32_i8 v175, v13, v5
	v_dot4c_i32_i8 v176, v234, v5
	v_dot4c_i32_i8 v172, v10, v6
	v_dot4c_i32_i8 v174, v12, v6
	v_dot4c_i32_i8 v175, v14, v6
	v_dot4c_i32_i8 v176, v235, v6
	v_dot4c_i32_i8 v172, v236, v7
	v_dot4c_i32_i8 v174, v238, v7
	;; [unrolled: 18-line block ×7, first 2 shown]
	v_dot4c_i32_i8 v202, v240, v7
	v_dot4c_i32_i8 v204, v242, v7
	;; [unrolled: 1-line block ×6, first 2 shown]
	ds_read2_b32 v[9:10], v159 offset0:12 offset1:13
	ds_read_b128 v[5:8], v160 offset:33328
	ds_read2_b32 v[11:12], v162 offset0:12 offset1:13
	ds_read2_b32 v[13:14], v164 offset0:12 offset1:13
	ds_read2_b32 v[236:237], v162 offset0:14 offset1:15
	ds_read2_b32 v[159:160], v159 offset0:14 offset1:15
	ds_read2_b32 v[234:235], v167 offset0:12 offset1:13
	ds_read2_b32 v[240:241], v167 offset0:14 offset1:15
	ds_read2_b32 v[238:239], v164 offset0:14 offset1:15
	s_waitcnt lgkmcnt(7)
	v_dot4c_i32_i8 v233, v9, v5
	s_waitcnt lgkmcnt(6)
	v_dot4c_i32_i8 v232, v11, v5
	;; [unrolled: 2-line block ×4, first 2 shown]
	v_dot4c_i32_i8 v233, v10, v6
	v_dot4c_i32_i8 v232, v12, v6
	;; [unrolled: 1-line block ×6, first 2 shown]
	s_waitcnt lgkmcnt(0)
	v_dot4c_i32_i8 v231, v238, v7
	v_dot4c_i32_i8 v230, v240, v7
	v_dot4c_i32_i8 v233, v160, v8
	v_dot4c_i32_i8 v232, v237, v8
	v_dot4c_i32_i8 v231, v239, v8
	v_dot4c_i32_i8 v230, v241, v8
	ds_read_b128 v[5:8], v170 offset:33328
	s_waitcnt lgkmcnt(0)
	v_dot4c_i32_i8 v229, v9, v5
	v_dot4c_i32_i8 v228, v11, v5
	v_dot4c_i32_i8 v227, v13, v5
	v_dot4c_i32_i8 v226, v234, v5
	v_dot4c_i32_i8 v229, v10, v6
	v_dot4c_i32_i8 v228, v12, v6
	v_dot4c_i32_i8 v227, v14, v6
	v_dot4c_i32_i8 v226, v235, v6
	v_dot4c_i32_i8 v229, v159, v7
	v_dot4c_i32_i8 v228, v236, v7
	v_dot4c_i32_i8 v227, v238, v7
	v_dot4c_i32_i8 v226, v240, v7
	v_dot4c_i32_i8 v229, v160, v8
	v_dot4c_i32_i8 v228, v237, v8
	v_dot4c_i32_i8 v227, v239, v8
	v_dot4c_i32_i8 v226, v241, v8
	ds_read_b128 v[5:8], v177 offset:33328
	s_waitcnt lgkmcnt(0)
	v_dot4c_i32_i8 v225, v9, v5
	v_dot4c_i32_i8 v224, v11, v5
	v_dot4c_i32_i8 v223, v13, v5
	v_dot4c_i32_i8 v222, v234, v5
	v_dot4c_i32_i8 v225, v10, v6
	v_dot4c_i32_i8 v224, v12, v6
	v_dot4c_i32_i8 v223, v14, v6
	v_dot4c_i32_i8 v222, v235, v6
	v_dot4c_i32_i8 v225, v159, v7
	v_dot4c_i32_i8 v224, v236, v7
	v_dot4c_i32_i8 v223, v238, v7
	v_dot4c_i32_i8 v222, v240, v7
	v_dot4c_i32_i8 v225, v160, v8
	v_dot4c_i32_i8 v224, v237, v8
	v_dot4c_i32_i8 v223, v239, v8
	v_dot4c_i32_i8 v222, v241, v8
	ds_read_b128 v[5:8], v183 offset:33328
	s_waitcnt lgkmcnt(0)
	v_dot4c_i32_i8 v221, v9, v5
	v_dot4c_i32_i8 v220, v11, v5
	v_dot4c_i32_i8 v219, v13, v5
	v_dot4c_i32_i8 v218, v234, v5
	v_dot4c_i32_i8 v221, v10, v6
	v_dot4c_i32_i8 v220, v12, v6
	v_dot4c_i32_i8 v219, v14, v6
	v_dot4c_i32_i8 v218, v235, v6
	v_dot4c_i32_i8 v221, v159, v7
	v_dot4c_i32_i8 v220, v236, v7
	v_dot4c_i32_i8 v219, v238, v7
	v_dot4c_i32_i8 v218, v240, v7
	v_dot4c_i32_i8 v221, v160, v8
	v_dot4c_i32_i8 v220, v237, v8
	v_dot4c_i32_i8 v219, v239, v8
	v_dot4c_i32_i8 v218, v241, v8
	ds_read_b128 v[5:8], v189 offset:33328
	s_waitcnt lgkmcnt(0)
	v_dot4c_i32_i8 v217, v9, v5
	v_dot4c_i32_i8 v216, v11, v5
	v_dot4c_i32_i8 v215, v13, v5
	v_dot4c_i32_i8 v214, v234, v5
	v_dot4c_i32_i8 v217, v10, v6
	v_dot4c_i32_i8 v216, v12, v6
	v_dot4c_i32_i8 v215, v14, v6
	v_dot4c_i32_i8 v214, v235, v6
	v_dot4c_i32_i8 v217, v159, v7
	v_dot4c_i32_i8 v216, v236, v7
	v_dot4c_i32_i8 v215, v238, v7
	v_dot4c_i32_i8 v214, v240, v7
	v_dot4c_i32_i8 v217, v160, v8
	v_dot4c_i32_i8 v216, v237, v8
	v_dot4c_i32_i8 v215, v239, v8
	v_dot4c_i32_i8 v214, v241, v8
	ds_read_b128 v[5:8], v195 offset:33328
	s_waitcnt lgkmcnt(0)
	v_dot4c_i32_i8 v213, v9, v5
	v_dot4c_i32_i8 v212, v11, v5
	v_dot4c_i32_i8 v211, v13, v5
	v_dot4c_i32_i8 v210, v234, v5
	v_dot4c_i32_i8 v213, v10, v6
	v_dot4c_i32_i8 v212, v12, v6
	v_dot4c_i32_i8 v211, v14, v6
	v_dot4c_i32_i8 v210, v235, v6
	v_dot4c_i32_i8 v213, v159, v7
	v_dot4c_i32_i8 v212, v236, v7
	v_dot4c_i32_i8 v211, v238, v7
	v_dot4c_i32_i8 v210, v240, v7
	v_dot4c_i32_i8 v213, v160, v8
	v_dot4c_i32_i8 v212, v237, v8
	v_dot4c_i32_i8 v211, v239, v8
	v_dot4c_i32_i8 v210, v241, v8
	ds_read_b128 v[5:8], v205 offset:33328
	s_waitcnt lgkmcnt(0)
	v_dot4c_i32_i8 v209, v9, v5
	v_dot4c_i32_i8 v208, v11, v5
	v_dot4c_i32_i8 v20, v13, v5
	v_dot4c_i32_i8 v19, v234, v5
	v_dot4c_i32_i8 v209, v10, v6
	v_dot4c_i32_i8 v208, v12, v6
	v_dot4c_i32_i8 v20, v14, v6
	v_dot4c_i32_i8 v19, v235, v6
	v_dot4c_i32_i8 v209, v159, v7
	v_dot4c_i32_i8 v208, v236, v7
	v_dot4c_i32_i8 v20, v238, v7
	v_dot4c_i32_i8 v19, v240, v7
	;; [unrolled: 1-line block ×6, first 2 shown]
	ds_read_b128 v[5:8], v207 offset:33328
	s_waitcnt lgkmcnt(0)
	v_dot4c_i32_i8 v15, v9, v5
	v_dot4c_i32_i8 v16, v11, v5
	;; [unrolled: 1-line block ×4, first 2 shown]
	v_lshrrev_b32_e32 v5, 1, v157
	v_dot4c_i32_i8 v15, v10, v6
	v_dot4c_i32_i8 v16, v12, v6
	;; [unrolled: 1-line block ×12, first 2 shown]
	v_add3_u32 v8, s1, v143, v144
	ds_read_u16 v6, v8
	s_waitcnt lgkmcnt(0)
	v_and_b32_sdwa v9, v139, v6 dst_sel:DWORD dst_unused:UNUSED_PAD src0_sel:DWORD src1_sel:BYTE_1
	v_and_b32_e32 v10, 0xff, v6
	v_mul_lo_u32 v6, v233, v9
	v_mul_lo_u32 v7, v156, v10
	v_cvt_f32_i32_e32 v11, v6
	v_cvt_f32_i32_e32 v12, v7
	ds_read_b64 v[6:7], v5 offset:43584
	s_waitcnt lgkmcnt(0)
	v_fma_mix_f32 v5, v6, v12, 0 op_sel_hi:[1,0,0]
	v_fma_mix_f32 v5, v7, v11, v5 op_sel_hi:[1,0,0]
	v_add3_u32 v11, s1, v145, v140
	ds_read_u16 v12, v11
	s_waitcnt lgkmcnt(0)
	v_and_b32_e32 v13, 0xff, v12
	v_and_b32_sdwa v12, v139, v12 dst_sel:DWORD dst_unused:UNUSED_PAD src0_sel:DWORD src1_sel:BYTE_1
	v_mul_lo_u32 v14, v158, v13
	v_mul_lo_u32 v156, v232, v12
	v_cvt_f32_i32_e32 v14, v14
	v_cvt_f32_i32_e32 v156, v156
	v_fma_mix_f32 v14, v6, v14, 0 op_sel_hi:[1,0,0]
	v_fma_mix_f32 v14, v7, v156, v14 op_sel_hi:[1,0,0]
	v_add3_u32 v156, s1, v146, v141
	ds_read_u16 v157, v156
	s_waitcnt lgkmcnt(0)
	v_and_b32_e32 v158, 0xff, v157
	v_and_b32_sdwa v157, v139, v157 dst_sel:DWORD dst_unused:UNUSED_PAD src0_sel:DWORD src1_sel:BYTE_1
	v_mul_lo_u32 v159, v161, v158
	v_mul_lo_u32 v160, v231, v157
	;; [unrolled: 1-line block ×3, first 2 shown]
	v_cvt_f32_i32_e32 v159, v159
	v_cvt_f32_i32_e32 v160, v160
	;; [unrolled: 1-line block ×3, first 2 shown]
	v_fma_mix_f32 v159, v6, v159, 0 op_sel_hi:[1,0,0]
	v_fma_mix_f32 v159, v7, v160, v159 op_sel_hi:[1,0,0]
	v_add3_u32 v160, s1, v147, v142
	s_add_i32 s1, s0, 8
	s_cmp_lt_u32 s0, 24
	s_mov_b32 s0, s1
	ds_read_u16 v161, v160
	ds_read_u16 v8, v8 offset:8
	ds_read_u16 v11, v11 offset:8
	;; [unrolled: 1-line block ×4, first 2 shown]
	s_waitcnt lgkmcnt(2)
	v_cvt_f32_ubyte0_e32 v167, v11
	v_and_b32_e32 v162, 0xff, v161
	v_and_b32_sdwa v161, v139, v161 dst_sel:DWORD dst_unused:UNUSED_PAD src0_sel:DWORD src1_sel:BYTE_1
	s_waitcnt lgkmcnt(1)
	v_cvt_f32_ubyte0_e32 v170, v156
	s_waitcnt lgkmcnt(0)
	v_cvt_f32_ubyte0_e32 v177, v160
	v_cvt_f32_ubyte1_e32 v11, v11
	v_mul_lo_u32 v163, v163, v162
	v_mul_lo_u32 v164, v230, v161
	v_cvt_f32_ubyte1_e32 v156, v156
	v_cvt_f32_ubyte1_e32 v160, v160
	v_fma_mix_f32 v189, v6, v167, 0 op_sel:[1,0,0] op_sel_hi:[1,0,0]
	v_fma_mix_f32 v195, v6, v170, 0 op_sel:[1,0,0] op_sel_hi:[1,0,0]
	v_mul_lo_u32 v19, v19, v161
	v_mul_lo_u32 v18, v18, v161
	v_cvt_f32_i32_e32 v163, v163
	v_cvt_f32_i32_e32 v164, v164
	v_fma_mix_f32 v189, v7, v11, v189 op_sel:[1,0,0] op_sel_hi:[1,0,0]
	v_fma_mix_f32 v195, v7, v156, v195 op_sel:[1,0,0] op_sel_hi:[1,0,0]
	v_fma_mix_f32 v163, v6, v163, 0 op_sel_hi:[1,0,0]
	v_cvt_f32_i32_e32 v19, v19
	v_fma_mix_f32 v163, v7, v164, v163 op_sel_hi:[1,0,0]
	v_cvt_f32_ubyte0_e32 v164, v8
	v_cvt_f32_ubyte1_e32 v8, v8
	v_fma_mix_f32 v183, v6, v164, 0 op_sel:[1,0,0] op_sel_hi:[1,0,0]
	v_fma_mix_f32 v6, v6, v177, 0 op_sel:[1,0,0] op_sel_hi:[1,0,0]
	v_fma_mix_f32 v183, v7, v8, v183 op_sel:[1,0,0] op_sel_hi:[1,0,0]
	v_fma_mix_f32 v205, v7, v160, v6 op_sel:[1,0,0] op_sel_hi:[1,0,0]
	v_mul_lo_u32 v7, v165, v10
	v_lshrrev_b32_e32 v6, 1, v166
	v_mul_lo_u32 v165, v229, v9
	v_cvt_f32_i32_e32 v166, v7
	ds_read_b64 v[6:7], v6 offset:43584
	v_cvt_f32_i32_e32 v165, v165
	s_waitcnt lgkmcnt(0)
	v_fma_mix_f32 v166, v166, v6, 0 op_sel_hi:[0,1,0]
	v_fma_mix_f32 v207, v167, v6, 0 op_sel:[0,1,0] op_sel_hi:[0,1,0]
	v_fma_mix_f32 v165, v165, v7, v166 op_sel_hi:[0,1,0]
	v_mul_lo_u32 v166, v168, v13
	v_mul_lo_u32 v168, v228, v12
	v_fma_mix_f32 v207, v11, v7, v207 op_sel:[0,1,0] op_sel_hi:[0,1,0]
	v_cvt_f32_i32_e32 v166, v166
	v_cvt_f32_i32_e32 v168, v168
	v_fma_mix_f32 v166, v166, v6, 0 op_sel_hi:[0,1,0]
	v_fma_mix_f32 v166, v168, v7, v166 op_sel_hi:[0,1,0]
	v_mul_lo_u32 v168, v169, v158
	v_mul_lo_u32 v169, v227, v157
	v_cvt_f32_i32_e32 v168, v168
	v_cvt_f32_i32_e32 v169, v169
	v_fma_mix_f32 v168, v168, v6, 0 op_sel_hi:[0,1,0]
	v_fma_mix_f32 v168, v169, v7, v168 op_sel_hi:[0,1,0]
	v_mul_lo_u32 v169, v171, v162
	v_mul_lo_u32 v171, v226, v161
	v_fma_mix_f32 v226, v170, v6, 0 op_sel:[0,1,0] op_sel_hi:[0,1,0]
	v_fma_mix_f32 v226, v156, v7, v226 op_sel:[0,1,0] op_sel_hi:[0,1,0]
	v_cvt_f32_i32_e32 v169, v169
	v_cvt_f32_i32_e32 v171, v171
	v_fma_mix_f32 v169, v169, v6, 0 op_sel_hi:[0,1,0]
	v_fma_mix_f32 v169, v171, v7, v169 op_sel_hi:[0,1,0]
	v_fma_mix_f32 v171, v164, v6, 0 op_sel:[0,1,0] op_sel_hi:[0,1,0]
	v_fma_mix_f32 v6, v177, v6, 0 op_sel:[0,1,0] op_sel_hi:[0,1,0]
	v_fma_mix_f32 v171, v8, v7, v171 op_sel:[0,1,0] op_sel_hi:[0,1,0]
	v_fma_mix_f32 v227, v160, v7, v6 op_sel:[0,1,0] op_sel_hi:[0,1,0]
	v_mul_lo_u32 v7, v172, v10
	v_lshrrev_b32_e32 v6, 1, v173
	v_mul_lo_u32 v172, v225, v9
	v_cvt_f32_i32_e32 v173, v7
	ds_read_b64 v[6:7], v6 offset:43584
	v_cvt_f32_i32_e32 v172, v172
	s_waitcnt lgkmcnt(0)
	v_fma_mix_f32 v173, v173, v6, 0 op_sel_hi:[0,1,0]
	v_fma_mix_f32 v172, v172, v7, v173 op_sel_hi:[0,1,0]
	v_mul_lo_u32 v173, v174, v13
	v_mul_lo_u32 v174, v224, v12
	v_cvt_f32_i32_e32 v173, v173
	v_cvt_f32_i32_e32 v174, v174
	v_fma_mix_f32 v173, v173, v6, 0 op_sel_hi:[0,1,0]
	v_fma_mix_f32 v173, v174, v7, v173 op_sel_hi:[0,1,0]
	v_mul_lo_u32 v174, v175, v158
	v_mul_lo_u32 v175, v223, v157
	v_fma_mix_f32 v223, v170, v6, 0 op_sel:[0,1,0] op_sel_hi:[0,1,0]
	v_fma_mix_f32 v223, v156, v7, v223 op_sel:[0,1,0] op_sel_hi:[0,1,0]
	v_cvt_f32_i32_e32 v174, v174
	v_cvt_f32_i32_e32 v175, v175
	v_fma_mix_f32 v174, v174, v6, 0 op_sel_hi:[0,1,0]
	v_fma_mix_f32 v174, v175, v7, v174 op_sel_hi:[0,1,0]
	v_mul_lo_u32 v175, v176, v162
	v_mul_lo_u32 v176, v222, v161
	v_fma_mix_f32 v222, v167, v6, 0 op_sel:[0,1,0] op_sel_hi:[0,1,0]
	v_fma_mix_f32 v222, v11, v7, v222 op_sel:[0,1,0] op_sel_hi:[0,1,0]
	v_cvt_f32_i32_e32 v175, v175
	v_cvt_f32_i32_e32 v176, v176
	v_fma_mix_f32 v175, v175, v6, 0 op_sel_hi:[0,1,0]
	v_fma_mix_f32 v175, v176, v7, v175 op_sel_hi:[0,1,0]
	v_fma_mix_f32 v176, v164, v6, 0 op_sel:[0,1,0] op_sel_hi:[0,1,0]
	v_fma_mix_f32 v6, v177, v6, 0 op_sel:[0,1,0] op_sel_hi:[0,1,0]
	v_fma_mix_f32 v176, v8, v7, v176 op_sel:[0,1,0] op_sel_hi:[0,1,0]
	v_fma_mix_f32 v224, v160, v7, v6 op_sel:[0,1,0] op_sel_hi:[0,1,0]
	v_mul_lo_u32 v7, v178, v10
	v_lshrrev_b32_e32 v6, 1, v179
	v_mul_lo_u32 v178, v221, v9
	v_cvt_f32_i32_e32 v179, v7
	ds_read_b64 v[6:7], v6 offset:43584
	v_cvt_f32_i32_e32 v178, v178
	s_waitcnt lgkmcnt(0)
	v_fma_mix_f32 v179, v179, v6, 0 op_sel_hi:[0,1,0]
	v_fma_mix_f32 v178, v178, v7, v179 op_sel_hi:[0,1,0]
	v_mul_lo_u32 v179, v180, v13
	v_mul_lo_u32 v180, v220, v12
	v_cvt_f32_i32_e32 v179, v179
	v_cvt_f32_i32_e32 v180, v180
	v_fma_mix_f32 v179, v179, v6, 0 op_sel_hi:[0,1,0]
	v_fma_mix_f32 v179, v180, v7, v179 op_sel_hi:[0,1,0]
	v_mul_lo_u32 v180, v181, v158
	v_mul_lo_u32 v181, v219, v157
	v_fma_mix_f32 v219, v170, v6, 0 op_sel:[0,1,0] op_sel_hi:[0,1,0]
	v_fma_mix_f32 v219, v156, v7, v219 op_sel:[0,1,0] op_sel_hi:[0,1,0]
	;; [unrolled: 35-line block ×4, first 2 shown]
	v_cvt_f32_i32_e32 v192, v192
	v_cvt_f32_i32_e32 v193, v193
	v_fma_mix_f32 v192, v192, v6, 0 op_sel_hi:[0,1,0]
	v_fma_mix_f32 v192, v193, v7, v192 op_sel_hi:[0,1,0]
	v_mul_lo_u32 v193, v194, v162
	v_mul_lo_u32 v194, v210, v161
	v_fma_mix_f32 v210, v167, v6, 0 op_sel:[0,1,0] op_sel_hi:[0,1,0]
	v_mul_f32_e32 v161, v224, v154
	v_fma_mix_f32 v210, v11, v7, v210 op_sel:[0,1,0] op_sel_hi:[0,1,0]
	v_cvt_f32_i32_e32 v193, v193
	v_cvt_f32_i32_e32 v194, v194
	v_fma_f32 v161, v175, v155, -v161
	v_fma_mix_f32 v193, v193, v6, 0 op_sel_hi:[0,1,0]
	v_add_f32_e32 v42, v42, v161
	v_fma_mix_f32 v193, v194, v7, v193 op_sel_hi:[0,1,0]
	v_fma_mix_f32 v194, v164, v6, 0 op_sel:[0,1,0] op_sel_hi:[0,1,0]
	v_fma_mix_f32 v6, v177, v6, 0 op_sel:[0,1,0] op_sel_hi:[0,1,0]
	;; [unrolled: 1-line block ×4, first 2 shown]
	v_mul_lo_u32 v7, v196, v10
	v_lshrrev_b32_e32 v6, 1, v197
	v_mul_lo_u32 v196, v209, v9
	v_mul_lo_u32 v10, v198, v10
	;; [unrolled: 1-line block ×4, first 2 shown]
	v_cvt_f32_i32_e32 v197, v7
	ds_read_b64 v[6:7], v6 offset:43584
	v_cvt_f32_i32_e32 v196, v196
	v_cvt_f32_i32_e32 v10, v10
	;; [unrolled: 1-line block ×3, first 2 shown]
	s_waitcnt lgkmcnt(0)
	v_fma_mix_f32 v197, v197, v6, 0 op_sel_hi:[0,1,0]
	v_fma_mix_f32 v196, v196, v7, v197 op_sel_hi:[0,1,0]
	v_mul_lo_u32 v197, v199, v13
	v_mul_lo_u32 v199, v208, v12
	;; [unrolled: 1-line block ×6, first 2 shown]
	v_mul_f32_e32 v157, v176, v149
	v_cvt_f32_i32_e32 v197, v197
	v_cvt_f32_i32_e32 v199, v199
	;; [unrolled: 1-line block ×3, first 2 shown]
	v_fma_f32 v157, v172, v148, -v157
	v_fma_mix_f32 v197, v197, v6, 0 op_sel_hi:[0,1,0]
	v_mul_f32_e32 v172, v211, v152
	v_add_f32_e32 v45, v45, v157
	v_fma_mix_f32 v197, v199, v7, v197 op_sel_hi:[0,1,0]
	v_mul_lo_u32 v199, v201, v158
	v_fma_mix_f32 v201, v167, v6, 0 op_sel:[0,1,0] op_sel_hi:[0,1,0]
	v_mul_f32_e32 v158, v222, v150
	v_fma_f32 v172, v192, v153, -v172
	v_fma_mix_f32 v201, v11, v7, v201 op_sel:[0,1,0] op_sel_hi:[0,1,0]
	v_fma_f32 v158, v173, v151, -v158
	v_cvt_f32_i32_e32 v199, v199
	v_mul_f32_e32 v173, v212, v154
	v_add_f32_e32 v30, v30, v172
	v_mul_f32_e32 v175, v201, v150
	v_add_f32_e32 v44, v44, v158
	v_fma_mix_f32 v199, v199, v6, 0 op_sel_hi:[0,1,0]
	v_fma_f32 v173, v193, v155, -v173
	v_fma_f32 v175, v197, v151, -v175
	v_fma_mix_f32 v20, v20, v7, v199 op_sel_hi:[0,1,0]
	v_mul_lo_u32 v199, v203, v162
	v_fma_mix_f32 v203, v170, v6, 0 op_sel:[0,1,0] op_sel_hi:[0,1,0]
	v_mul_f32_e32 v162, v182, v149
	v_add_f32_e32 v29, v29, v173
	v_add_f32_e32 v27, v27, v175
	v_fma_mix_f32 v203, v156, v7, v203 op_sel:[0,1,0] op_sel_hi:[0,1,0]
	v_fma_f32 v162, v178, v148, -v162
	v_cvt_f32_i32_e32 v199, v199
	v_mul_f32_e32 v176, v203, v152
	v_add_f32_e32 v40, v40, v162
	v_fma_mix_f32 v199, v199, v6, 0 op_sel_hi:[0,1,0]
	v_fma_f32 v20, v20, v153, -v176
	v_fma_mix_f32 v19, v19, v7, v199 op_sel_hi:[0,1,0]
	v_fma_mix_f32 v199, v164, v6, 0 op_sel:[0,1,0] op_sel_hi:[0,1,0]
	v_fma_mix_f32 v6, v177, v6, 0 op_sel:[0,1,0] op_sel_hi:[0,1,0]
	v_add_f32_e32 v26, v26, v20
	v_fma_mix_f32 v199, v8, v7, v199 op_sel:[0,1,0] op_sel_hi:[0,1,0]
	v_fma_mix_f32 v208, v160, v7, v6 op_sel:[0,1,0] op_sel_hi:[0,1,0]
	v_lshrrev_b32_e32 v6, 1, v206
	v_mul_f32_e32 v176, v208, v154
	ds_read_b64 v[6:7], v6 offset:43584
	v_fma_f32 v19, v19, v155, -v176
	v_add_f32_e32 v25, v25, v19
	s_waitcnt lgkmcnt(0)
	v_fma_mix_f32 v10, v10, v6, 0 op_sel_hi:[0,1,0]
	v_fma_mix_f32 v164, v164, v6, 0 op_sel:[0,1,0] op_sel_hi:[0,1,0]
	v_fma_mix_f32 v9, v9, v7, v10 op_sel_hi:[0,1,0]
	v_cvt_f32_i32_e32 v10, v13
	v_fma_mix_f32 v8, v8, v7, v164 op_sel:[0,1,0] op_sel_hi:[0,1,0]
	v_fma_mix_f32 v164, v167, v6, 0 op_sel:[0,1,0] op_sel_hi:[0,1,0]
	v_cvt_f32_i32_e32 v13, v16
	v_mul_f32_e32 v16, v207, v150
	v_fma_mix_f32 v10, v10, v6, 0 op_sel_hi:[0,1,0]
	v_mul_f32_e32 v8, v8, v149
	v_fma_mix_f32 v11, v11, v7, v164 op_sel:[0,1,0] op_sel_hi:[0,1,0]
	v_fma_mix_f32 v164, v170, v6, 0 op_sel:[0,1,0] op_sel_hi:[0,1,0]
	v_fma_f32 v16, v166, v151, -v16
	v_fma_mix_f32 v10, v12, v7, v10 op_sel_hi:[0,1,0]
	v_cvt_f32_i32_e32 v12, v15
	v_cvt_f32_i32_e32 v15, v18
	v_fma_mix_f32 v156, v156, v7, v164 op_sel:[0,1,0] op_sel_hi:[0,1,0]
	v_fma_mix_f32 v164, v177, v6, 0 op_sel:[0,1,0] op_sel_hi:[0,1,0]
	v_mul_f32_e32 v18, v227, v154
	v_fma_mix_f32 v12, v12, v6, 0 op_sel_hi:[0,1,0]
	v_fma_f32 v8, v9, v148, -v8
	v_mul_f32_e32 v9, v11, v150
	v_fma_mix_f32 v160, v160, v7, v164 op_sel:[0,1,0] op_sel_hi:[0,1,0]
	v_fma_f32 v18, v169, v155, -v18
	v_fma_mix_f32 v12, v13, v7, v12 op_sel_hi:[0,1,0]
	v_cvt_f32_i32_e32 v13, v17
	v_mul_f32_e32 v17, v226, v152
	v_mul_f32_e32 v164, v219, v152
	;; [unrolled: 1-line block ×4, first 2 shown]
	v_fma_mix_f32 v6, v13, v6, 0 op_sel_hi:[0,1,0]
	v_mul_f32_e32 v13, v195, v152
	v_fma_f32 v17, v168, v153, -v17
	v_mul_f32_e32 v168, v215, v152
	v_mul_f32_e32 v169, v216, v154
	v_fma_mix_f32 v6, v15, v7, v6 op_sel_hi:[0,1,0]
	v_mul_f32_e32 v7, v183, v149
	v_fma_f32 v13, v159, v153, -v13
	v_mul_f32_e32 v15, v171, v149
	v_mul_f32_e32 v159, v223, v152
	;; [unrolled: 1-line block ×3, first 2 shown]
	v_fma_f32 v5, v5, v148, -v7
	v_mul_f32_e32 v7, v189, v150
	v_fma_f32 v15, v165, v148, -v15
	v_fma_f32 v159, v174, v153, -v159
	v_mul_f32_e32 v165, v220, v154
	v_mul_f32_e32 v171, v210, v150
	v_fma_f32 v7, v14, v151, -v7
	v_mul_f32_e32 v14, v205, v154
	v_mul_f32_e32 v174, v199, v149
	;; [unrolled: 3-line block ×3, first 2 shown]
	v_fma_f32 v14, v163, v155, -v14
	v_mul_f32_e32 v163, v218, v150
	v_fma_f32 v164, v180, v153, -v164
	v_fma_f32 v165, v181, v155, -v165
	;; [unrolled: 1-line block ×12, first 2 shown]
	v_add_f32_e32 v84, v84, v5
	v_add_f32_e32 v76, v76, v7
	v_add_f32_e32 v64, v64, v13
	v_add_f32_e32 v57, v57, v14
	v_add_f32_e32 v55, v55, v15
	v_add_f32_e32 v53, v53, v16
	v_add_f32_e32 v51, v51, v17
	v_add_f32_e32 v48, v48, v18
	v_add_f32_e32 v43, v43, v159
	v_add_f32_e32 v39, v39, v163
	v_add_f32_e32 v38, v38, v164
	v_add_f32_e32 v37, v37, v165
	v_add_f32_e32 v36, v36, v166
	v_add_f32_e32 v35, v35, v167
	v_add_f32_e32 v34, v34, v168
	v_add_f32_e32 v33, v33, v169
	v_add_f32_e32 v32, v32, v170
	v_add_f32_e32 v31, v31, v171
	v_add_f32_e32 v28, v28, v174
	v_add_f32_e32 v24, v24, v8
	v_add_f32_e32 v23, v23, v9
	v_add_f32_e32 v22, v22, v10
	v_add_f32_e32 v21, v21, v6
	s_cbranch_scc1 .LBB173_8
; %bb.9:                                ;   in Loop: Header=BB173_5 Depth=1
	s_add_i32 s11, s11, 1
	s_cmp_eq_u32 s11, s4
	s_barrier
	buffer_gl0_inv
	s_cbranch_scc0 .LBB173_5
; %bb.10:
	v_mov_b32_e32 v2, v41
.LBB173_11:
	s_mov_b32 s0, exec_lo
	v_cmpx_gt_u32_e64 s8, v2
	s_cbranch_execz .LBB173_62
; %bb.12:
	v_add_nc_u32_e32 v0, s6, v0
	v_mul_lo_u32 v5, v2, s10
	v_cmp_gt_u32_e64 s0, s10, v0
	s_and_saveexec_b32 s1, s0
	s_cbranch_execz .LBB173_14
; %bb.13:
	v_add_nc_u32_e32 v2, v0, v5
	v_mov_b32_e32 v3, 0
	v_bfe_u32 v4, v84, 16, 1
	v_cmp_o_f32_e32 vcc_lo, v84, v84
	v_mov_b32_e32 v6, 0x7fc0
	v_lshlrev_b64 v[2:3], 1, v[2:3]
	v_add3_u32 v4, v84, v4, 0x7fff
	v_cndmask_b32_sdwa v4, v6, v4, vcc_lo dst_sel:DWORD dst_unused:UNUSED_PAD src0_sel:DWORD src1_sel:WORD_1
	s_waitcnt lgkmcnt(0)
	v_add_co_u32 v2, vcc_lo, s12, v2
	v_add_co_ci_u32_e64 v3, null, s13, v3, vcc_lo
	global_store_short v[2:3], v4, off
.LBB173_14:
	s_or_b32 exec_lo, exec_lo, s1
	v_add_nc_u32_e32 v2, 32, v0
	v_cmp_gt_u32_e64 s1, s10, v2
	s_and_saveexec_b32 s2, s1
	s_cbranch_execz .LBB173_16
; %bb.15:
	v_add_nc_u32_e32 v3, v2, v5
	v_mov_b32_e32 v4, 0
	v_bfe_u32 v6, v76, 16, 1
	v_cmp_o_f32_e32 vcc_lo, v76, v76
	v_mov_b32_e32 v7, 0x7fc0
	v_lshlrev_b64 v[3:4], 1, v[3:4]
	v_add3_u32 v6, v76, v6, 0x7fff
	v_cndmask_b32_sdwa v6, v7, v6, vcc_lo dst_sel:DWORD dst_unused:UNUSED_PAD src0_sel:DWORD src1_sel:WORD_1
	s_waitcnt lgkmcnt(0)
	v_add_co_u32 v3, vcc_lo, s12, v3
	v_add_co_ci_u32_e64 v4, null, s13, v4, vcc_lo
	global_store_short v[3:4], v6, off
.LBB173_16:
	s_or_b32 exec_lo, exec_lo, s2
	v_add_nc_u32_e32 v3, 64, v0
	;; [unrolled: 19-line block ×3, first 2 shown]
	v_cmp_gt_u32_e64 s3, s10, v4
	s_and_saveexec_b32 s4, s3
	s_cbranch_execz .LBB173_20
; %bb.19:
	v_add_nc_u32_e32 v5, v4, v5
	v_mov_b32_e32 v6, 0
	v_bfe_u32 v7, v57, 16, 1
	v_cmp_o_f32_e32 vcc_lo, v57, v57
	v_mov_b32_e32 v8, 0x7fc0
	v_lshlrev_b64 v[5:6], 1, v[5:6]
	v_add3_u32 v7, v57, v7, 0x7fff
	v_cndmask_b32_sdwa v7, v8, v7, vcc_lo dst_sel:DWORD dst_unused:UNUSED_PAD src0_sel:DWORD src1_sel:WORD_1
	s_waitcnt lgkmcnt(0)
	v_add_co_u32 v5, vcc_lo, s12, v5
	v_add_co_ci_u32_e64 v6, null, s13, v6, vcc_lo
	global_store_short v[5:6], v7, off
.LBB173_20:
	s_or_b32 exec_lo, exec_lo, s4
	v_add3_u32 v5, v1, s7, 8
	v_cmp_gt_u32_e32 vcc_lo, s8, v5
	s_and_b32 exec_lo, exec_lo, vcc_lo
	s_cbranch_execz .LBB173_62
; %bb.21:
	v_mul_lo_u32 v5, v5, s10
	s_and_saveexec_b32 s4, s0
	s_cbranch_execnz .LBB173_63
; %bb.22:
	s_or_b32 exec_lo, exec_lo, s4
	s_and_saveexec_b32 s4, s1
	s_cbranch_execnz .LBB173_64
.LBB173_23:
	s_or_b32 exec_lo, exec_lo, s4
	s_and_saveexec_b32 s4, s2
	s_cbranch_execnz .LBB173_65
.LBB173_24:
	s_or_b32 exec_lo, exec_lo, s4
	s_and_saveexec_b32 s4, s3
	s_cbranch_execz .LBB173_26
.LBB173_25:
	v_add_nc_u32_e32 v5, v5, v4
	v_mov_b32_e32 v6, 0
	v_bfe_u32 v7, v48, 16, 1
	v_cmp_o_f32_e32 vcc_lo, v48, v48
	v_mov_b32_e32 v8, 0x7fc0
	v_lshlrev_b64 v[5:6], 1, v[5:6]
	v_add3_u32 v7, v48, v7, 0x7fff
	v_cndmask_b32_sdwa v7, v8, v7, vcc_lo dst_sel:DWORD dst_unused:UNUSED_PAD src0_sel:DWORD src1_sel:WORD_1
	s_waitcnt lgkmcnt(0)
	v_add_co_u32 v5, vcc_lo, s12, v5
	v_add_co_ci_u32_e64 v6, null, s13, v6, vcc_lo
	global_store_short v[5:6], v7, off
.LBB173_26:
	s_or_b32 exec_lo, exec_lo, s4
	v_add3_u32 v5, v1, s7, 16
	v_cmp_gt_u32_e32 vcc_lo, s8, v5
	s_and_b32 exec_lo, exec_lo, vcc_lo
	s_cbranch_execz .LBB173_62
; %bb.27:
	v_mul_lo_u32 v5, v5, s10
	s_and_saveexec_b32 s4, s0
	s_cbranch_execnz .LBB173_66
; %bb.28:
	s_or_b32 exec_lo, exec_lo, s4
	s_and_saveexec_b32 s4, s1
	s_cbranch_execnz .LBB173_67
.LBB173_29:
	s_or_b32 exec_lo, exec_lo, s4
	s_and_saveexec_b32 s4, s2
	s_cbranch_execnz .LBB173_68
.LBB173_30:
	s_or_b32 exec_lo, exec_lo, s4
	s_and_saveexec_b32 s4, s3
	s_cbranch_execz .LBB173_32
.LBB173_31:
	v_add_nc_u32_e32 v5, v5, v4
	v_mov_b32_e32 v6, 0
	v_bfe_u32 v7, v42, 16, 1
	v_cmp_o_f32_e32 vcc_lo, v42, v42
	v_mov_b32_e32 v8, 0x7fc0
	v_lshlrev_b64 v[5:6], 1, v[5:6]
	v_add3_u32 v7, v42, v7, 0x7fff
	v_cndmask_b32_sdwa v7, v8, v7, vcc_lo dst_sel:DWORD dst_unused:UNUSED_PAD src0_sel:DWORD src1_sel:WORD_1
	s_waitcnt lgkmcnt(0)
	v_add_co_u32 v5, vcc_lo, s12, v5
	v_add_co_ci_u32_e64 v6, null, s13, v6, vcc_lo
	global_store_short v[5:6], v7, off
.LBB173_32:
	s_or_b32 exec_lo, exec_lo, s4
	v_add3_u32 v5, v1, s7, 24
	v_cmp_gt_u32_e32 vcc_lo, s8, v5
	s_and_b32 exec_lo, exec_lo, vcc_lo
	s_cbranch_execz .LBB173_62
; %bb.33:
	v_mul_lo_u32 v5, v5, s10
	s_and_saveexec_b32 s4, s0
	s_cbranch_execnz .LBB173_69
; %bb.34:
	s_or_b32 exec_lo, exec_lo, s4
	s_and_saveexec_b32 s4, s1
	s_cbranch_execnz .LBB173_70
.LBB173_35:
	s_or_b32 exec_lo, exec_lo, s4
	s_and_saveexec_b32 s4, s2
	s_cbranch_execnz .LBB173_71
.LBB173_36:
	s_or_b32 exec_lo, exec_lo, s4
	s_and_saveexec_b32 s4, s3
	s_cbranch_execz .LBB173_38
.LBB173_37:
	v_add_nc_u32_e32 v5, v5, v4
	v_mov_b32_e32 v6, 0
	v_bfe_u32 v7, v37, 16, 1
	v_cmp_o_f32_e32 vcc_lo, v37, v37
	v_mov_b32_e32 v8, 0x7fc0
	v_lshlrev_b64 v[5:6], 1, v[5:6]
	v_add3_u32 v7, v37, v7, 0x7fff
	v_cndmask_b32_sdwa v7, v8, v7, vcc_lo dst_sel:DWORD dst_unused:UNUSED_PAD src0_sel:DWORD src1_sel:WORD_1
	s_waitcnt lgkmcnt(0)
	v_add_co_u32 v5, vcc_lo, s12, v5
	v_add_co_ci_u32_e64 v6, null, s13, v6, vcc_lo
	global_store_short v[5:6], v7, off
.LBB173_38:
	s_or_b32 exec_lo, exec_lo, s4
	v_add3_u32 v5, v1, s7, 32
	v_cmp_gt_u32_e32 vcc_lo, s8, v5
	s_and_b32 exec_lo, exec_lo, vcc_lo
	s_cbranch_execz .LBB173_62
; %bb.39:
	v_mul_lo_u32 v5, v5, s10
	s_and_saveexec_b32 s4, s0
	s_cbranch_execnz .LBB173_72
; %bb.40:
	s_or_b32 exec_lo, exec_lo, s4
	s_and_saveexec_b32 s4, s1
	s_cbranch_execnz .LBB173_73
.LBB173_41:
	s_or_b32 exec_lo, exec_lo, s4
	s_and_saveexec_b32 s4, s2
	s_cbranch_execnz .LBB173_74
.LBB173_42:
	s_or_b32 exec_lo, exec_lo, s4
	s_and_saveexec_b32 s4, s3
	s_cbranch_execz .LBB173_44
.LBB173_43:
	v_add_nc_u32_e32 v5, v5, v4
	v_mov_b32_e32 v6, 0
	v_bfe_u32 v7, v33, 16, 1
	v_cmp_o_f32_e32 vcc_lo, v33, v33
	v_mov_b32_e32 v8, 0x7fc0
	v_lshlrev_b64 v[5:6], 1, v[5:6]
	v_add3_u32 v7, v33, v7, 0x7fff
	v_cndmask_b32_sdwa v7, v8, v7, vcc_lo dst_sel:DWORD dst_unused:UNUSED_PAD src0_sel:DWORD src1_sel:WORD_1
	s_waitcnt lgkmcnt(0)
	v_add_co_u32 v5, vcc_lo, s12, v5
	v_add_co_ci_u32_e64 v6, null, s13, v6, vcc_lo
	global_store_short v[5:6], v7, off
.LBB173_44:
	s_or_b32 exec_lo, exec_lo, s4
	v_add3_u32 v5, v1, s7, 40
	v_cmp_gt_u32_e32 vcc_lo, s8, v5
	s_and_b32 exec_lo, exec_lo, vcc_lo
	s_cbranch_execz .LBB173_62
; %bb.45:
	v_mul_lo_u32 v5, v5, s10
	s_and_saveexec_b32 s4, s0
	s_cbranch_execnz .LBB173_75
; %bb.46:
	s_or_b32 exec_lo, exec_lo, s4
	s_and_saveexec_b32 s4, s1
	s_cbranch_execnz .LBB173_76
.LBB173_47:
	s_or_b32 exec_lo, exec_lo, s4
	s_and_saveexec_b32 s4, s2
	s_cbranch_execnz .LBB173_77
.LBB173_48:
	s_or_b32 exec_lo, exec_lo, s4
	s_and_saveexec_b32 s4, s3
	s_cbranch_execz .LBB173_50
.LBB173_49:
	v_add_nc_u32_e32 v5, v5, v4
	v_mov_b32_e32 v6, 0
	v_bfe_u32 v7, v29, 16, 1
	v_cmp_o_f32_e32 vcc_lo, v29, v29
	v_mov_b32_e32 v8, 0x7fc0
	v_lshlrev_b64 v[5:6], 1, v[5:6]
	v_add3_u32 v7, v29, v7, 0x7fff
	v_cndmask_b32_sdwa v7, v8, v7, vcc_lo dst_sel:DWORD dst_unused:UNUSED_PAD src0_sel:DWORD src1_sel:WORD_1
	s_waitcnt lgkmcnt(0)
	v_add_co_u32 v5, vcc_lo, s12, v5
	v_add_co_ci_u32_e64 v6, null, s13, v6, vcc_lo
	global_store_short v[5:6], v7, off
.LBB173_50:
	s_or_b32 exec_lo, exec_lo, s4
	v_add3_u32 v5, v1, s7, 48
	v_cmp_gt_u32_e32 vcc_lo, s8, v5
	s_and_b32 exec_lo, exec_lo, vcc_lo
	s_cbranch_execz .LBB173_62
; %bb.51:
	v_mul_lo_u32 v5, v5, s10
	s_and_saveexec_b32 s4, s0
	s_cbranch_execnz .LBB173_78
; %bb.52:
	s_or_b32 exec_lo, exec_lo, s4
	s_and_saveexec_b32 s4, s1
	s_cbranch_execnz .LBB173_79
.LBB173_53:
	s_or_b32 exec_lo, exec_lo, s4
	s_and_saveexec_b32 s4, s2
	s_cbranch_execnz .LBB173_80
.LBB173_54:
	s_or_b32 exec_lo, exec_lo, s4
	s_and_saveexec_b32 s4, s3
	s_cbranch_execz .LBB173_56
.LBB173_55:
	v_add_nc_u32_e32 v5, v5, v4
	v_mov_b32_e32 v6, 0
	v_bfe_u32 v7, v25, 16, 1
	v_cmp_o_f32_e32 vcc_lo, v25, v25
	v_mov_b32_e32 v8, 0x7fc0
	v_lshlrev_b64 v[5:6], 1, v[5:6]
	v_add3_u32 v7, v25, v7, 0x7fff
	v_cndmask_b32_sdwa v7, v8, v7, vcc_lo dst_sel:DWORD dst_unused:UNUSED_PAD src0_sel:DWORD src1_sel:WORD_1
	s_waitcnt lgkmcnt(0)
	v_add_co_u32 v5, vcc_lo, s12, v5
	v_add_co_ci_u32_e64 v6, null, s13, v6, vcc_lo
	global_store_short v[5:6], v7, off
.LBB173_56:
	s_or_b32 exec_lo, exec_lo, s4
	v_add3_u32 v1, v1, s7, 56
	v_cmp_gt_u32_e32 vcc_lo, s8, v1
	s_and_b32 exec_lo, exec_lo, vcc_lo
	s_cbranch_execz .LBB173_62
; %bb.57:
	v_mul_lo_u32 v1, v1, s10
	s_and_saveexec_b32 s4, s0
	s_cbranch_execnz .LBB173_81
; %bb.58:
	s_or_b32 exec_lo, exec_lo, s4
	s_and_saveexec_b32 s0, s1
	s_cbranch_execnz .LBB173_82
.LBB173_59:
	s_or_b32 exec_lo, exec_lo, s0
	s_and_saveexec_b32 s0, s2
	s_cbranch_execnz .LBB173_83
.LBB173_60:
	s_or_b32 exec_lo, exec_lo, s0
	s_and_b32 exec_lo, exec_lo, s3
	s_cbranch_execz .LBB173_62
.LBB173_61:
	v_add_nc_u32_e32 v0, v1, v4
	v_mov_b32_e32 v1, 0
	v_bfe_u32 v2, v21, 16, 1
	v_cmp_o_f32_e32 vcc_lo, v21, v21
	v_mov_b32_e32 v3, 0x7fc0
	v_lshlrev_b64 v[0:1], 1, v[0:1]
	v_add3_u32 v2, v21, v2, 0x7fff
	v_cndmask_b32_sdwa v2, v3, v2, vcc_lo dst_sel:DWORD dst_unused:UNUSED_PAD src0_sel:DWORD src1_sel:WORD_1
	s_waitcnt lgkmcnt(0)
	v_add_co_u32 v0, vcc_lo, s12, v0
	v_add_co_ci_u32_e64 v1, null, s13, v1, vcc_lo
	global_store_short v[0:1], v2, off
.LBB173_62:
	s_endpgm
.LBB173_63:
	v_add_nc_u32_e32 v6, v5, v0
	v_mov_b32_e32 v7, 0
	v_bfe_u32 v8, v55, 16, 1
	v_cmp_o_f32_e32 vcc_lo, v55, v55
	v_mov_b32_e32 v9, 0x7fc0
	v_lshlrev_b64 v[6:7], 1, v[6:7]
	v_add3_u32 v8, v55, v8, 0x7fff
	v_cndmask_b32_sdwa v8, v9, v8, vcc_lo dst_sel:DWORD dst_unused:UNUSED_PAD src0_sel:DWORD src1_sel:WORD_1
	s_waitcnt lgkmcnt(0)
	v_add_co_u32 v6, vcc_lo, s12, v6
	v_add_co_ci_u32_e64 v7, null, s13, v7, vcc_lo
	global_store_short v[6:7], v8, off
	s_or_b32 exec_lo, exec_lo, s4
	s_and_saveexec_b32 s4, s1
	s_cbranch_execz .LBB173_23
.LBB173_64:
	v_add_nc_u32_e32 v6, v5, v2
	v_mov_b32_e32 v7, 0
	v_bfe_u32 v8, v53, 16, 1
	v_cmp_o_f32_e32 vcc_lo, v53, v53
	v_mov_b32_e32 v9, 0x7fc0
	v_lshlrev_b64 v[6:7], 1, v[6:7]
	v_add3_u32 v8, v53, v8, 0x7fff
	v_cndmask_b32_sdwa v8, v9, v8, vcc_lo dst_sel:DWORD dst_unused:UNUSED_PAD src0_sel:DWORD src1_sel:WORD_1
	s_waitcnt lgkmcnt(0)
	v_add_co_u32 v6, vcc_lo, s12, v6
	v_add_co_ci_u32_e64 v7, null, s13, v7, vcc_lo
	global_store_short v[6:7], v8, off
	s_or_b32 exec_lo, exec_lo, s4
	s_and_saveexec_b32 s4, s2
	s_cbranch_execz .LBB173_24
.LBB173_65:
	v_add_nc_u32_e32 v6, v5, v3
	v_mov_b32_e32 v7, 0
	v_bfe_u32 v8, v51, 16, 1
	v_cmp_o_f32_e32 vcc_lo, v51, v51
	v_mov_b32_e32 v9, 0x7fc0
	v_lshlrev_b64 v[6:7], 1, v[6:7]
	v_add3_u32 v8, v51, v8, 0x7fff
	v_cndmask_b32_sdwa v8, v9, v8, vcc_lo dst_sel:DWORD dst_unused:UNUSED_PAD src0_sel:DWORD src1_sel:WORD_1
	s_waitcnt lgkmcnt(0)
	v_add_co_u32 v6, vcc_lo, s12, v6
	v_add_co_ci_u32_e64 v7, null, s13, v7, vcc_lo
	global_store_short v[6:7], v8, off
	s_or_b32 exec_lo, exec_lo, s4
	s_and_saveexec_b32 s4, s3
	s_cbranch_execnz .LBB173_25
	s_branch .LBB173_26
.LBB173_66:
	v_add_nc_u32_e32 v6, v5, v0
	v_mov_b32_e32 v7, 0
	v_bfe_u32 v8, v45, 16, 1
	v_cmp_o_f32_e32 vcc_lo, v45, v45
	v_mov_b32_e32 v9, 0x7fc0
	v_lshlrev_b64 v[6:7], 1, v[6:7]
	v_add3_u32 v8, v45, v8, 0x7fff
	v_cndmask_b32_sdwa v8, v9, v8, vcc_lo dst_sel:DWORD dst_unused:UNUSED_PAD src0_sel:DWORD src1_sel:WORD_1
	s_waitcnt lgkmcnt(0)
	v_add_co_u32 v6, vcc_lo, s12, v6
	v_add_co_ci_u32_e64 v7, null, s13, v7, vcc_lo
	global_store_short v[6:7], v8, off
	s_or_b32 exec_lo, exec_lo, s4
	s_and_saveexec_b32 s4, s1
	s_cbranch_execz .LBB173_29
.LBB173_67:
	v_add_nc_u32_e32 v6, v5, v2
	v_mov_b32_e32 v7, 0
	v_bfe_u32 v8, v44, 16, 1
	v_cmp_o_f32_e32 vcc_lo, v44, v44
	v_mov_b32_e32 v9, 0x7fc0
	v_lshlrev_b64 v[6:7], 1, v[6:7]
	v_add3_u32 v8, v44, v8, 0x7fff
	v_cndmask_b32_sdwa v8, v9, v8, vcc_lo dst_sel:DWORD dst_unused:UNUSED_PAD src0_sel:DWORD src1_sel:WORD_1
	s_waitcnt lgkmcnt(0)
	v_add_co_u32 v6, vcc_lo, s12, v6
	v_add_co_ci_u32_e64 v7, null, s13, v7, vcc_lo
	global_store_short v[6:7], v8, off
	s_or_b32 exec_lo, exec_lo, s4
	s_and_saveexec_b32 s4, s2
	s_cbranch_execz .LBB173_30
.LBB173_68:
	v_add_nc_u32_e32 v6, v5, v3
	v_mov_b32_e32 v7, 0
	v_bfe_u32 v8, v43, 16, 1
	v_cmp_o_f32_e32 vcc_lo, v43, v43
	v_mov_b32_e32 v9, 0x7fc0
	v_lshlrev_b64 v[6:7], 1, v[6:7]
	v_add3_u32 v8, v43, v8, 0x7fff
	v_cndmask_b32_sdwa v8, v9, v8, vcc_lo dst_sel:DWORD dst_unused:UNUSED_PAD src0_sel:DWORD src1_sel:WORD_1
	s_waitcnt lgkmcnt(0)
	v_add_co_u32 v6, vcc_lo, s12, v6
	v_add_co_ci_u32_e64 v7, null, s13, v7, vcc_lo
	global_store_short v[6:7], v8, off
	s_or_b32 exec_lo, exec_lo, s4
	s_and_saveexec_b32 s4, s3
	s_cbranch_execnz .LBB173_31
	s_branch .LBB173_32
.LBB173_69:
	v_add_nc_u32_e32 v6, v5, v0
	v_mov_b32_e32 v7, 0
	v_bfe_u32 v8, v40, 16, 1
	v_cmp_o_f32_e32 vcc_lo, v40, v40
	v_mov_b32_e32 v9, 0x7fc0
	v_lshlrev_b64 v[6:7], 1, v[6:7]
	v_add3_u32 v8, v40, v8, 0x7fff
	v_cndmask_b32_sdwa v8, v9, v8, vcc_lo dst_sel:DWORD dst_unused:UNUSED_PAD src0_sel:DWORD src1_sel:WORD_1
	s_waitcnt lgkmcnt(0)
	v_add_co_u32 v6, vcc_lo, s12, v6
	v_add_co_ci_u32_e64 v7, null, s13, v7, vcc_lo
	global_store_short v[6:7], v8, off
	s_or_b32 exec_lo, exec_lo, s4
	s_and_saveexec_b32 s4, s1
	s_cbranch_execz .LBB173_35
.LBB173_70:
	v_add_nc_u32_e32 v6, v5, v2
	v_mov_b32_e32 v7, 0
	v_bfe_u32 v8, v39, 16, 1
	v_cmp_o_f32_e32 vcc_lo, v39, v39
	v_mov_b32_e32 v9, 0x7fc0
	v_lshlrev_b64 v[6:7], 1, v[6:7]
	v_add3_u32 v8, v39, v8, 0x7fff
	v_cndmask_b32_sdwa v8, v9, v8, vcc_lo dst_sel:DWORD dst_unused:UNUSED_PAD src0_sel:DWORD src1_sel:WORD_1
	s_waitcnt lgkmcnt(0)
	v_add_co_u32 v6, vcc_lo, s12, v6
	v_add_co_ci_u32_e64 v7, null, s13, v7, vcc_lo
	global_store_short v[6:7], v8, off
	s_or_b32 exec_lo, exec_lo, s4
	s_and_saveexec_b32 s4, s2
	s_cbranch_execz .LBB173_36
.LBB173_71:
	v_add_nc_u32_e32 v6, v5, v3
	v_mov_b32_e32 v7, 0
	v_bfe_u32 v8, v38, 16, 1
	v_cmp_o_f32_e32 vcc_lo, v38, v38
	v_mov_b32_e32 v9, 0x7fc0
	v_lshlrev_b64 v[6:7], 1, v[6:7]
	v_add3_u32 v8, v38, v8, 0x7fff
	v_cndmask_b32_sdwa v8, v9, v8, vcc_lo dst_sel:DWORD dst_unused:UNUSED_PAD src0_sel:DWORD src1_sel:WORD_1
	s_waitcnt lgkmcnt(0)
	v_add_co_u32 v6, vcc_lo, s12, v6
	v_add_co_ci_u32_e64 v7, null, s13, v7, vcc_lo
	global_store_short v[6:7], v8, off
	s_or_b32 exec_lo, exec_lo, s4
	s_and_saveexec_b32 s4, s3
	s_cbranch_execnz .LBB173_37
	s_branch .LBB173_38
.LBB173_72:
	v_add_nc_u32_e32 v6, v5, v0
	v_mov_b32_e32 v7, 0
	v_bfe_u32 v8, v36, 16, 1
	v_cmp_o_f32_e32 vcc_lo, v36, v36
	v_mov_b32_e32 v9, 0x7fc0
	v_lshlrev_b64 v[6:7], 1, v[6:7]
	v_add3_u32 v8, v36, v8, 0x7fff
	v_cndmask_b32_sdwa v8, v9, v8, vcc_lo dst_sel:DWORD dst_unused:UNUSED_PAD src0_sel:DWORD src1_sel:WORD_1
	s_waitcnt lgkmcnt(0)
	v_add_co_u32 v6, vcc_lo, s12, v6
	v_add_co_ci_u32_e64 v7, null, s13, v7, vcc_lo
	global_store_short v[6:7], v8, off
	s_or_b32 exec_lo, exec_lo, s4
	s_and_saveexec_b32 s4, s1
	s_cbranch_execz .LBB173_41
.LBB173_73:
	v_add_nc_u32_e32 v6, v5, v2
	v_mov_b32_e32 v7, 0
	v_bfe_u32 v8, v35, 16, 1
	v_cmp_o_f32_e32 vcc_lo, v35, v35
	v_mov_b32_e32 v9, 0x7fc0
	v_lshlrev_b64 v[6:7], 1, v[6:7]
	v_add3_u32 v8, v35, v8, 0x7fff
	v_cndmask_b32_sdwa v8, v9, v8, vcc_lo dst_sel:DWORD dst_unused:UNUSED_PAD src0_sel:DWORD src1_sel:WORD_1
	s_waitcnt lgkmcnt(0)
	v_add_co_u32 v6, vcc_lo, s12, v6
	v_add_co_ci_u32_e64 v7, null, s13, v7, vcc_lo
	global_store_short v[6:7], v8, off
	s_or_b32 exec_lo, exec_lo, s4
	s_and_saveexec_b32 s4, s2
	s_cbranch_execz .LBB173_42
.LBB173_74:
	v_add_nc_u32_e32 v6, v5, v3
	v_mov_b32_e32 v7, 0
	v_bfe_u32 v8, v34, 16, 1
	v_cmp_o_f32_e32 vcc_lo, v34, v34
	v_mov_b32_e32 v9, 0x7fc0
	v_lshlrev_b64 v[6:7], 1, v[6:7]
	v_add3_u32 v8, v34, v8, 0x7fff
	v_cndmask_b32_sdwa v8, v9, v8, vcc_lo dst_sel:DWORD dst_unused:UNUSED_PAD src0_sel:DWORD src1_sel:WORD_1
	s_waitcnt lgkmcnt(0)
	v_add_co_u32 v6, vcc_lo, s12, v6
	v_add_co_ci_u32_e64 v7, null, s13, v7, vcc_lo
	global_store_short v[6:7], v8, off
	s_or_b32 exec_lo, exec_lo, s4
	s_and_saveexec_b32 s4, s3
	s_cbranch_execnz .LBB173_43
	s_branch .LBB173_44
.LBB173_75:
	v_add_nc_u32_e32 v6, v5, v0
	v_mov_b32_e32 v7, 0
	v_bfe_u32 v8, v32, 16, 1
	v_cmp_o_f32_e32 vcc_lo, v32, v32
	v_mov_b32_e32 v9, 0x7fc0
	v_lshlrev_b64 v[6:7], 1, v[6:7]
	v_add3_u32 v8, v32, v8, 0x7fff
	v_cndmask_b32_sdwa v8, v9, v8, vcc_lo dst_sel:DWORD dst_unused:UNUSED_PAD src0_sel:DWORD src1_sel:WORD_1
	s_waitcnt lgkmcnt(0)
	v_add_co_u32 v6, vcc_lo, s12, v6
	v_add_co_ci_u32_e64 v7, null, s13, v7, vcc_lo
	global_store_short v[6:7], v8, off
	s_or_b32 exec_lo, exec_lo, s4
	s_and_saveexec_b32 s4, s1
	s_cbranch_execz .LBB173_47
.LBB173_76:
	v_add_nc_u32_e32 v6, v5, v2
	v_mov_b32_e32 v7, 0
	v_bfe_u32 v8, v31, 16, 1
	v_cmp_o_f32_e32 vcc_lo, v31, v31
	v_mov_b32_e32 v9, 0x7fc0
	v_lshlrev_b64 v[6:7], 1, v[6:7]
	v_add3_u32 v8, v31, v8, 0x7fff
	v_cndmask_b32_sdwa v8, v9, v8, vcc_lo dst_sel:DWORD dst_unused:UNUSED_PAD src0_sel:DWORD src1_sel:WORD_1
	s_waitcnt lgkmcnt(0)
	v_add_co_u32 v6, vcc_lo, s12, v6
	v_add_co_ci_u32_e64 v7, null, s13, v7, vcc_lo
	global_store_short v[6:7], v8, off
	s_or_b32 exec_lo, exec_lo, s4
	s_and_saveexec_b32 s4, s2
	s_cbranch_execz .LBB173_48
.LBB173_77:
	v_add_nc_u32_e32 v6, v5, v3
	v_mov_b32_e32 v7, 0
	v_bfe_u32 v8, v30, 16, 1
	v_cmp_o_f32_e32 vcc_lo, v30, v30
	v_mov_b32_e32 v9, 0x7fc0
	v_lshlrev_b64 v[6:7], 1, v[6:7]
	v_add3_u32 v8, v30, v8, 0x7fff
	v_cndmask_b32_sdwa v8, v9, v8, vcc_lo dst_sel:DWORD dst_unused:UNUSED_PAD src0_sel:DWORD src1_sel:WORD_1
	s_waitcnt lgkmcnt(0)
	v_add_co_u32 v6, vcc_lo, s12, v6
	v_add_co_ci_u32_e64 v7, null, s13, v7, vcc_lo
	global_store_short v[6:7], v8, off
	s_or_b32 exec_lo, exec_lo, s4
	s_and_saveexec_b32 s4, s3
	s_cbranch_execnz .LBB173_49
	s_branch .LBB173_50
.LBB173_78:
	v_add_nc_u32_e32 v6, v5, v0
	v_mov_b32_e32 v7, 0
	v_bfe_u32 v8, v28, 16, 1
	v_cmp_o_f32_e32 vcc_lo, v28, v28
	v_mov_b32_e32 v9, 0x7fc0
	v_lshlrev_b64 v[6:7], 1, v[6:7]
	v_add3_u32 v8, v28, v8, 0x7fff
	v_cndmask_b32_sdwa v8, v9, v8, vcc_lo dst_sel:DWORD dst_unused:UNUSED_PAD src0_sel:DWORD src1_sel:WORD_1
	s_waitcnt lgkmcnt(0)
	v_add_co_u32 v6, vcc_lo, s12, v6
	v_add_co_ci_u32_e64 v7, null, s13, v7, vcc_lo
	global_store_short v[6:7], v8, off
	s_or_b32 exec_lo, exec_lo, s4
	s_and_saveexec_b32 s4, s1
	s_cbranch_execz .LBB173_53
.LBB173_79:
	v_add_nc_u32_e32 v6, v5, v2
	v_mov_b32_e32 v7, 0
	v_bfe_u32 v8, v27, 16, 1
	v_cmp_o_f32_e32 vcc_lo, v27, v27
	v_mov_b32_e32 v9, 0x7fc0
	v_lshlrev_b64 v[6:7], 1, v[6:7]
	v_add3_u32 v8, v27, v8, 0x7fff
	v_cndmask_b32_sdwa v8, v9, v8, vcc_lo dst_sel:DWORD dst_unused:UNUSED_PAD src0_sel:DWORD src1_sel:WORD_1
	s_waitcnt lgkmcnt(0)
	v_add_co_u32 v6, vcc_lo, s12, v6
	v_add_co_ci_u32_e64 v7, null, s13, v7, vcc_lo
	global_store_short v[6:7], v8, off
	s_or_b32 exec_lo, exec_lo, s4
	s_and_saveexec_b32 s4, s2
	s_cbranch_execz .LBB173_54
.LBB173_80:
	v_add_nc_u32_e32 v6, v5, v3
	v_mov_b32_e32 v7, 0
	v_bfe_u32 v8, v26, 16, 1
	v_cmp_o_f32_e32 vcc_lo, v26, v26
	v_mov_b32_e32 v9, 0x7fc0
	v_lshlrev_b64 v[6:7], 1, v[6:7]
	v_add3_u32 v8, v26, v8, 0x7fff
	v_cndmask_b32_sdwa v8, v9, v8, vcc_lo dst_sel:DWORD dst_unused:UNUSED_PAD src0_sel:DWORD src1_sel:WORD_1
	s_waitcnt lgkmcnt(0)
	v_add_co_u32 v6, vcc_lo, s12, v6
	v_add_co_ci_u32_e64 v7, null, s13, v7, vcc_lo
	global_store_short v[6:7], v8, off
	s_or_b32 exec_lo, exec_lo, s4
	s_and_saveexec_b32 s4, s3
	s_cbranch_execnz .LBB173_55
	s_branch .LBB173_56
.LBB173_81:
	v_add_nc_u32_e32 v5, v1, v0
	v_mov_b32_e32 v6, 0
	v_bfe_u32 v7, v24, 16, 1
	v_cmp_o_f32_e32 vcc_lo, v24, v24
	v_mov_b32_e32 v0, 0x7fc0
	v_lshlrev_b64 v[5:6], 1, v[5:6]
	v_add3_u32 v7, v24, v7, 0x7fff
	v_cndmask_b32_sdwa v0, v0, v7, vcc_lo dst_sel:DWORD dst_unused:UNUSED_PAD src0_sel:DWORD src1_sel:WORD_1
	s_waitcnt lgkmcnt(0)
	v_add_co_u32 v5, vcc_lo, s12, v5
	v_add_co_ci_u32_e64 v6, null, s13, v6, vcc_lo
	global_store_short v[5:6], v0, off
	s_or_b32 exec_lo, exec_lo, s4
	s_and_saveexec_b32 s0, s1
	s_cbranch_execz .LBB173_59
.LBB173_82:
	v_add_nc_u32_e32 v5, v1, v2
	v_mov_b32_e32 v6, 0
	v_bfe_u32 v0, v23, 16, 1
	v_cmp_o_f32_e32 vcc_lo, v23, v23
	v_mov_b32_e32 v2, 0x7fc0
	v_lshlrev_b64 v[5:6], 1, v[5:6]
	v_add3_u32 v0, v23, v0, 0x7fff
	v_cndmask_b32_sdwa v0, v2, v0, vcc_lo dst_sel:DWORD dst_unused:UNUSED_PAD src0_sel:DWORD src1_sel:WORD_1
	s_waitcnt lgkmcnt(0)
	v_add_co_u32 v5, vcc_lo, s12, v5
	v_add_co_ci_u32_e64 v6, null, s13, v6, vcc_lo
	global_store_short v[5:6], v0, off
	s_or_b32 exec_lo, exec_lo, s0
	s_and_saveexec_b32 s0, s2
	s_cbranch_execz .LBB173_60
.LBB173_83:
	v_add_nc_u32_e32 v2, v1, v3
	v_mov_b32_e32 v3, 0
	v_bfe_u32 v0, v22, 16, 1
	v_cmp_o_f32_e32 vcc_lo, v22, v22
	v_mov_b32_e32 v5, 0x7fc0
	v_lshlrev_b64 v[2:3], 1, v[2:3]
	v_add3_u32 v0, v22, v0, 0x7fff
	v_cndmask_b32_sdwa v0, v5, v0, vcc_lo dst_sel:DWORD dst_unused:UNUSED_PAD src0_sel:DWORD src1_sel:WORD_1
	s_waitcnt lgkmcnt(0)
	v_add_co_u32 v2, vcc_lo, s12, v2
	v_add_co_ci_u32_e64 v3, null, s13, v3, vcc_lo
	global_store_short v[2:3], v0, off
	s_or_b32 exec_lo, exec_lo, s0
	s_and_b32 exec_lo, exec_lo, s3
	s_cbranch_execnz .LBB173_61
	s_branch .LBB173_62
	.section	.rodata,"a",@progbits
	.p2align	6, 0x0
	.amdhsa_kernel _ZL12mul_mat_q5_KIN3c108BFloat16ELb0EEvPKvS3_PT_iiiii
		.amdhsa_group_segment_fixed_size 45136
		.amdhsa_private_segment_fixed_size 0
		.amdhsa_kernarg_size 44
		.amdhsa_user_sgpr_count 6
		.amdhsa_user_sgpr_private_segment_buffer 1
		.amdhsa_user_sgpr_dispatch_ptr 0
		.amdhsa_user_sgpr_queue_ptr 0
		.amdhsa_user_sgpr_kernarg_segment_ptr 1
		.amdhsa_user_sgpr_dispatch_id 0
		.amdhsa_user_sgpr_flat_scratch_init 0
		.amdhsa_user_sgpr_private_segment_size 0
		.amdhsa_wavefront_size32 1
		.amdhsa_uses_dynamic_stack 0
		.amdhsa_system_sgpr_private_segment_wavefront_offset 0
		.amdhsa_system_sgpr_workgroup_id_x 1
		.amdhsa_system_sgpr_workgroup_id_y 1
		.amdhsa_system_sgpr_workgroup_id_z 0
		.amdhsa_system_sgpr_workgroup_info 0
		.amdhsa_system_vgpr_workitem_id 1
		.amdhsa_next_free_vgpr 244
		.amdhsa_next_free_sgpr 17
		.amdhsa_reserve_vcc 1
		.amdhsa_reserve_flat_scratch 0
		.amdhsa_float_round_mode_32 0
		.amdhsa_float_round_mode_16_64 0
		.amdhsa_float_denorm_mode_32 3
		.amdhsa_float_denorm_mode_16_64 3
		.amdhsa_dx10_clamp 1
		.amdhsa_ieee_mode 1
		.amdhsa_fp16_overflow 0
		.amdhsa_workgroup_processor_mode 1
		.amdhsa_memory_ordered 1
		.amdhsa_forward_progress 1
		.amdhsa_shared_vgpr_count 0
		.amdhsa_exception_fp_ieee_invalid_op 0
		.amdhsa_exception_fp_denorm_src 0
		.amdhsa_exception_fp_ieee_div_zero 0
		.amdhsa_exception_fp_ieee_overflow 0
		.amdhsa_exception_fp_ieee_underflow 0
		.amdhsa_exception_fp_ieee_inexact 0
		.amdhsa_exception_int_div_zero 0
	.end_amdhsa_kernel
	.section	.text._ZL12mul_mat_q5_KIN3c108BFloat16ELb0EEvPKvS3_PT_iiiii,"axG",@progbits,_ZL12mul_mat_q5_KIN3c108BFloat16ELb0EEvPKvS3_PT_iiiii,comdat
.Lfunc_end173:
	.size	_ZL12mul_mat_q5_KIN3c108BFloat16ELb0EEvPKvS3_PT_iiiii, .Lfunc_end173-_ZL12mul_mat_q5_KIN3c108BFloat16ELb0EEvPKvS3_PT_iiiii
                                        ; -- End function
	.set _ZL12mul_mat_q5_KIN3c108BFloat16ELb0EEvPKvS3_PT_iiiii.num_vgpr, 244
	.set _ZL12mul_mat_q5_KIN3c108BFloat16ELb0EEvPKvS3_PT_iiiii.num_agpr, 0
	.set _ZL12mul_mat_q5_KIN3c108BFloat16ELb0EEvPKvS3_PT_iiiii.numbered_sgpr, 17
	.set _ZL12mul_mat_q5_KIN3c108BFloat16ELb0EEvPKvS3_PT_iiiii.num_named_barrier, 0
	.set _ZL12mul_mat_q5_KIN3c108BFloat16ELb0EEvPKvS3_PT_iiiii.private_seg_size, 0
	.set _ZL12mul_mat_q5_KIN3c108BFloat16ELb0EEvPKvS3_PT_iiiii.uses_vcc, 1
	.set _ZL12mul_mat_q5_KIN3c108BFloat16ELb0EEvPKvS3_PT_iiiii.uses_flat_scratch, 0
	.set _ZL12mul_mat_q5_KIN3c108BFloat16ELb0EEvPKvS3_PT_iiiii.has_dyn_sized_stack, 0
	.set _ZL12mul_mat_q5_KIN3c108BFloat16ELb0EEvPKvS3_PT_iiiii.has_recursion, 0
	.set _ZL12mul_mat_q5_KIN3c108BFloat16ELb0EEvPKvS3_PT_iiiii.has_indirect_call, 0
	.section	.AMDGPU.csdata,"",@progbits
; Kernel info:
; codeLenInByte = 20044
; TotalNumSgprs: 19
; NumVgprs: 244
; ScratchSize: 0
; MemoryBound: 0
; FloatMode: 240
; IeeeMode: 1
; LDSByteSize: 45136 bytes/workgroup (compile time only)
; SGPRBlocks: 0
; VGPRBlocks: 30
; NumSGPRsForWavesPerEU: 19
; NumVGPRsForWavesPerEU: 244
; Occupancy: 4
; WaveLimiterHint : 0
; COMPUTE_PGM_RSRC2:SCRATCH_EN: 0
; COMPUTE_PGM_RSRC2:USER_SGPR: 6
; COMPUTE_PGM_RSRC2:TRAP_HANDLER: 0
; COMPUTE_PGM_RSRC2:TGID_X_EN: 1
; COMPUTE_PGM_RSRC2:TGID_Y_EN: 1
; COMPUTE_PGM_RSRC2:TGID_Z_EN: 0
; COMPUTE_PGM_RSRC2:TIDIG_COMP_CNT: 1
	.section	.text._ZL12mul_mat_q5_KIN3c108BFloat16ELb1EEvPKvS3_PT_iiiii,"axG",@progbits,_ZL12mul_mat_q5_KIN3c108BFloat16ELb1EEvPKvS3_PT_iiiii,comdat
	.globl	_ZL12mul_mat_q5_KIN3c108BFloat16ELb1EEvPKvS3_PT_iiiii ; -- Begin function _ZL12mul_mat_q5_KIN3c108BFloat16ELb1EEvPKvS3_PT_iiiii
	.p2align	8
	.type	_ZL12mul_mat_q5_KIN3c108BFloat16ELb1EEvPKvS3_PT_iiiii,@function
_ZL12mul_mat_q5_KIN3c108BFloat16ELb1EEvPKvS3_PT_iiiii: ; @_ZL12mul_mat_q5_KIN3c108BFloat16ELb1EEvPKvS3_PT_iiiii
; %bb.0:
	s_clause 0x1
	s_load_dwordx4 s[8:11], s[4:5], 0x18
	s_load_dword s14, s[4:5], 0x28
	s_lshl_b32 s7, s7, 6
	v_add_nc_u32_e32 v55, s7, v1
	s_waitcnt lgkmcnt(0)
	s_cmpk_gt_i32 s8, 0xff
	s_cbranch_scc1 .LBB174_2
; %bb.1:
	v_add_nc_u32_e32 v2, s7, v1
	s_mov_b32 s0, 0
	s_branch .LBB174_3
.LBB174_2:
	s_mov_b32 s0, -1
                                        ; implicit-def: $vgpr2
.LBB174_3:
	s_load_dwordx2 s[12:13], s[4:5], 0x10
	v_mov_b32_e32 v37, 0
	v_mov_b32_e32 v41, 0
	;; [unrolled: 1-line block ×32, first 2 shown]
	s_andn2_b32 vcc_lo, exec_lo, s0
	s_lshl_b32 s6, s6, 7
	s_cbranch_vccnz .LBB174_11
; %bb.4:
	s_load_dwordx4 s[0:3], s[4:5], 0x0
	s_ashr_i32 s4, s8, 31
	s_ashr_i32 s5, s11, 31
	s_lshr_b32 s4, s4, 24
	s_lshr_b32 s5, s5, 27
	s_add_i32 s4, s8, s4
	v_lshlrev_b32_e32 v2, 1, v0
	s_ashr_i32 s4, s4, 8
	v_and_b32_e32 v3, 7, v0
	s_add_i32 s5, s11, s5
	s_mul_i32 s8, s4, s6
	v_lshlrev_b32_e32 v78, 5, v1
	s_ashr_i32 s11, s5, 5
	s_mul_i32 s5, s8, 0xb0
	s_mul_hi_i32 s8, s8, 0xb0
	v_and_or_b32 v2, v2, 48, v3
	v_add_nc_u32_e32 v38, 8, v1
	v_add_nc_u32_e32 v39, 16, v1
	;; [unrolled: 1-line block ×4, first 2 shown]
	s_waitcnt lgkmcnt(0)
	s_add_u32 s5, s0, s5
	s_addc_u32 s8, s1, s8
	s_not_b32 s0, s6
	v_add_nc_u32_e32 v41, 32, v1
	s_add_i32 s0, s9, s0
	v_lshlrev_b32_e32 v18, 2, v2
	v_min_i32_e32 v3, s0, v1
	v_add_nc_u32_e32 v42, 40, v1
	v_min_i32_e32 v4, s0, v38
	v_add_nc_u32_e32 v43, 48, v1
	;; [unrolled: 2-line block ×3, first 2 shown]
	v_and_b32_e32 v14, 0x7f, v14
	v_min_i32_e32 v6, s0, v40
	v_add_nc_u32_e32 v11, 64, v1
	v_min_i32_e32 v7, s0, v41
	v_add_nc_u32_e32 v12, 0x48, v1
	v_mul_lo_u32 v67, v3, s4
	v_mad_u64_u32 v[2:3], null, 0x104, v3, v[18:19]
	v_min_i32_e32 v8, s0, v42
	v_add_nc_u32_e32 v13, 0x50, v1
	v_mul_lo_u32 v68, v4, s4
	v_mad_u64_u32 v[3:4], null, 0x104, v4, v[18:19]
	v_min_i32_e32 v9, s0, v43
	v_mul_lo_u32 v70, v5, s4
	v_mad_u64_u32 v[4:5], null, 0x104, v5, v[18:19]
	v_min_i32_e32 v10, s0, v44
	v_min_i32_e32 v20, s0, v14
	v_mul_lo_u32 v71, v6, s4
	v_mad_u64_u32 v[5:6], null, 0x104, v6, v[18:19]
	v_min_i32_e32 v11, s0, v11
	v_mul_lo_u32 v72, v7, s4
	v_mad_u64_u32 v[6:7], null, 0x104, v7, v[18:19]
	;; [unrolled: 3-line block ×3, first 2 shown]
	v_min_i32_e32 v13, s0, v13
	v_add_nc_u32_e32 v15, 0x58, v1
	v_mul_lo_u32 v75, v9, s4
	v_mad_u64_u32 v[8:9], null, 0x104, v9, v[18:19]
	v_mul_lo_u32 v76, v10, s4
	v_mad_u64_u32 v[9:10], null, 0x104, v10, v[18:19]
	v_ashrrev_i32_e32 v21, 31, v20
	v_mul_lo_u32 v79, v11, s4
	v_mad_u64_u32 v[10:11], null, 0x104, v11, v[18:19]
	v_mul_lo_u32 v80, v12, s4
	v_mad_u64_u32 v[11:12], null, 0x104, v12, v[18:19]
	v_mul_lo_u32 v81, v13, s4
	v_min_i32_e32 v15, s0, v15
	v_add_nc_u32_e32 v16, 0x60, v1
	v_mad_u64_u32 v[12:13], null, 0x104, v13, v[18:19]
	v_add_nc_u32_e32 v19, 0x68, v1
	v_lshrrev_b32_e32 v17, 2, v0
	v_add_nc_u32_e32 v22, 0x70, v1
	v_lshrrev_b32_e32 v21, 27, v21
	v_min_i32_e32 v16, s0, v16
	v_mad_u64_u32 v[13:14], null, 0x104, v15, v[18:19]
	v_min_i32_e32 v19, s0, v19
	v_min_i32_e32 v22, s0, v22
	v_add_nc_u32_e32 v21, v20, v21
	v_lshl_add_u32 v45, v1, 3, v17
	v_mul_lo_u32 v83, v15, s4
	v_mad_u64_u32 v[14:15], null, 0x104, v16, v[18:19]
	v_mul_lo_u32 v84, v16, s4
	v_mad_u64_u32 v[15:16], null, 0x104, v19, v[18:19]
	v_and_b32_e32 v63, 6, v17
	v_mul_lo_u32 v86, v22, s4
	v_ashrrev_i32_e32 v21, 5, v21
	v_mad_u64_u32 v[16:17], null, 0x104, v22, v[18:19]
	v_and_b32_e32 v22, 0x7f, v45
	v_add_nc_u32_e32 v23, 0x78, v1
	v_mul_lo_u32 v85, v19, s4
	v_and_b32_e32 v19, 3, v0
	v_lshlrev_b32_e32 v21, 2, v21
	v_lshlrev_b32_e32 v24, 2, v20
	v_min_i32_e32 v46, s0, v22
	v_min_i32_e32 v23, s0, v23
	v_add_nc_u32_e32 v25, 0xfe, v19
	v_xor_b32_e32 v30, 64, v22
	v_add3_u32 v90, v21, v24, 0xae40
	v_ashrrev_i32_e32 v36, 31, v46
	v_add_nc_u32_e32 v24, 8, v55
	v_add_nc_u32_e32 v26, 16, v55
	v_add_nc_u32_e32 v28, 24, v55
	v_add_nc_u32_e32 v31, 32, v55
	v_add_nc_u32_e32 v32, 40, v55
	v_add_nc_u32_e32 v34, 48, v55
	v_add_nc_u32_e32 v37, 56, v55
	s_add_i32 s1, s10, -1
	v_mad_u64_u32 v[17:18], null, 0x104, v23, v[18:19]
	v_mul_lo_u32 v88, v23, s4
	v_mul_lo_u32 v89, v20, s4
	v_and_b32_e32 v18, 0xff, v25
	v_cvt_f64_i32_e32 v[20:21], s1
	v_cvt_f64_u32_e32 v[22:23], v55
	v_cvt_f64_u32_e32 v[24:25], v24
	;; [unrolled: 1-line block ×4, first 2 shown]
	v_min_i32_e32 v47, s0, v30
	v_cvt_f64_u32_e32 v[30:31], v31
	v_cvt_f64_u32_e32 v[32:33], v32
	;; [unrolled: 1-line block ×3, first 2 shown]
	v_lshrrev_b32_e32 v48, 29, v36
	v_cvt_f64_u32_e32 v[36:37], v37
	v_ashrrev_i32_e32 v49, 31, v47
	v_cmp_gt_u32_e32 vcc_lo, 2, v19
	v_lshlrev_b32_e32 v52, 2, v19
	v_lshrrev_b32_e32 v60, 5, v0
	v_add_nc_u32_e32 v48, v46, v48
	v_lshrrev_b32_e32 v49, 29, v49
	v_cndmask_b32_e32 v18, v18, v19, vcc_lo
	v_cmp_ne_u32_e32 vcc_lo, 0, v19
	v_lshlrev_b32_e32 v61, 2, v0
	v_ashrrev_i32_e32 v48, 3, v48
	v_add_nc_u32_e32 v49, v47, v49
	v_lshlrev_b32_e32 v96, 1, v18
	v_min_f64 v[22:23], v[22:23], v[20:21]
	v_min_f64 v[24:25], v[24:25], v[20:21]
	;; [unrolled: 1-line block ×4, first 2 shown]
	v_ashrrev_i32_e32 v49, 3, v49
	v_min_f64 v[30:31], v[30:31], v[20:21]
	v_min_f64 v[32:33], v[32:33], v[20:21]
	v_min_f64 v[34:35], v[34:35], v[20:21]
	v_add_co_ci_u32_e64 v50, null, 0, v18, vcc_lo
	v_min_f64 v[20:21], v[36:37], v[20:21]
	v_lshlrev_b32_e32 v18, 2, v49
	v_cmp_lt_u32_e32 vcc_lo, 1, v19
	v_and_b32_e32 v51, 4, v61
	v_lshlrev_b32_e32 v48, 2, v48
	v_and_b32_e32 v65, 28, v61
	s_movk_i32 s0, 0x2080
	v_lshlrev_b32_e32 v37, 4, v46
	v_cndmask_b32_e32 v94, 0, v51, vcc_lo
	v_cndmask_b32_e64 v51, 0, 1, vcc_lo
	v_add3_u32 v36, v48, v52, 0xa200
	v_mad_u32_u24 v124, 0x104, v0, s0
	v_cvt_i32_f64_e32 v22, v[22:23]
	v_cvt_i32_f64_e32 v23, v[24:25]
	;; [unrolled: 1-line block ×4, first 2 shown]
	v_and_b32_e32 v24, 63, v45
	v_cvt_i32_f64_e32 v28, v[30:31]
	v_cvt_i32_f64_e32 v30, v[32:33]
	v_add3_u32 v26, v18, v52, 0xa200
	v_and_b32_e32 v18, 31, v0
	v_or_b32_e32 v29, s7, v24
	v_cvt_i32_f64_e32 v20, v[20:21]
	v_cvt_i32_f64_e32 v32, v[34:35]
	v_lshl_or_b32 v24, v24, 4, v52
	v_lshl_or_b32 v33, v18, 2, 0x8200
	v_min_i32_e32 v18, s1, v29
	v_add_nc_u32_e32 v29, 64, v0
	v_lshlrev_b32_e32 v31, 4, v47
	v_add_nc_u32_e32 v99, 0xaa40, v24
	v_lshlrev_b32_e32 v21, 7, v1
	v_lshlrev_b32_e32 v24, 7, v40
	v_lshrrev_b32_e32 v110, 3, v29
	v_lshlrev_b32_e32 v29, 2, v29
	v_mul_lo_u32 v101, s11, v22
	v_mul_lo_u32 v102, s11, v23
	v_lshlrev_b32_e32 v22, 7, v38
	v_mul_lo_u32 v103, s11, v25
	v_lshlrev_b32_e32 v23, 7, v39
	v_mul_lo_u32 v104, s11, v27
	v_mul_lo_u32 v106, s11, v30
	v_lshlrev_b32_e32 v30, 2, v60
	v_mul_lo_u32 v105, s11, v28
	v_lshlrev_b32_e32 v25, 7, v41
	v_mad_u64_u32 v[18:19], null, v18, s11, v[19:20]
	v_mul_lo_u32 v108, s11, v20
	v_add_nc_u32_e32 v20, 0x60, v0
	v_add_nc_u32_e32 v19, 32, v0
	v_add3_u32 v112, v61, v30, 0xae40
	v_and_b32_e32 v30, 60, v110
	v_lshlrev_b32_e32 v27, 7, v42
	v_lshrrev_b32_e32 v111, 3, v20
	v_lshrrev_b32_e32 v109, 3, v19
	v_lshlrev_b32_e32 v35, 2, v19
	v_mul_lo_u32 v107, s11, v32
	v_lshlrev_b32_e32 v28, 7, v43
	v_and_b32_e32 v19, 60, v111
	v_lshlrev_b32_e32 v32, 7, v44
	v_and_b32_e32 v34, 60, v109
	v_add3_u32 v114, v61, v30, 0xae40
	v_lshlrev_b32_e32 v30, 2, v20
	s_movk_i32 s0, 0x4100
	v_mul_lo_u32 v97, v46, s4
	v_mul_lo_u32 v98, v47, s4
	v_add3_u32 v115, v61, v19, 0xae40
	s_movk_i32 s1, 0x6180
	v_mad_u32_u24 v125, 0x104, v0, s0
	v_add_co_u32 v19, s0, s2, v65
	v_and_b32_e32 v64, 0x7c, v61
	v_or_b32_e32 v66, 1, v63
	v_lshrrev_b32_e32 v100, 3, v0
	v_add3_u32 v113, v61, v34, 0xae40
	v_lshlrev_b32_e32 v116, 5, v38
	v_lshlrev_b32_e32 v117, 5, v39
	;; [unrolled: 1-line block ×7, first 2 shown]
	v_mul_u32_u24_e32 v123, 0x104, v0
	v_mad_u32_u24 v126, 0x104, v0, s1
	v_add_co_ci_u32_e64 v20, null, s3, 0, s0
	v_lshlrev_b32_e32 v127, 2, v50
	v_lshlrev_b32_e32 v128, 2, v51
	v_add_nc_u32_e32 v129, v36, v37
	v_add_nc_u32_e32 v130, v26, v31
	;; [unrolled: 1-line block ×10, first 2 shown]
	v_mov_b32_e32 v139, 0xffff
	v_lshlrev_b32_e32 v140, 2, v35
	v_lshlrev_b32_e32 v141, 2, v29
	;; [unrolled: 1-line block ×3, first 2 shown]
	v_mov_b32_e32 v95, 0
	v_mov_b32_e32 v87, 0
	;; [unrolled: 1-line block ×32, first 2 shown]
	s_mov_b32 s9, 0
.LBB174_5:                              ; =>This Loop Header: Depth=1
                                        ;     Child Loop BB174_6 Depth 2
                                        ;     Child Loop BB174_8 Depth 2
	s_mul_i32 s0, s9, 0xb0
	s_mul_hi_u32 s1, s9, 0xb0
	s_add_u32 s0, s5, s0
	s_addc_u32 s1, s8, s1
	s_mov_b32 s11, -1
	v_mad_u64_u32 v[21:22], null, 0xb0, v60, s[0:1]
	v_mad_i64_i32 v[23:24], null, 0xb0, v67, v[21:22]
	v_mad_i64_i32 v[25:26], null, 0xb0, v68, v[21:22]
	;; [unrolled: 1-line block ×4, first 2 shown]
	v_add_co_u32 v27, vcc_lo, v23, v64
	v_add_co_ci_u32_e64 v28, null, 0, v24, vcc_lo
	v_add_co_u32 v23, vcc_lo, v23, v65
	v_add_co_ci_u32_e64 v24, null, 0, v24, vcc_lo
	;; [unrolled: 2-line block ×6, first 2 shown]
	v_add_co_u32 v143, vcc_lo, v33, v64
	v_mad_i64_i32 v[145:146], null, 0xb0, v72, v[21:22]
	v_add_co_ci_u32_e64 v144, null, 0, v34, vcc_lo
	v_add_co_u32 v33, vcc_lo, v33, v65
	v_add_co_ci_u32_e64 v34, null, 0, v34, vcc_lo
	s_clause 0x7
	global_load_dword v151, v[27:28], off offset:48
	global_load_dword v152, v[23:24], off offset:16
	;; [unrolled: 1-line block ×8, first 2 shown]
	v_mad_i64_i32 v[25:26], null, 0xb0, v73, v[21:22]
	v_add_co_u32 v23, vcc_lo, v145, v64
	v_mad_i64_i32 v[29:30], null, 0xb0, v75, v[21:22]
	v_add_co_ci_u32_e64 v24, null, 0, v146, vcc_lo
	v_add_co_u32 v27, vcc_lo, v145, v65
	v_add_co_ci_u32_e64 v28, null, 0, v146, vcc_lo
	v_add_co_u32 v31, vcc_lo, v25, v64
	v_mad_i64_i32 v[35:36], null, 0xb0, v76, v[21:22]
	v_add_co_ci_u32_e64 v32, null, 0, v26, vcc_lo
	v_add_co_u32 v25, vcc_lo, v25, v65
	v_add_co_ci_u32_e64 v26, null, 0, v26, vcc_lo
	;; [unrolled: 5-line block ×3, first 2 shown]
	v_add_co_u32 v145, vcc_lo, v35, v64
	v_add_co_ci_u32_e64 v146, null, 0, v36, vcc_lo
	v_add_co_u32 v35, vcc_lo, v35, v65
	v_add_co_ci_u32_e64 v36, null, 0, v36, vcc_lo
	v_add_co_u32 v147, vcc_lo, v143, v64
	v_mad_i64_i32 v[149:150], null, 0xb0, v80, v[21:22]
	v_add_co_ci_u32_e64 v148, null, 0, v144, vcc_lo
	v_add_co_u32 v143, vcc_lo, v143, v65
	v_add_co_ci_u32_e64 v144, null, 0, v144, vcc_lo
	s_clause 0x9
	global_load_dword v159, v[23:24], off offset:48
	global_load_dword v160, v[27:28], off offset:16
	;; [unrolled: 1-line block ×10, first 2 shown]
	v_mad_i64_i32 v[23:24], null, 0xb0, v81, v[21:22]
	v_add_co_u32 v25, vcc_lo, v149, v64
	v_add_co_ci_u32_e64 v26, null, 0, v150, vcc_lo
	v_add_co_u32 v27, vcc_lo, v149, v65
	v_add_co_ci_u32_e64 v28, null, 0, v150, vcc_lo
	;; [unrolled: 2-line block ×4, first 2 shown]
	s_clause 0x3
	global_load_dword v149, v[25:26], off offset:48
	global_load_dword v150, v[27:28], off offset:16
	;; [unrolled: 1-line block ×4, first 2 shown]
	v_mad_i64_i32 v[23:24], null, 0xb0, v83, v[21:22]
	v_mad_i64_i32 v[27:28], null, 0xb0, v84, v[21:22]
	;; [unrolled: 1-line block ×4, first 2 shown]
	v_add_co_u32 v25, vcc_lo, v23, v64
	v_add_co_ci_u32_e64 v26, null, 0, v24, vcc_lo
	v_add_co_u32 v23, vcc_lo, v23, v65
	v_add_co_ci_u32_e64 v24, null, 0, v24, vcc_lo
	s_clause 0x1
	global_load_dword v168, v[25:26], off offset:48
	global_load_dword v169, v[23:24], off offset:16
	v_mad_i64_i32 v[23:24], null, 0xb0, v85, v[21:22]
	v_add_co_u32 v25, vcc_lo, v27, v64
	v_add_co_ci_u32_e64 v26, null, 0, v28, vcc_lo
	v_add_co_u32 v27, vcc_lo, v27, v65
	v_add_co_ci_u32_e64 v28, null, 0, v28, vcc_lo
	v_add_co_u32 v29, vcc_lo, v23, v64
	v_mad_i64_i32 v[21:22], null, 0xb0, v88, v[21:22]
	v_add_co_ci_u32_e64 v30, null, 0, v24, vcc_lo
	v_add_co_u32 v23, vcc_lo, v23, v65
	v_add_co_ci_u32_e64 v24, null, 0, v24, vcc_lo
	v_add_co_u32 v33, vcc_lo, v31, v64
	;; [unrolled: 2-line block ×5, first 2 shown]
	v_add_co_ci_u32_e64 v22, null, 0, v22, vcc_lo
	s_clause 0x7
	global_load_dword v170, v[25:26], off offset:48
	global_load_dword v171, v[27:28], off offset:16
	;; [unrolled: 1-line block ×8, first 2 shown]
	v_mad_i64_i32 v[23:24], null, 0xb0, v98, s[0:1]
	v_add_co_u32 v25, vcc_lo, v143, v127
	v_mad_i64_i32 v[21:22], null, 0xb0, v89, s[0:1]
	s_lshl_b32 s0, s9, 3
	v_add_co_ci_u32_e64 v26, null, 0, v144, vcc_lo
	v_add_co_u32 v27, vcc_lo, v143, v128
	v_add_nc_u32_e32 v31, s0, v100
	v_add_co_ci_u32_e64 v28, null, 0, v144, vcc_lo
	v_add_co_u32 v29, vcc_lo, v23, v127
	v_add_co_ci_u32_e64 v30, null, 0, v24, vcc_lo
	v_add_co_u32 v23, vcc_lo, v23, v128
	v_add_co_ci_u32_e64 v24, null, 0, v24, vcc_lo
	v_add_nc_u32_e32 v32, v31, v101
	s_clause 0x4
	global_load_dword v178, v[21:22], off
	global_load_dword v179, v[25:26], off offset:4
	global_load_dword v180, v[27:28], off offset:4
	;; [unrolled: 1-line block ×4, first 2 shown]
	v_add_nc_u32_e32 v23, v31, v102
	v_add_nc_u32_e32 v25, v31, v103
	;; [unrolled: 1-line block ×4, first 2 shown]
	v_mad_i64_i32 v[21:22], null, v32, 36, v[19:20]
	v_add_nc_u32_e32 v32, v31, v106
	v_mad_i64_i32 v[23:24], null, v23, 36, v[19:20]
	v_add_nc_u32_e32 v33, v31, v107
	;; [unrolled: 2-line block ×3, first 2 shown]
	v_add_nc_u32_e32 v148, s0, v18
	v_mad_i64_i32 v[27:28], null, v27, 36, v[19:20]
	v_mad_i64_i32 v[29:30], null, v29, 36, v[19:20]
	;; [unrolled: 1-line block ×5, first 2 shown]
	v_mad_u64_u32 v[143:144], null, v148, 36, s[2:3]
	s_clause 0x8
	global_load_dword v21, v[21:22], off offset:4
	global_load_dword v22, v[23:24], off offset:4
	global_load_dword v23, v[25:26], off offset:4
	global_load_dword v24, v[27:28], off offset:4
	global_load_dword v25, v[29:30], off offset:4
	global_load_dword v26, v[31:32], off offset:4
	global_load_dword v27, v[33:34], off offset:4
	global_load_dword v28, v[35:36], off offset:4
	global_load_dword v29, v[143:144], off
	s_mov_b32 s1, 0
	s_waitcnt vmcnt(45)
	v_lshrrev_b32_e32 v31, 4, v151
	s_waitcnt vmcnt(44)
	v_ashrrev_i32_e32 v32, v63, v152
	v_ashrrev_i32_e32 v33, v66, v152
	s_waitcnt vmcnt(43)
	v_lshrrev_b32_e32 v35, 4, v153
	s_waitcnt vmcnt(42)
	v_ashrrev_i32_e32 v36, v63, v154
	v_ashrrev_i32_e32 v143, v66, v154
	v_and_b32_e32 v30, 0xf0f0f0f, v151
	v_and_b32_e32 v34, 0xf0f0f0f, v153
	s_waitcnt vmcnt(41)
	v_lshrrev_b32_e32 v151, 4, v155
	s_waitcnt vmcnt(40)
	v_ashrrev_i32_e32 v152, v63, v156
	v_ashrrev_i32_e32 v153, v66, v156
	v_and_b32_e32 v144, 0xf0f0f0f, v155
	s_waitcnt vmcnt(39)
	v_and_b32_e32 v154, 0xf0f0f0f, v157
	v_lshrrev_b32_e32 v155, 4, v157
	s_waitcnt vmcnt(38)
	v_ashrrev_i32_e32 v156, v63, v158
	v_ashrrev_i32_e32 v157, v66, v158
	v_and_b32_e32 v31, 0xf0f0f0f, v31
	v_lshlrev_b32_e32 v32, 4, v32
	v_lshlrev_b32_e32 v33, 4, v33
	v_and_b32_e32 v35, 0xf0f0f0f, v35
	v_lshlrev_b32_e32 v36, 4, v36
	v_lshlrev_b32_e32 v143, 4, v143
	v_and_b32_e32 v151, 0xf0f0f0f, v151
	v_lshlrev_b32_e32 v152, 4, v152
	v_lshlrev_b32_e32 v153, 4, v153
	v_and_b32_e32 v155, 0xf0f0f0f, v155
	v_lshlrev_b32_e32 v156, 4, v156
	v_lshlrev_b32_e32 v157, 4, v157
	v_and_or_b32 v30, 0x10101010, v32, v30
	v_and_or_b32 v31, 0x10101010, v33, v31
	;; [unrolled: 1-line block ×8, first 2 shown]
	s_waitcnt vmcnt(37)
	v_and_b32_e32 v158, 0xf0f0f0f, v159
	v_lshrrev_b32_e32 v159, 4, v159
	s_waitcnt vmcnt(36)
	v_ashrrev_i32_e32 v183, v63, v160
	v_ashrrev_i32_e32 v160, v66, v160
	s_waitcnt vmcnt(35)
	v_and_b32_e32 v184, 0xf0f0f0f, v161
	v_lshrrev_b32_e32 v161, 4, v161
	s_waitcnt vmcnt(34)
	v_ashrrev_i32_e32 v185, v63, v162
	v_ashrrev_i32_e32 v162, v66, v162
	;; [unrolled: 6-line block ×5, first 2 shown]
	v_and_b32_e32 v159, 0xf0f0f0f, v159
	v_lshlrev_b32_e32 v183, 4, v183
	v_lshlrev_b32_e32 v160, 4, v160
	v_and_b32_e32 v161, 0xf0f0f0f, v161
	v_lshlrev_b32_e32 v185, 4, v185
	s_waitcnt vmcnt(27)
	v_and_b32_e32 v192, 0xf0f0f0f, v149
	v_lshrrev_b32_e32 v149, 4, v149
	s_waitcnt vmcnt(26)
	v_ashrrev_i32_e32 v193, v63, v150
	v_ashrrev_i32_e32 v150, v66, v150
	s_waitcnt vmcnt(24)
	v_ashrrev_i32_e32 v195, v63, v167
	v_lshlrev_b32_e32 v162, 4, v162
	v_and_b32_e32 v163, 0xf0f0f0f, v163
	v_lshlrev_b32_e32 v187, 4, v187
	v_lshlrev_b32_e32 v164, 4, v164
	v_and_b32_e32 v145, 0xf0f0f0f, v145
	v_lshlrev_b32_e32 v189, 4, v189
	;; [unrolled: 3-line block ×3, first 2 shown]
	v_lshlrev_b32_e32 v165, 4, v165
	v_lshrrev_b32_e32 v194, 4, v166
	v_ashrrev_i32_e32 v167, v66, v167
	v_and_or_b32 v144, 0x10101010, v183, v158
	v_and_or_b32 v151, 0x10101010, v160, v159
	v_and_b32_e32 v149, 0xf0f0f0f, v149
	v_lshlrev_b32_e32 v193, 4, v193
	v_and_or_b32 v152, 0x10101010, v185, v184
	v_and_or_b32 v153, 0x10101010, v162, v161
	;; [unrolled: 1-line block ×8, first 2 shown]
	ds_write2_b32 v2, v30, v31 offset1:8
	ds_write2_b32 v3, v32, v33 offset1:8
	ds_write2_b32 v4, v34, v35 offset1:8
	ds_write2_b32 v5, v36, v143 offset1:8
	ds_write2_b32 v6, v144, v151 offset1:8
	ds_write2_b32 v7, v152, v153 offset1:8
	ds_write2_b32 v8, v154, v155 offset1:8
	ds_write2_b32 v9, v156, v145 offset1:8
	ds_write2_b32 v10, v146, v147 offset1:8
	v_lshlrev_b32_e32 v30, 4, v150
	v_and_b32_e32 v31, 0xf0f0f0f, v166
	v_lshlrev_b32_e32 v32, 4, v195
	v_and_b32_e32 v33, 0xf0f0f0f, v194
	v_lshlrev_b32_e32 v34, 4, v167
	v_and_or_b32 v35, 0x10101010, v193, v192
	v_and_or_b32 v30, 0x10101010, v30, v149
	;; [unrolled: 1-line block ×3, first 2 shown]
	s_waitcnt vmcnt(22)
	v_ashrrev_i32_e32 v32, v63, v169
	v_lshrrev_b32_e32 v36, 4, v168
	v_ashrrev_i32_e32 v143, v66, v169
	v_and_or_b32 v33, 0x10101010, v34, v33
	v_and_b32_e32 v34, 0xf0f0f0f, v168
	v_lshlrev_b32_e32 v32, 4, v32
	ds_write2_b32 v11, v35, v30 offset1:8
	ds_write2_b32 v12, v31, v33 offset1:8
	v_and_b32_e32 v30, 0xf0f0f0f, v36
	v_lshlrev_b32_e32 v31, 4, v143
	v_and_or_b32 v32, 0x10101010, v32, v34
	s_waitcnt vmcnt(21)
	v_lshrrev_b32_e32 v34, 4, v170
	s_waitcnt vmcnt(20)
	v_ashrrev_i32_e32 v33, v63, v171
	v_ashrrev_i32_e32 v35, v66, v171
	v_and_or_b32 v30, 0x10101010, v31, v30
	v_and_b32_e32 v31, 0xf0f0f0f, v170
	v_and_b32_e32 v34, 0xf0f0f0f, v34
	v_lshlrev_b32_e32 v33, 4, v33
	v_lshlrev_b32_e32 v35, 4, v35
	ds_write2_b32 v13, v32, v30 offset1:8
	s_waitcnt vmcnt(18)
	v_ashrrev_i32_e32 v32, v63, v173
	s_waitcnt vmcnt(17)
	v_lshrrev_b32_e32 v36, 4, v174
	s_waitcnt vmcnt(16)
	v_ashrrev_i32_e32 v143, v63, v175
	v_ashrrev_i32_e32 v144, v66, v175
	v_lshrrev_b32_e32 v30, 4, v172
	v_and_or_b32 v31, 0x10101010, v33, v31
	v_and_or_b32 v33, 0x10101010, v35, v34
	v_and_b32_e32 v34, 0xf0f0f0f, v172
	v_ashrrev_i32_e32 v35, v66, v173
	v_lshlrev_b32_e32 v32, 4, v32
	v_and_b32_e32 v145, 0xf0f0f0f, v174
	v_and_b32_e32 v36, 0xf0f0f0f, v36
	v_lshlrev_b32_e32 v143, 4, v143
	v_lshlrev_b32_e32 v144, 4, v144
	v_and_b32_e32 v30, 0xf0f0f0f, v30
	v_lshlrev_b32_e32 v35, 4, v35
	ds_write2_b32 v14, v31, v33 offset1:8
	v_and_or_b32 v31, 0x10101010, v32, v34
	v_and_or_b32 v32, 0x10101010, v143, v145
	;; [unrolled: 1-line block ×3, first 2 shown]
	s_waitcnt vmcnt(15)
	v_lshrrev_b32_e32 v34, 4, v176
	s_waitcnt vmcnt(14)
	v_ashrrev_i32_e32 v36, v63, v177
	v_ashrrev_i32_e32 v143, v66, v177
	s_waitcnt vmcnt(12)
	v_ashrrev_i32_e32 v144, v94, v179
	s_waitcnt vmcnt(10)
	v_ashrrev_i32_e32 v145, v94, v181
	v_and_or_b32 v30, 0x10101010, v35, v30
	v_and_b32_e32 v35, 0xf0f0f0f, v176
	v_and_b32_e32 v34, 0xf0f0f0f, v34
	v_lshlrev_b32_e32 v36, 4, v36
	v_lshlrev_b32_e32 v143, 4, v143
	v_and_b32_e32 v144, 0xf0f0f0f, v144
	v_ashrrev_i32_e32 v146, v96, v180
	v_and_b32_e32 v145, 0xf0f0f0f, v145
	s_waitcnt vmcnt(9)
	v_ashrrev_i32_e32 v147, v96, v182
	v_and_or_b32 v35, 0x10101010, v36, v35
	v_and_or_b32 v34, 0x10101010, v143, v34
	ds_write2_b32 v15, v31, v30 offset1:8
	v_and_or_b32 v30, 0x30303030, v146, v144
	v_and_or_b32 v31, 0x30303030, v147, v145
	ds_write2_b32 v16, v32, v33 offset1:8
	ds_write2_b32 v17, v35, v34 offset1:8
	ds_write_b32 v90, v178
	ds_write_b32 v129, v30
	;; [unrolled: 1-line block ×3, first 2 shown]
	s_waitcnt vmcnt(8)
	ds_write_b32 v131, v21
	s_waitcnt vmcnt(7)
	ds_write_b32 v132, v22
	;; [unrolled: 2-line block ×9, first 2 shown]
	s_waitcnt lgkmcnt(0)
	s_barrier
	buffer_gl0_inv
	ds_read_b32 v21, v112
	ds_read_b32 v22, v113 offset:128
	ds_read_b32 v23, v114 offset:256
	;; [unrolled: 1-line block ×3, first 2 shown]
	s_waitcnt lgkmcnt(3)
	v_cvt_f32_f16_e32 v149, v21
	v_cvt_f32_f16_sdwa v150, v21 dst_sel:DWORD dst_unused:UNUSED_PAD src0_sel:WORD_1
	s_waitcnt lgkmcnt(2)
	v_cvt_f32_f16_sdwa v151, v22 dst_sel:DWORD dst_unused:UNUSED_PAD src0_sel:WORD_1
	v_cvt_f32_f16_e32 v152, v22
	s_waitcnt lgkmcnt(1)
	v_cvt_f32_f16_sdwa v153, v23 dst_sel:DWORD dst_unused:UNUSED_PAD src0_sel:WORD_1
	v_cvt_f32_f16_e32 v154, v23
	;; [unrolled: 3-line block ×3, first 2 shown]
.LBB174_6:                              ;   Parent Loop BB174_5 Depth=1
                                        ; =>  This Inner Loop Header: Depth=2
	s_lshl_b32 s15, s1, 1
	s_lshl_b32 s16, s1, 3
	v_or_b32_e32 v143, s15, v78
	v_add_nc_u32_e32 v144, s16, v123
	v_add_nc_u32_e32 v158, s16, v124
	;; [unrolled: 1-line block ×4, first 2 shown]
	v_lshlrev_b32_e32 v147, 2, v143
	v_mov_b32_e32 v145, 0
	v_mov_b32_e32 v146, 0
	v_mov_b32_e32 v157, 0
	ds_read2_b32 v[21:22], v144 offset1:1
	ds_read_b128 v[165:168], v147 offset:33280
	ds_read2_b32 v[23:24], v158 offset1:1
	ds_read2_b32 v[25:26], v160 offset1:1
	ds_read2_b32 v[31:32], v158 offset0:2 offset1:3
	ds_read2_b32 v[29:30], v144 offset0:2 offset1:3
	ds_read2_b32 v[27:28], v164 offset1:1
	ds_read2_b32 v[35:36], v164 offset0:2 offset1:3
	ds_read2_b32 v[33:34], v160 offset0:2 offset1:3
	v_mov_b32_e32 v159, 0
	v_or_b32_e32 v162, s15, v116
	v_mov_b32_e32 v161, 0
	v_mov_b32_e32 v163, 0
	;; [unrolled: 1-line block ×7, first 2 shown]
	v_or_b32_e32 v198, s15, v122
	v_mov_b32_e32 v197, 0
	v_mov_b32_e32 v238, 0
	s_waitcnt lgkmcnt(7)
	v_dot4c_i32_i8 v145, v21, v165
	s_waitcnt lgkmcnt(6)
	v_dot4c_i32_i8 v146, v23, v165
	;; [unrolled: 2-line block ×3, first 2 shown]
	v_mov_b32_e32 v239, 0
	v_mov_b32_e32 v217, 0
	s_waitcnt lgkmcnt(2)
	v_dot4c_i32_i8 v159, v27, v165
	v_dot4c_i32_i8 v145, v22, v166
	;; [unrolled: 1-line block ×4, first 2 shown]
	v_mov_b32_e32 v165, 0
	v_dot4c_i32_i8 v159, v28, v166
	v_dot4c_i32_i8 v145, v29, v167
	;; [unrolled: 1-line block ×3, first 2 shown]
	s_waitcnt lgkmcnt(0)
	v_dot4c_i32_i8 v157, v33, v167
	v_lshlrev_b32_e32 v166, 2, v162
	v_dot4c_i32_i8 v159, v35, v167
	v_dot4c_i32_i8 v145, v30, v168
	;; [unrolled: 1-line block ×4, first 2 shown]
	v_mov_b32_e32 v167, 0
	v_dot4c_i32_i8 v159, v36, v168
	ds_read_b128 v[168:171], v166 offset:33280
	v_mov_b32_e32 v216, 0
	v_mov_b32_e32 v215, 0
	;; [unrolled: 1-line block ×12, first 2 shown]
	s_lshr_b32 s1, s1, 2
	s_and_b32 vcc_lo, exec_lo, s11
	s_add_i32 s1, s1, 0xa200
	s_mov_b32 s11, 0
	s_waitcnt lgkmcnt(0)
	v_dot4c_i32_i8 v161, v21, v168
	v_dot4c_i32_i8 v163, v23, v168
	v_dot4c_i32_i8 v165, v25, v168
	v_dot4c_i32_i8 v167, v27, v168
	v_mov_b32_e32 v168, 0
	v_dot4c_i32_i8 v161, v22, v169
	v_dot4c_i32_i8 v163, v24, v169
	v_dot4c_i32_i8 v165, v26, v169
	v_dot4c_i32_i8 v167, v28, v169
	v_or_b32_e32 v169, s15, v117
	v_dot4c_i32_i8 v161, v29, v170
	v_dot4c_i32_i8 v163, v31, v170
	v_dot4c_i32_i8 v165, v33, v170
	v_dot4c_i32_i8 v167, v35, v170
	v_lshlrev_b32_e32 v173, 2, v169
	v_dot4c_i32_i8 v161, v30, v171
	v_dot4c_i32_i8 v163, v32, v171
	v_dot4c_i32_i8 v165, v34, v171
	v_dot4c_i32_i8 v167, v36, v171
	ds_read_b128 v[174:177], v173 offset:33280
	v_mov_b32_e32 v170, 0
	v_mov_b32_e32 v171, 0
	s_waitcnt lgkmcnt(0)
	v_dot4c_i32_i8 v168, v21, v174
	v_dot4c_i32_i8 v170, v23, v174
	v_dot4c_i32_i8 v171, v25, v174
	v_dot4c_i32_i8 v172, v27, v174
	v_mov_b32_e32 v174, 0
	v_dot4c_i32_i8 v168, v22, v175
	v_dot4c_i32_i8 v170, v24, v175
	v_dot4c_i32_i8 v171, v26, v175
	v_dot4c_i32_i8 v172, v28, v175
	v_or_b32_e32 v175, s15, v118
	v_dot4c_i32_i8 v168, v29, v176
	v_dot4c_i32_i8 v170, v31, v176
	v_dot4c_i32_i8 v171, v33, v176
	v_dot4c_i32_i8 v172, v35, v176
	v_lshlrev_b32_e32 v179, 2, v175
	v_dot4c_i32_i8 v168, v30, v177
	v_dot4c_i32_i8 v170, v32, v177
	v_dot4c_i32_i8 v171, v34, v177
	v_dot4c_i32_i8 v172, v36, v177
	ds_read_b128 v[180:183], v179 offset:33280
	v_mov_b32_e32 v176, 0
	v_mov_b32_e32 v177, 0
	;; [unrolled: 23-line block ×5, first 2 shown]
	s_waitcnt lgkmcnt(0)
	v_dot4c_i32_i8 v192, v21, v200
	v_dot4c_i32_i8 v194, v23, v200
	;; [unrolled: 1-line block ×4, first 2 shown]
	v_lshlrev_b32_e32 v200, 2, v198
	v_dot4c_i32_i8 v192, v22, v201
	v_dot4c_i32_i8 v194, v24, v201
	;; [unrolled: 1-line block ×12, first 2 shown]
	ds_read_b128 v[201:204], v200 offset:33280
	s_waitcnt lgkmcnt(0)
	v_dot4c_i32_i8 v197, v21, v201
	v_mov_b32_e32 v21, 0
	v_dot4c_i32_i8 v197, v22, v202
	v_mov_b32_e32 v22, 0
	;; [unrolled: 2-line block ×3, first 2 shown]
	v_dot4c_i32_i8 v197, v29, v203
	v_dot4c_i32_i8 v22, v25, v201
	;; [unrolled: 1-line block ×4, first 2 shown]
	v_mov_b32_e32 v201, 0
	v_dot4c_i32_i8 v197, v30, v204
	v_dot4c_i32_i8 v22, v26, v202
	ds_read2_b32 v[222:223], v144 offset0:8 offset1:9
	ds_read_b128 v[24:27], v147 offset:33312
	ds_read2_b32 v[224:225], v158 offset0:8 offset1:9
	ds_read2_b32 v[226:227], v160 offset0:8 offset1:9
	;; [unrolled: 1-line block ×7, first 2 shown]
	ds_read_b128 v[218:221], v199 offset:33312
	v_dot4c_i32_i8 v23, v28, v202
	v_dot4c_i32_i8 v21, v31, v203
	;; [unrolled: 1-line block ×3, first 2 shown]
	v_mov_b32_e32 v202, 0
	v_mov_b32_e32 v31, 0
	v_dot4c_i32_i8 v23, v35, v203
	v_dot4c_i32_i8 v21, v32, v204
	;; [unrolled: 1-line block ×3, first 2 shown]
	v_mov_b32_e32 v203, 0
	v_mov_b32_e32 v35, 0
	v_dot4c_i32_i8 v23, v36, v204
	s_waitcnt lgkmcnt(8)
	v_dot4c_i32_i8 v238, v222, v24
	s_waitcnt lgkmcnt(7)
	v_dot4c_i32_i8 v239, v224, v24
	s_waitcnt lgkmcnt(6)
	v_dot4c_i32_i8 v217, v226, v24
	v_mov_b32_e32 v204, 0
	v_mov_b32_e32 v36, 0
	s_waitcnt lgkmcnt(3)
	v_dot4c_i32_i8 v216, v228, v24
	v_dot4c_i32_i8 v238, v223, v25
	;; [unrolled: 1-line block ×4, first 2 shown]
	v_mov_b32_e32 v34, 0
	v_dot4c_i32_i8 v216, v229, v25
	v_dot4c_i32_i8 v238, v230, v26
	;; [unrolled: 1-line block ×3, first 2 shown]
	s_waitcnt lgkmcnt(1)
	v_dot4c_i32_i8 v217, v234, v26
	v_mov_b32_e32 v32, 0
	v_dot4c_i32_i8 v216, v236, v26
	v_dot4c_i32_i8 v238, v231, v27
	;; [unrolled: 1-line block ×4, first 2 shown]
	v_mov_b32_e32 v30, 0
	v_dot4c_i32_i8 v216, v237, v27
	ds_read_b128 v[24:27], v166 offset:33312
	v_mov_b32_e32 v29, 0
	v_mov_b32_e32 v28, 0
	s_waitcnt lgkmcnt(1)
	v_dot4c_i32_i8 v30, v222, v218
	v_mov_b32_e32 v33, 0
	v_dot4c_i32_i8 v29, v224, v218
	v_dot4c_i32_i8 v28, v226, v218
	;; [unrolled: 1-line block ×9, first 2 shown]
	s_waitcnt lgkmcnt(0)
	v_dot4c_i32_i8 v215, v222, v24
	v_dot4c_i32_i8 v214, v224, v24
	;; [unrolled: 1-line block ×18, first 2 shown]
	ds_read_b128 v[24:27], v173 offset:33312
	s_waitcnt lgkmcnt(0)
	v_dot4c_i32_i8 v211, v222, v24
	v_dot4c_i32_i8 v210, v224, v24
	v_dot4c_i32_i8 v209, v226, v24
	v_dot4c_i32_i8 v208, v228, v24
	v_dot4c_i32_i8 v211, v223, v25
	v_dot4c_i32_i8 v210, v225, v25
	v_dot4c_i32_i8 v209, v227, v25
	v_dot4c_i32_i8 v208, v229, v25
	v_dot4c_i32_i8 v211, v230, v26
	v_dot4c_i32_i8 v210, v232, v26
	v_dot4c_i32_i8 v209, v234, v26
	v_dot4c_i32_i8 v208, v236, v26
	v_dot4c_i32_i8 v211, v231, v27
	v_dot4c_i32_i8 v210, v233, v27
	v_dot4c_i32_i8 v209, v235, v27
	v_dot4c_i32_i8 v208, v237, v27
	ds_read_b128 v[24:27], v179 offset:33312
	s_waitcnt lgkmcnt(0)
	v_dot4c_i32_i8 v207, v222, v24
	v_dot4c_i32_i8 v206, v224, v24
	v_dot4c_i32_i8 v205, v226, v24
	v_dot4c_i32_i8 v204, v228, v24
	v_dot4c_i32_i8 v207, v223, v25
	v_dot4c_i32_i8 v206, v225, v25
	v_dot4c_i32_i8 v205, v227, v25
	v_dot4c_i32_i8 v204, v229, v25
	v_dot4c_i32_i8 v207, v230, v26
	v_dot4c_i32_i8 v206, v232, v26
	v_dot4c_i32_i8 v205, v234, v26
	v_dot4c_i32_i8 v204, v236, v26
	v_dot4c_i32_i8 v207, v231, v27
	v_dot4c_i32_i8 v206, v233, v27
	v_dot4c_i32_i8 v205, v235, v27
	v_dot4c_i32_i8 v204, v237, v27
	;; [unrolled: 18-line block ×3, first 2 shown]
	ds_read_b128 v[24:27], v191 offset:33312
	s_waitcnt lgkmcnt(0)
	v_dot4c_i32_i8 v35, v222, v24
	v_dot4c_i32_i8 v34, v224, v24
	v_dot4c_i32_i8 v32, v226, v24
	v_dot4c_i32_i8 v31, v228, v24
	v_mov_b32_e32 v24, 0
	v_dot4c_i32_i8 v35, v223, v25
	v_dot4c_i32_i8 v34, v225, v25
	v_dot4c_i32_i8 v32, v227, v25
	v_dot4c_i32_i8 v31, v229, v25
	v_mov_b32_e32 v25, 0
	;; [unrolled: 5-line block ×4, first 2 shown]
	v_dot4c_i32_i8 v27, v228, v218
	v_dot4c_i32_i8 v27, v229, v219
	;; [unrolled: 1-line block ×4, first 2 shown]
	ds_read_b128 v[218:221], v200 offset:33312
	s_waitcnt lgkmcnt(0)
	v_dot4c_i32_i8 v24, v222, v218
	v_dot4c_i32_i8 v25, v224, v218
	;; [unrolled: 1-line block ×16, first 2 shown]
	ds_read2_b32 v[222:223], v144 offset0:4 offset1:5
	ds_read_b128 v[218:221], v147 offset:33296
	ds_read2_b32 v[224:225], v158 offset0:4 offset1:5
	ds_read2_b32 v[226:227], v160 offset0:4 offset1:5
	;; [unrolled: 1-line block ×7, first 2 shown]
	s_waitcnt lgkmcnt(7)
	v_dot4c_i32_i8 v145, v222, v218
	s_waitcnt lgkmcnt(6)
	v_dot4c_i32_i8 v146, v224, v218
	;; [unrolled: 2-line block ×4, first 2 shown]
	v_dot4c_i32_i8 v145, v223, v219
	v_dot4c_i32_i8 v146, v225, v219
	;; [unrolled: 1-line block ×6, first 2 shown]
	s_waitcnt lgkmcnt(0)
	v_dot4c_i32_i8 v157, v234, v220
	v_dot4c_i32_i8 v159, v236, v220
	v_dot4c_i32_i8 v145, v231, v221
	v_dot4c_i32_i8 v146, v233, v221
	v_dot4c_i32_i8 v157, v235, v221
	v_dot4c_i32_i8 v159, v237, v221
	ds_read_b128 v[218:221], v166 offset:33296
	s_waitcnt lgkmcnt(0)
	v_dot4c_i32_i8 v161, v222, v218
	v_dot4c_i32_i8 v163, v224, v218
	v_dot4c_i32_i8 v165, v226, v218
	v_dot4c_i32_i8 v167, v228, v218
	v_dot4c_i32_i8 v161, v223, v219
	v_dot4c_i32_i8 v163, v225, v219
	v_dot4c_i32_i8 v165, v227, v219
	v_dot4c_i32_i8 v167, v229, v219
	v_dot4c_i32_i8 v161, v230, v220
	v_dot4c_i32_i8 v163, v232, v220
	v_dot4c_i32_i8 v165, v234, v220
	v_dot4c_i32_i8 v167, v236, v220
	v_dot4c_i32_i8 v161, v231, v221
	v_dot4c_i32_i8 v163, v233, v221
	v_dot4c_i32_i8 v165, v235, v221
	v_dot4c_i32_i8 v167, v237, v221
	ds_read_b128 v[218:221], v173 offset:33296
	s_waitcnt lgkmcnt(0)
	v_dot4c_i32_i8 v168, v222, v218
	v_dot4c_i32_i8 v170, v224, v218
	v_dot4c_i32_i8 v171, v226, v218
	v_dot4c_i32_i8 v172, v228, v218
	v_dot4c_i32_i8 v168, v223, v219
	v_dot4c_i32_i8 v170, v225, v219
	v_dot4c_i32_i8 v171, v227, v219
	v_dot4c_i32_i8 v172, v229, v219
	v_dot4c_i32_i8 v168, v230, v220
	v_dot4c_i32_i8 v170, v232, v220
	;; [unrolled: 18-line block ×7, first 2 shown]
	v_dot4c_i32_i8 v22, v234, v220
	v_dot4c_i32_i8 v23, v236, v220
	;; [unrolled: 1-line block ×6, first 2 shown]
	ds_read2_b32 v[222:223], v144 offset0:12 offset1:13
	ds_read_b128 v[218:221], v147 offset:33328
	ds_read2_b32 v[224:225], v158 offset0:12 offset1:13
	ds_read2_b32 v[226:227], v160 offset0:12 offset1:13
	;; [unrolled: 1-line block ×7, first 2 shown]
	v_lshrrev_b32_e32 v147, 1, v143
	v_lshlrev_b32_e32 v143, 2, v100
	v_lshlrev_b32_e32 v144, 2, v61
	v_add3_u32 v158, s1, v143, v144
	s_waitcnt lgkmcnt(7)
	v_dot4c_i32_i8 v238, v222, v218
	s_waitcnt lgkmcnt(6)
	v_dot4c_i32_i8 v239, v224, v218
	;; [unrolled: 2-line block ×3, first 2 shown]
	ds_read_u16 v160, v158
	s_waitcnt lgkmcnt(3)
	v_dot4c_i32_i8 v216, v228, v218
	v_dot4c_i32_i8 v238, v223, v219
	;; [unrolled: 1-line block ×7, first 2 shown]
	s_waitcnt lgkmcnt(2)
	v_dot4c_i32_i8 v217, v234, v220
	s_waitcnt lgkmcnt(1)
	v_dot4c_i32_i8 v216, v236, v220
	v_dot4c_i32_i8 v238, v231, v221
	v_dot4c_i32_i8 v239, v233, v221
	v_dot4c_i32_i8 v217, v235, v221
	v_dot4c_i32_i8 v216, v237, v221
	ds_read_b128 v[218:221], v166 offset:33328
	s_waitcnt lgkmcnt(0)
	v_dot4c_i32_i8 v215, v222, v218
	v_dot4c_i32_i8 v214, v224, v218
	v_dot4c_i32_i8 v213, v226, v218
	v_dot4c_i32_i8 v212, v228, v218
	v_dot4c_i32_i8 v215, v223, v219
	v_dot4c_i32_i8 v214, v225, v219
	v_dot4c_i32_i8 v213, v227, v219
	v_dot4c_i32_i8 v212, v229, v219
	v_dot4c_i32_i8 v215, v230, v220
	v_dot4c_i32_i8 v214, v232, v220
	v_dot4c_i32_i8 v213, v234, v220
	v_dot4c_i32_i8 v212, v236, v220
	v_dot4c_i32_i8 v215, v231, v221
	v_dot4c_i32_i8 v214, v233, v221
	v_dot4c_i32_i8 v213, v235, v221
	v_dot4c_i32_i8 v212, v237, v221
	ds_read_b128 v[218:221], v173 offset:33328
	s_waitcnt lgkmcnt(0)
	v_dot4c_i32_i8 v211, v222, v218
	v_dot4c_i32_i8 v210, v224, v218
	v_dot4c_i32_i8 v209, v226, v218
	v_dot4c_i32_i8 v208, v228, v218
	v_dot4c_i32_i8 v211, v223, v219
	v_dot4c_i32_i8 v210, v225, v219
	v_dot4c_i32_i8 v209, v227, v219
	v_dot4c_i32_i8 v208, v229, v219
	v_dot4c_i32_i8 v211, v230, v220
	v_dot4c_i32_i8 v210, v232, v220
	v_dot4c_i32_i8 v209, v234, v220
	;; [unrolled: 18-line block ×6, first 2 shown]
	v_dot4c_i32_i8 v27, v236, v220
	v_dot4c_i32_i8 v30, v231, v221
	;; [unrolled: 1-line block ×5, first 2 shown]
	ds_read_b128 v[218:221], v200 offset:33328
	ds_read_b64 v[199:200], v147 offset:43584
	v_and_b32_sdwa v164, v139, v160 dst_sel:DWORD dst_unused:UNUSED_PAD src0_sel:DWORD src1_sel:BYTE_1
	v_and_b32_e32 v160, 0xff, v160
	v_mul_lo_u32 v166, v238, v164
	v_mul_lo_u32 v145, v145, v160
	;; [unrolled: 1-line block ×4, first 2 shown]
	v_cvt_f32_i32_e32 v166, v166
	v_cvt_f32_i32_e32 v145, v145
	s_waitcnt lgkmcnt(1)
	v_dot4c_i32_i8 v24, v222, v218
	s_waitcnt lgkmcnt(0)
	v_fma_mix_f32 v145, v199, v145, 0 op_sel_hi:[1,0,0]
	v_dot4c_i32_i8 v25, v224, v218
	v_dot4c_i32_i8 v26, v226, v218
	;; [unrolled: 1-line block ×4, first 2 shown]
	v_fma_mix_f32 v166, v200, v166, v145 op_sel_hi:[1,0,0]
	v_lshlrev_b32_e32 v145, 2, v109
	v_dot4c_i32_i8 v25, v225, v219
	v_dot4c_i32_i8 v26, v227, v219
	;; [unrolled: 1-line block ×4, first 2 shown]
	v_add3_u32 v173, s1, v145, v140
	v_dot4c_i32_i8 v25, v232, v220
	v_dot4c_i32_i8 v26, v234, v220
	;; [unrolled: 1-line block ×4, first 2 shown]
	ds_read_u16 v147, v173
	v_dot4c_i32_i8 v25, v233, v221
	v_dot4c_i32_i8 v26, v235, v221
	;; [unrolled: 1-line block ×3, first 2 shown]
	v_mul_lo_u32 v24, v24, v164
	v_cvt_f32_i32_e32 v24, v24
	s_waitcnt lgkmcnt(0)
	v_and_b32_e32 v179, 0xff, v147
	v_and_b32_sdwa v185, v139, v147 dst_sel:DWORD dst_unused:UNUSED_PAD src0_sel:DWORD src1_sel:BYTE_1
	v_mul_lo_u32 v146, v146, v179
	v_mul_lo_u32 v147, v239, v185
	;; [unrolled: 1-line block ×6, first 2 shown]
	v_cvt_f32_i32_e32 v146, v146
	v_cvt_f32_i32_e32 v147, v147
	;; [unrolled: 1-line block ×5, first 2 shown]
	v_fma_mix_f32 v146, v199, v146, 0 op_sel_hi:[1,0,0]
	v_cvt_f32_i32_e32 v25, v25
	v_fma_mix_f32 v191, v200, v147, v146 op_sel_hi:[1,0,0]
	v_lshlrev_b32_e32 v146, 2, v110
	v_add3_u32 v218, s1, v146, v141
	ds_read_u16 v147, v218
	s_waitcnt lgkmcnt(0)
	v_and_b32_e32 v219, 0xff, v147
	v_and_b32_sdwa v220, v139, v147 dst_sel:DWORD dst_unused:UNUSED_PAD src0_sel:DWORD src1_sel:BYTE_1
	v_mul_lo_u32 v147, v157, v219
	v_mul_lo_u32 v157, v217, v220
	;; [unrolled: 1-line block ×6, first 2 shown]
	v_cvt_f32_i32_e32 v147, v147
	v_cvt_f32_i32_e32 v157, v157
	;; [unrolled: 1-line block ×5, first 2 shown]
	v_fma_mix_f32 v147, v199, v147, 0 op_sel_hi:[1,0,0]
	v_fma_mix_f32 v217, v200, v157, v147 op_sel_hi:[1,0,0]
	v_lshlrev_b32_e32 v147, 2, v111
	v_add3_u32 v157, s1, v147, v142
	s_mov_b32 s1, 8
	ds_read_u16 v221, v157
	s_waitcnt lgkmcnt(0)
	v_and_b32_e32 v222, 0xff, v221
	v_and_b32_sdwa v221, v139, v221 dst_sel:DWORD dst_unused:UNUSED_PAD src0_sel:DWORD src1_sel:BYTE_1
	v_mul_lo_u32 v159, v159, v222
	v_mul_lo_u32 v216, v216, v221
	;; [unrolled: 1-line block ×7, first 2 shown]
	v_cvt_f32_i32_e32 v159, v159
	v_cvt_f32_i32_e32 v216, v216
	;; [unrolled: 1-line block ×5, first 2 shown]
	v_fma_mix_f32 v159, v199, v159, 0 op_sel_hi:[1,0,0]
	v_cvt_f32_i32_e32 v23, v23
	v_fma_mix_f32 v159, v200, v216, v159 op_sel_hi:[1,0,0]
	ds_read_u8 v216, v158 offset:8
	ds_read_u8 v158, v158 offset:9
	ds_read_u16 v173, v173 offset:8
	ds_read_u16 v218, v218 offset:8
	;; [unrolled: 1-line block ×3, first 2 shown]
	s_waitcnt lgkmcnt(4)
	v_cvt_f32_ubyte0_e32 v216, v216
	s_waitcnt lgkmcnt(3)
	v_cvt_f32_ubyte0_e32 v223, v158
	;; [unrolled: 2-line block ×3, first 2 shown]
	v_cvt_f32_ubyte1_e32 v173, v173
	s_waitcnt lgkmcnt(0)
	v_cvt_f32_ubyte0_e32 v226, v157
	v_cvt_f32_ubyte1_e32 v227, v157
	v_fma_mix_f32 v157, v199, v216, 0 op_sel:[1,0,0] op_sel_hi:[1,0,0]
	v_cvt_f32_ubyte0_e32 v225, v218
	v_cvt_f32_ubyte1_e32 v218, v218
	v_mul_lo_u32 v158, v161, v160
	v_mul_lo_u32 v161, v215, v164
	v_fma_mix_f32 v228, v200, v223, v157 op_sel:[1,0,0] op_sel_hi:[1,0,0]
	v_fma_mix_f32 v157, v199, v224, 0 op_sel:[1,0,0] op_sel_hi:[1,0,0]
	;; [unrolled: 1-line block ×4, first 2 shown]
	v_cvt_f32_i32_e32 v161, v161
	v_fma_mix_f32 v230, v200, v218, v157 op_sel:[1,0,0] op_sel_hi:[1,0,0]
	v_fma_mix_f32 v157, v199, v226, 0 op_sel:[1,0,0] op_sel_hi:[1,0,0]
	;; [unrolled: 1-line block ×3, first 2 shown]
	v_lshrrev_b32_e32 v157, 1, v162
	v_cvt_f32_i32_e32 v162, v158
	ds_read_b64 v[157:158], v157 offset:43584
	s_waitcnt lgkmcnt(0)
	v_fma_mix_f32 v162, v162, v157, 0 op_sel_hi:[0,1,0]
	v_fma_mix_f32 v200, v224, v157, 0 op_sel:[0,1,0] op_sel_hi:[0,1,0]
	v_fma_mix_f32 v161, v161, v158, v162 op_sel_hi:[0,1,0]
	v_mul_lo_u32 v162, v163, v179
	v_mul_lo_u32 v163, v214, v185
	v_fma_mix_f32 v200, v173, v158, v200 op_sel:[0,1,0] op_sel_hi:[0,1,0]
	v_cvt_f32_i32_e32 v162, v162
	v_cvt_f32_i32_e32 v163, v163
	v_fma_mix_f32 v162, v162, v157, 0 op_sel_hi:[0,1,0]
	v_fma_mix_f32 v162, v163, v158, v162 op_sel_hi:[0,1,0]
	v_mul_lo_u32 v163, v165, v219
	v_mul_lo_u32 v165, v213, v220
	v_cvt_f32_i32_e32 v163, v163
	v_cvt_f32_i32_e32 v165, v165
	v_fma_mix_f32 v163, v163, v157, 0 op_sel_hi:[0,1,0]
	v_fma_mix_f32 v163, v165, v158, v163 op_sel_hi:[0,1,0]
	v_mul_lo_u32 v165, v167, v222
	v_mul_lo_u32 v167, v212, v221
	v_fma_mix_f32 v212, v225, v157, 0 op_sel:[0,1,0] op_sel_hi:[0,1,0]
	v_fma_mix_f32 v212, v218, v158, v212 op_sel:[0,1,0] op_sel_hi:[0,1,0]
	v_cvt_f32_i32_e32 v165, v165
	v_cvt_f32_i32_e32 v167, v167
	v_fma_mix_f32 v165, v165, v157, 0 op_sel_hi:[0,1,0]
	v_fma_mix_f32 v165, v167, v158, v165 op_sel_hi:[0,1,0]
	v_fma_mix_f32 v167, v216, v157, 0 op_sel:[0,1,0] op_sel_hi:[0,1,0]
	v_fma_mix_f32 v157, v226, v157, 0 op_sel:[0,1,0] op_sel_hi:[0,1,0]
	;; [unrolled: 1-line block ×4, first 2 shown]
	v_mul_lo_u32 v158, v168, v160
	v_lshrrev_b32_e32 v157, 1, v169
	v_mul_lo_u32 v168, v211, v164
	v_cvt_f32_i32_e32 v169, v158
	ds_read_b64 v[157:158], v157 offset:43584
	v_cvt_f32_i32_e32 v168, v168
	s_waitcnt lgkmcnt(0)
	v_fma_mix_f32 v169, v169, v157, 0 op_sel_hi:[0,1,0]
	v_fma_mix_f32 v168, v168, v158, v169 op_sel_hi:[0,1,0]
	v_mul_lo_u32 v169, v170, v179
	v_mul_lo_u32 v170, v210, v185
	v_cvt_f32_i32_e32 v169, v169
	v_cvt_f32_i32_e32 v170, v170
	v_fma_mix_f32 v169, v169, v157, 0 op_sel_hi:[0,1,0]
	v_fma_mix_f32 v169, v170, v158, v169 op_sel_hi:[0,1,0]
	v_mul_lo_u32 v170, v171, v219
	v_mul_lo_u32 v171, v209, v220
	v_fma_mix_f32 v209, v225, v157, 0 op_sel:[0,1,0] op_sel_hi:[0,1,0]
	v_fma_mix_f32 v209, v218, v158, v209 op_sel:[0,1,0] op_sel_hi:[0,1,0]
	v_cvt_f32_i32_e32 v170, v170
	v_cvt_f32_i32_e32 v171, v171
	v_fma_mix_f32 v170, v170, v157, 0 op_sel_hi:[0,1,0]
	v_fma_mix_f32 v170, v171, v158, v170 op_sel_hi:[0,1,0]
	v_mul_lo_u32 v171, v172, v222
	v_mul_lo_u32 v172, v208, v221
	v_fma_mix_f32 v208, v224, v157, 0 op_sel:[0,1,0] op_sel_hi:[0,1,0]
	v_fma_mix_f32 v208, v173, v158, v208 op_sel:[0,1,0] op_sel_hi:[0,1,0]
	v_cvt_f32_i32_e32 v171, v171
	v_cvt_f32_i32_e32 v172, v172
	v_fma_mix_f32 v171, v171, v157, 0 op_sel_hi:[0,1,0]
	v_fma_mix_f32 v171, v172, v158, v171 op_sel_hi:[0,1,0]
	v_fma_mix_f32 v172, v216, v157, 0 op_sel:[0,1,0] op_sel_hi:[0,1,0]
	v_fma_mix_f32 v157, v226, v157, 0 op_sel:[0,1,0] op_sel_hi:[0,1,0]
	;; [unrolled: 1-line block ×4, first 2 shown]
	v_mul_lo_u32 v158, v174, v160
	v_lshrrev_b32_e32 v157, 1, v175
	v_mul_lo_u32 v174, v207, v164
	v_cvt_f32_i32_e32 v175, v158
	ds_read_b64 v[157:158], v157 offset:43584
	v_cvt_f32_i32_e32 v174, v174
	s_waitcnt lgkmcnt(0)
	v_fma_mix_f32 v175, v175, v157, 0 op_sel_hi:[0,1,0]
	v_fma_mix_f32 v174, v174, v158, v175 op_sel_hi:[0,1,0]
	v_mul_lo_u32 v175, v176, v179
	v_mul_lo_u32 v176, v206, v185
	v_cvt_f32_i32_e32 v175, v175
	v_cvt_f32_i32_e32 v176, v176
	v_fma_mix_f32 v175, v175, v157, 0 op_sel_hi:[0,1,0]
	v_fma_mix_f32 v175, v176, v158, v175 op_sel_hi:[0,1,0]
	v_mul_lo_u32 v176, v177, v219
	v_mul_lo_u32 v177, v205, v220
	v_fma_mix_f32 v205, v225, v157, 0 op_sel:[0,1,0] op_sel_hi:[0,1,0]
	v_fma_mix_f32 v205, v218, v158, v205 op_sel:[0,1,0] op_sel_hi:[0,1,0]
	v_cvt_f32_i32_e32 v176, v176
	v_cvt_f32_i32_e32 v177, v177
	v_fma_mix_f32 v176, v176, v157, 0 op_sel_hi:[0,1,0]
	v_fma_mix_f32 v176, v177, v158, v176 op_sel_hi:[0,1,0]
	v_mul_lo_u32 v177, v178, v222
	v_mul_lo_u32 v178, v204, v221
	v_fma_mix_f32 v204, v224, v157, 0 op_sel:[0,1,0] op_sel_hi:[0,1,0]
	v_fma_mix_f32 v204, v173, v158, v204 op_sel:[0,1,0] op_sel_hi:[0,1,0]
	v_cvt_f32_i32_e32 v177, v177
	v_cvt_f32_i32_e32 v178, v178
	v_fma_mix_f32 v177, v177, v157, 0 op_sel_hi:[0,1,0]
	v_fma_mix_f32 v177, v178, v158, v177 op_sel_hi:[0,1,0]
	v_fma_mix_f32 v178, v216, v157, 0 op_sel:[0,1,0] op_sel_hi:[0,1,0]
	v_fma_mix_f32 v157, v226, v157, 0 op_sel:[0,1,0] op_sel_hi:[0,1,0]
	;; [unrolled: 1-line block ×4, first 2 shown]
	v_mul_lo_u32 v158, v180, v160
	v_lshrrev_b32_e32 v157, 1, v181
	v_mul_lo_u32 v180, v203, v164
	v_mul_f32_e32 v164, v209, v153
	v_cvt_f32_i32_e32 v181, v158
	ds_read_b64 v[157:158], v157 offset:43584
	v_cvt_f32_i32_e32 v180, v180
	v_fma_f32 v164, v170, v154, -v164
	v_add_f32_e32 v59, v59, v164
	s_waitcnt lgkmcnt(0)
	v_fma_mix_f32 v181, v181, v157, 0 op_sel_hi:[0,1,0]
	v_fma_mix_f32 v180, v180, v158, v181 op_sel_hi:[0,1,0]
	v_mul_lo_u32 v181, v182, v179
	v_mul_lo_u32 v182, v202, v185
	v_cvt_f32_i32_e32 v181, v181
	v_cvt_f32_i32_e32 v182, v182
	v_fma_mix_f32 v181, v181, v157, 0 op_sel_hi:[0,1,0]
	v_fma_mix_f32 v181, v182, v158, v181 op_sel_hi:[0,1,0]
	v_mul_lo_u32 v182, v183, v219
	v_mul_lo_u32 v183, v201, v220
	v_cvt_f32_i32_e32 v182, v182
	v_cvt_f32_i32_e32 v183, v183
	v_fma_mix_f32 v182, v182, v157, 0 op_sel_hi:[0,1,0]
	v_fma_mix_f32 v182, v183, v158, v182 op_sel_hi:[0,1,0]
	v_mul_lo_u32 v183, v184, v222
	v_cvt_f32_i32_e32 v183, v183
	v_fma_mix_f32 v183, v183, v157, 0 op_sel_hi:[0,1,0]
	v_fma_mix_f32 v183, v36, v158, v183 op_sel_hi:[0,1,0]
	v_fma_mix_f32 v36, v216, v157, 0 op_sel:[0,1,0] op_sel_hi:[0,1,0]
	v_fma_mix_f32 v184, v223, v158, v36 op_sel:[0,1,0] op_sel_hi:[0,1,0]
	;; [unrolled: 1-line block ×3, first 2 shown]
	v_mul_f32_e32 v170, v184, v150
	v_fma_mix_f32 v201, v173, v158, v36 op_sel:[0,1,0] op_sel_hi:[0,1,0]
	v_fma_mix_f32 v36, v225, v157, 0 op_sel:[0,1,0] op_sel_hi:[0,1,0]
	v_fma_f32 v170, v180, v149, -v170
	v_fma_mix_f32 v202, v218, v158, v36 op_sel:[0,1,0] op_sel_hi:[0,1,0]
	v_fma_mix_f32 v36, v226, v157, 0 op_sel:[0,1,0] op_sel_hi:[0,1,0]
	v_add_f32_e32 v52, v52, v170
	v_fma_mix_f32 v157, v227, v158, v36 op_sel:[0,1,0] op_sel_hi:[0,1,0]
	v_lshrrev_b32_e32 v36, 1, v187
	v_mul_lo_u32 v158, v186, v160
	v_cvt_f32_i32_e32 v186, v35
	v_mul_f32_e32 v157, v157, v155
	ds_read_b64 v[35:36], v36 offset:43584
	v_cvt_f32_i32_e32 v158, v158
	v_fma_f32 v157, v183, v156, -v157
	v_add_f32_e32 v49, v49, v157
	s_waitcnt lgkmcnt(0)
	v_fma_mix_f32 v158, v158, v35, 0 op_sel_hi:[0,1,0]
	v_fma_mix_f32 v158, v186, v36, v158 op_sel_hi:[0,1,0]
	v_mul_lo_u32 v186, v188, v179
	v_cvt_f32_i32_e32 v186, v186
	v_fma_mix_f32 v186, v186, v35, 0 op_sel_hi:[0,1,0]
	v_fma_mix_f32 v34, v34, v36, v186 op_sel_hi:[0,1,0]
	v_mul_lo_u32 v186, v189, v219
	v_cvt_f32_i32_e32 v186, v186
	;; [unrolled: 4-line block ×3, first 2 shown]
	v_cvt_f32_i32_e32 v186, v186
	v_fma_mix_f32 v186, v186, v35, 0 op_sel_hi:[0,1,0]
	v_fma_mix_f32 v186, v31, v36, v186 op_sel_hi:[0,1,0]
	v_fma_mix_f32 v31, v216, v35, 0 op_sel:[0,1,0] op_sel_hi:[0,1,0]
	v_fma_mix_f32 v187, v223, v36, v31 op_sel:[0,1,0] op_sel_hi:[0,1,0]
	;; [unrolled: 1-line block ×8, first 2 shown]
	v_lshrrev_b32_e32 v31, 1, v193
	v_mul_lo_u32 v36, v192, v160
	v_mul_lo_u32 v160, v197, v160
	v_mul_f32_e32 v35, v35, v155
	ds_read_b64 v[30:31], v31 offset:43584
	v_cvt_f32_i32_e32 v36, v36
	v_cvt_f32_i32_e32 v160, v160
	v_fma_f32 v35, v186, v156, -v35
	v_add_f32_e32 v45, v45, v35
	s_waitcnt lgkmcnt(0)
	v_fma_mix_f32 v36, v36, v30, 0 op_sel_hi:[0,1,0]
	v_fma_mix_f32 v36, v190, v31, v36 op_sel_hi:[0,1,0]
	v_mul_lo_u32 v190, v194, v179
	v_cvt_f32_i32_e32 v190, v190
	v_fma_mix_f32 v190, v190, v30, 0 op_sel_hi:[0,1,0]
	v_fma_mix_f32 v29, v29, v31, v190 op_sel_hi:[0,1,0]
	v_mul_lo_u32 v190, v195, v219
	v_cvt_f32_i32_e32 v190, v190
	;; [unrolled: 4-line block ×3, first 2 shown]
	v_fma_mix_f32 v28, v28, v30, 0 op_sel_hi:[0,1,0]
	v_fma_mix_f32 v192, v27, v31, v28 op_sel_hi:[0,1,0]
	v_fma_mix_f32 v27, v216, v30, 0 op_sel:[0,1,0] op_sel_hi:[0,1,0]
	v_fma_mix_f32 v193, v223, v31, v27 op_sel:[0,1,0] op_sel_hi:[0,1,0]
	;; [unrolled: 1-line block ×8, first 2 shown]
	v_lshrrev_b32_e32 v27, 1, v198
	v_mul_f32_e32 v30, v30, v155
	ds_read_b64 v[27:28], v27 offset:43584
	v_fma_f32 v30, v192, v156, -v30
	v_add_f32_e32 v41, v41, v30
	s_waitcnt lgkmcnt(0)
	v_fma_mix_f32 v21, v21, v27, 0 op_sel_hi:[0,1,0]
	v_fma_mix_f32 v22, v22, v27, 0 op_sel_hi:[0,1,0]
	;; [unrolled: 1-line block ×3, first 2 shown]
	v_fma_mix_f32 v31, v216, v27, 0 op_sel:[0,1,0] op_sel_hi:[0,1,0]
	v_fma_mix_f32 v196, v224, v27, 0 op_sel:[0,1,0] op_sel_hi:[0,1,0]
	v_fma_mix_f32 v21, v25, v28, v21 op_sel_hi:[0,1,0]
	v_cvt_f32_i32_e32 v25, v26
	v_fma_mix_f32 v198, v226, v27, 0 op_sel:[0,1,0] op_sel_hi:[0,1,0]
	v_fma_mix_f32 v31, v223, v28, v31 op_sel:[0,1,0] op_sel_hi:[0,1,0]
	v_fma_mix_f32 v173, v173, v28, v196 op_sel:[0,1,0] op_sel_hi:[0,1,0]
	v_fma_mix_f32 v196, v225, v27, 0 op_sel:[0,1,0] op_sel_hi:[0,1,0]
	v_fma_mix_f32 v22, v25, v28, v22 op_sel_hi:[0,1,0]
	v_cvt_f32_i32_e32 v25, v33
	v_fma_mix_f32 v160, v160, v27, 0 op_sel_hi:[0,1,0]
	v_fma_mix_f32 v198, v227, v28, v198 op_sel:[0,1,0] op_sel_hi:[0,1,0]
	v_fma_mix_f32 v196, v218, v28, v196 op_sel:[0,1,0] op_sel_hi:[0,1,0]
	v_mul_f32_e32 v33, v167, v150
	v_fma_mix_f32 v23, v25, v28, v23 op_sel_hi:[0,1,0]
	v_mul_f32_e32 v25, v228, v150
	v_fma_mix_f32 v24, v24, v28, v160 op_sel_hi:[0,1,0]
	v_mul_f32_e32 v28, v199, v155
	v_mul_f32_e32 v31, v31, v150
	v_fma_f32 v33, v161, v149, -v33
	v_fma_f32 v25, v166, v149, -v25
	v_mul_f32_e32 v166, v178, v150
	v_fma_f32 v28, v159, v156, -v28
	v_mul_f32_e32 v159, v200, v151
	v_mul_f32_e32 v160, v212, v153
	;; [unrolled: 1-line block ×3, first 2 shown]
	v_fma_f32 v166, v174, v149, -v166
	v_mul_f32_e32 v174, v187, v150
	v_fma_f32 v24, v24, v149, -v31
	v_mul_f32_e32 v31, v173, v151
	v_fma_f32 v159, v162, v152, -v159
	v_fma_f32 v160, v163, v154, -v160
	;; [unrolled: 1-line block ×3, first 2 shown]
	v_mul_f32_e32 v174, v188, v151
	v_fma_f32 v161, v165, v156, -v161
	v_mul_f32_e32 v162, v172, v150
	v_mul_f32_e32 v163, v208, v151
	;; [unrolled: 1-line block ×3, first 2 shown]
	v_fma_f32 v34, v34, v152, -v174
	v_mul_f32_e32 v174, v189, v153
	v_fma_f32 v21, v21, v152, -v31
	v_mul_f32_e32 v31, v196, v153
	v_mul_f32_e32 v26, v229, v151
	;; [unrolled: 1-line block ×3, first 2 shown]
	v_fma_f32 v32, v32, v154, -v174
	v_mul_f32_e32 v174, v193, v150
	v_fma_f32 v162, v168, v149, -v162
	v_fma_f32 v163, v169, v152, -v163
	;; [unrolled: 1-line block ×3, first 2 shown]
	v_mul_f32_e32 v167, v204, v151
	v_fma_f32 v36, v36, v149, -v174
	v_mul_f32_e32 v174, v194, v151
	v_mul_f32_e32 v168, v205, v153
	v_mul_f32_e32 v169, v206, v155
	v_mul_f32_e32 v171, v201, v151
	v_mul_f32_e32 v172, v202, v153
	v_fma_f32 v29, v29, v152, -v174
	v_mul_f32_e32 v174, v195, v153
	v_fma_f32 v22, v22, v154, -v31
	v_mul_f32_e32 v31, v198, v155
	v_fma_f32 v26, v191, v152, -v26
	v_fma_f32 v27, v217, v154, -v27
	;; [unrolled: 1-line block ×9, first 2 shown]
	v_add_f32_e32 v95, v95, v25
	v_add_f32_e32 v93, v93, v26
	;; [unrolled: 1-line block ×27, first 2 shown]
	s_cbranch_vccnz .LBB174_6
; %bb.7:                                ;   in Loop: Header=BB174_5 Depth=1
	v_add_nc_u32_e32 v33, s0, v109
	v_add_nc_u32_e32 v31, 4, v148
	s_barrier
	buffer_gl0_inv
	v_add_nc_u32_e32 v21, v33, v101
	v_add_nc_u32_e32 v23, v33, v102
	;; [unrolled: 1-line block ×5, first 2 shown]
	v_mad_u64_u32 v[31:32], null, v31, 36, s[2:3]
	v_mad_i64_i32 v[21:22], null, v21, 36, v[19:20]
	v_add_nc_u32_e32 v34, v33, v106
	v_mad_i64_i32 v[23:24], null, v23, 36, v[19:20]
	v_add_nc_u32_e32 v35, v33, v107
	;; [unrolled: 2-line block ×3, first 2 shown]
	v_mad_i64_i32 v[27:28], null, v27, 36, v[19:20]
	v_mad_i64_i32 v[29:30], null, v29, 36, v[19:20]
	;; [unrolled: 1-line block ×5, first 2 shown]
	s_clause 0x8
	global_load_dword v31, v[31:32], off
	global_load_dword v21, v[21:22], off offset:4
	global_load_dword v22, v[23:24], off offset:4
	;; [unrolled: 1-line block ×8, first 2 shown]
	s_mov_b32 s0, 16
	s_waitcnt vmcnt(8)
	ds_write_b32 v99, v31
	s_waitcnt vmcnt(7)
	ds_write_b32 v131, v21
	;; [unrolled: 2-line block ×9, first 2 shown]
	s_waitcnt lgkmcnt(0)
	s_barrier
	buffer_gl0_inv
	ds_read_b32 v21, v112
	ds_read_b32 v22, v113 offset:128
	ds_read_b32 v23, v114 offset:256
	;; [unrolled: 1-line block ×3, first 2 shown]
	s_waitcnt lgkmcnt(3)
	v_cvt_f32_f16_e32 v148, v21
	v_cvt_f32_f16_sdwa v149, v21 dst_sel:DWORD dst_unused:UNUSED_PAD src0_sel:WORD_1
	s_waitcnt lgkmcnt(2)
	v_cvt_f32_f16_sdwa v150, v22 dst_sel:DWORD dst_unused:UNUSED_PAD src0_sel:WORD_1
	v_cvt_f32_f16_e32 v151, v22
	s_waitcnt lgkmcnt(1)
	v_cvt_f32_f16_sdwa v152, v23 dst_sel:DWORD dst_unused:UNUSED_PAD src0_sel:WORD_1
	v_cvt_f32_f16_e32 v153, v23
	;; [unrolled: 3-line block ×3, first 2 shown]
.LBB174_8:                              ;   Parent Loop BB174_5 Depth=1
                                        ; =>  This Inner Loop Header: Depth=2
	s_lshl_b32 s1, s0, 1
	s_lshl_b32 s11, s0, 3
	s_and_b32 s1, s1, 16
	v_add_nc_u32_e32 v159, s11, v123
	v_or_b32_e32 v157, s1, v78
	v_add_nc_u32_e32 v162, s11, v124
	v_add_nc_u32_e32 v164, s11, v125
	;; [unrolled: 1-line block ×3, first 2 shown]
	v_mov_b32_e32 v156, 0
	v_lshlrev_b32_e32 v160, 2, v157
	v_mov_b32_e32 v158, 0
	v_mov_b32_e32 v161, 0
	;; [unrolled: 1-line block ×3, first 2 shown]
	ds_read2_b32 v[21:22], v159 offset1:1
	ds_read_b128 v[168:171], v160 offset:33280
	ds_read2_b32 v[23:24], v162 offset1:1
	ds_read2_b32 v[25:26], v164 offset1:1
	ds_read2_b32 v[31:32], v162 offset0:2 offset1:3
	ds_read2_b32 v[29:30], v159 offset0:2 offset1:3
	ds_read2_b32 v[27:28], v167 offset1:1
	ds_read2_b32 v[35:36], v167 offset0:2 offset1:3
	ds_read2_b32 v[33:34], v164 offset0:2 offset1:3
	v_or_b32_e32 v166, s1, v116
	v_mov_b32_e32 v165, 0
	v_mov_b32_e32 v176, 0
	;; [unrolled: 1-line block ×11, first 2 shown]
	s_waitcnt lgkmcnt(7)
	v_dot4c_i32_i8 v156, v21, v168
	s_waitcnt lgkmcnt(6)
	v_dot4c_i32_i8 v158, v23, v168
	;; [unrolled: 2-line block ×3, first 2 shown]
	v_mov_b32_e32 v232, 0
	v_mov_b32_e32 v231, 0
	s_waitcnt lgkmcnt(2)
	v_dot4c_i32_i8 v163, v27, v168
	v_dot4c_i32_i8 v156, v22, v169
	v_dot4c_i32_i8 v158, v24, v169
	v_dot4c_i32_i8 v161, v26, v169
	v_mov_b32_e32 v168, 0
	v_dot4c_i32_i8 v163, v28, v169
	v_dot4c_i32_i8 v156, v29, v170
	;; [unrolled: 1-line block ×3, first 2 shown]
	s_waitcnt lgkmcnt(0)
	v_dot4c_i32_i8 v161, v33, v170
	v_mov_b32_e32 v169, 0
	v_dot4c_i32_i8 v163, v35, v170
	v_lshlrev_b32_e32 v170, 2, v166
	v_dot4c_i32_i8 v156, v30, v171
	v_dot4c_i32_i8 v158, v32, v171
	;; [unrolled: 1-line block ×4, first 2 shown]
	ds_read_b128 v[172:175], v170 offset:33280
	v_mov_b32_e32 v171, 0
	v_mov_b32_e32 v230, 0
	;; [unrolled: 1-line block ×19, first 2 shown]
	s_waitcnt lgkmcnt(0)
	v_dot4c_i32_i8 v165, v21, v172
	v_dot4c_i32_i8 v168, v23, v172
	;; [unrolled: 1-line block ×4, first 2 shown]
	v_mov_b32_e32 v172, 0
	v_dot4c_i32_i8 v165, v22, v173
	v_dot4c_i32_i8 v168, v24, v173
	;; [unrolled: 1-line block ×4, first 2 shown]
	v_or_b32_e32 v173, s1, v117
	v_dot4c_i32_i8 v165, v29, v174
	v_dot4c_i32_i8 v168, v31, v174
	v_dot4c_i32_i8 v169, v33, v174
	v_dot4c_i32_i8 v171, v35, v174
	v_lshlrev_b32_e32 v177, 2, v173
	v_dot4c_i32_i8 v165, v30, v175
	v_dot4c_i32_i8 v168, v32, v175
	;; [unrolled: 1-line block ×4, first 2 shown]
	ds_read_b128 v[178:181], v177 offset:33280
	v_mov_b32_e32 v174, 0
	v_mov_b32_e32 v175, 0
	;; [unrolled: 1-line block ×3, first 2 shown]
	s_waitcnt lgkmcnt(0)
	v_dot4c_i32_i8 v172, v21, v178
	v_dot4c_i32_i8 v174, v23, v178
	v_dot4c_i32_i8 v175, v25, v178
	v_dot4c_i32_i8 v176, v27, v178
	v_mov_b32_e32 v178, 0
	v_dot4c_i32_i8 v172, v22, v179
	v_dot4c_i32_i8 v174, v24, v179
	v_dot4c_i32_i8 v175, v26, v179
	v_dot4c_i32_i8 v176, v28, v179
	v_or_b32_e32 v179, s1, v118
	v_dot4c_i32_i8 v172, v29, v180
	v_dot4c_i32_i8 v174, v31, v180
	v_dot4c_i32_i8 v175, v33, v180
	v_dot4c_i32_i8 v176, v35, v180
	v_lshlrev_b32_e32 v183, 2, v179
	v_dot4c_i32_i8 v172, v30, v181
	v_dot4c_i32_i8 v174, v32, v181
	v_dot4c_i32_i8 v175, v34, v181
	v_dot4c_i32_i8 v176, v36, v181
	ds_read_b128 v[184:187], v183 offset:33280
	v_mov_b32_e32 v180, 0
	v_mov_b32_e32 v181, 0
	s_waitcnt lgkmcnt(0)
	v_dot4c_i32_i8 v178, v21, v184
	v_dot4c_i32_i8 v180, v23, v184
	v_dot4c_i32_i8 v181, v25, v184
	v_dot4c_i32_i8 v182, v27, v184
	v_mov_b32_e32 v184, 0
	v_dot4c_i32_i8 v178, v22, v185
	v_dot4c_i32_i8 v180, v24, v185
	v_dot4c_i32_i8 v181, v26, v185
	v_dot4c_i32_i8 v182, v28, v185
	v_or_b32_e32 v185, s1, v119
	v_dot4c_i32_i8 v178, v29, v186
	v_dot4c_i32_i8 v180, v31, v186
	v_dot4c_i32_i8 v181, v33, v186
	v_dot4c_i32_i8 v182, v35, v186
	v_lshlrev_b32_e32 v189, 2, v185
	v_dot4c_i32_i8 v178, v30, v187
	v_dot4c_i32_i8 v180, v32, v187
	v_dot4c_i32_i8 v181, v34, v187
	v_dot4c_i32_i8 v182, v36, v187
	ds_read_b128 v[190:193], v189 offset:33280
	v_mov_b32_e32 v186, 0
	v_mov_b32_e32 v187, 0
	;; [unrolled: 23-line block ×4, first 2 shown]
	s_waitcnt lgkmcnt(0)
	v_dot4c_i32_i8 v196, v21, v206
	v_dot4c_i32_i8 v199, v23, v206
	;; [unrolled: 1-line block ×4, first 2 shown]
	v_or_b32_e32 v206, s1, v122
	v_dot4c_i32_i8 v196, v22, v207
	v_dot4c_i32_i8 v199, v24, v207
	;; [unrolled: 1-line block ×4, first 2 shown]
	v_lshlrev_b32_e32 v207, 2, v206
	v_dot4c_i32_i8 v196, v29, v208
	v_dot4c_i32_i8 v199, v31, v208
	;; [unrolled: 1-line block ×4, first 2 shown]
	s_lshr_b32 s1, s0, 2
	v_dot4c_i32_i8 v196, v30, v209
	v_dot4c_i32_i8 v199, v32, v209
	;; [unrolled: 1-line block ×4, first 2 shown]
	ds_read_b128 v[208:211], v207 offset:33280
	s_and_b32 s1, s1, 0x3ffffffe
	s_add_i32 s1, s1, 0xa200
	s_waitcnt lgkmcnt(0)
	v_dot4c_i32_i8 v198, v21, v208
	v_dot4c_i32_i8 v200, v23, v208
	v_dot4c_i32_i8 v202, v25, v208
	v_dot4c_i32_i8 v204, v27, v208
	v_mov_b32_e32 v208, 0
	v_dot4c_i32_i8 v198, v22, v209
	v_dot4c_i32_i8 v200, v24, v209
	v_dot4c_i32_i8 v202, v26, v209
	v_dot4c_i32_i8 v204, v28, v209
	v_mov_b32_e32 v209, 0
	;; [unrolled: 5-line block ×3, first 2 shown]
	v_dot4c_i32_i8 v198, v30, v211
	v_dot4c_i32_i8 v200, v32, v211
	ds_read2_b32 v[238:239], v159 offset0:8 offset1:9
	ds_read_b128 v[29:32], v160 offset:33312
	ds_read2_b32 v[240:241], v162 offset0:8 offset1:9
	ds_read2_b32 v[242:243], v164 offset0:8 offset1:9
	;; [unrolled: 1-line block ×5, first 2 shown]
	ds_read_b128 v[234:237], v207 offset:33312
	ds_read2_b32 v[21:22], v167 offset0:10 offset1:11
	v_dot4c_i32_i8 v202, v34, v211
	v_dot4c_i32_i8 v204, v36, v211
	v_mov_b32_e32 v211, 0
	v_mov_b32_e32 v36, 0
	;; [unrolled: 1-line block ×3, first 2 shown]
	s_waitcnt lgkmcnt(7)
	v_dot4c_i32_i8 v233, v238, v29
	s_waitcnt lgkmcnt(6)
	v_dot4c_i32_i8 v232, v240, v29
	;; [unrolled: 2-line block ×4, first 2 shown]
	v_dot4c_i32_i8 v233, v239, v30
	v_dot4c_i32_i8 v232, v241, v30
	;; [unrolled: 1-line block ×4, first 2 shown]
	ds_read2_b32 v[29:30], v164 offset0:10 offset1:11
	v_dot4c_i32_i8 v233, v25, v31
	v_dot4c_i32_i8 v232, v27, v31
	s_waitcnt lgkmcnt(1)
	v_dot4c_i32_i8 v230, v21, v31
	v_dot4c_i32_i8 v233, v26, v32
	;; [unrolled: 1-line block ×4, first 2 shown]
	s_waitcnt lgkmcnt(0)
	v_dot4c_i32_i8 v231, v29, v31
	v_dot4c_i32_i8 v231, v30, v32
	ds_read_b128 v[31:34], v170 offset:33312
	s_waitcnt lgkmcnt(0)
	v_dot4c_i32_i8 v229, v238, v31
	v_dot4c_i32_i8 v228, v240, v31
	v_dot4c_i32_i8 v227, v242, v31
	v_dot4c_i32_i8 v226, v23, v31
	v_dot4c_i32_i8 v229, v239, v32
	v_dot4c_i32_i8 v228, v241, v32
	v_dot4c_i32_i8 v227, v243, v32
	v_dot4c_i32_i8 v226, v24, v32
	v_dot4c_i32_i8 v229, v25, v33
	v_dot4c_i32_i8 v228, v27, v33
	v_dot4c_i32_i8 v227, v29, v33
	v_dot4c_i32_i8 v226, v21, v33
	v_dot4c_i32_i8 v229, v26, v34
	v_dot4c_i32_i8 v228, v28, v34
	v_dot4c_i32_i8 v227, v30, v34
	v_dot4c_i32_i8 v226, v22, v34
	ds_read_b128 v[31:34], v177 offset:33312
	s_waitcnt lgkmcnt(0)
	v_dot4c_i32_i8 v225, v238, v31
	v_dot4c_i32_i8 v224, v240, v31
	v_dot4c_i32_i8 v223, v242, v31
	v_dot4c_i32_i8 v222, v23, v31
	v_dot4c_i32_i8 v225, v239, v32
	v_dot4c_i32_i8 v224, v241, v32
	v_dot4c_i32_i8 v223, v243, v32
	v_dot4c_i32_i8 v222, v24, v32
	v_dot4c_i32_i8 v225, v25, v33
	v_dot4c_i32_i8 v224, v27, v33
	v_dot4c_i32_i8 v223, v29, v33
	v_dot4c_i32_i8 v222, v21, v33
	v_dot4c_i32_i8 v225, v26, v34
	v_dot4c_i32_i8 v224, v28, v34
	;; [unrolled: 18-line block ×5, first 2 shown]
	v_dot4c_i32_i8 v211, v30, v34
	v_dot4c_i32_i8 v210, v22, v34
	ds_read_b128 v[31:34], v205 offset:33312
	s_waitcnt lgkmcnt(0)
	v_dot4c_i32_i8 v209, v238, v31
	v_dot4c_i32_i8 v208, v240, v31
	v_dot4c_i32_i8 v36, v242, v31
	v_dot4c_i32_i8 v35, v23, v31
	v_mov_b32_e32 v31, 0
	v_dot4c_i32_i8 v209, v239, v32
	v_dot4c_i32_i8 v208, v241, v32
	v_dot4c_i32_i8 v36, v243, v32
	v_dot4c_i32_i8 v35, v24, v32
	v_mov_b32_e32 v32, 0
	;; [unrolled: 5-line block ×4, first 2 shown]
	v_dot4c_i32_i8 v31, v238, v234
	v_dot4c_i32_i8 v32, v240, v234
	;; [unrolled: 1-line block ×16, first 2 shown]
	ds_read2_b32 v[25:26], v159 offset0:4 offset1:5
	ds_read_b128 v[21:24], v160 offset:33296
	ds_read2_b32 v[27:28], v162 offset0:4 offset1:5
	ds_read2_b32 v[29:30], v164 offset0:4 offset1:5
	;; [unrolled: 1-line block ×7, first 2 shown]
	s_waitcnt lgkmcnt(7)
	v_dot4c_i32_i8 v156, v25, v21
	s_waitcnt lgkmcnt(6)
	v_dot4c_i32_i8 v158, v27, v21
	;; [unrolled: 2-line block ×4, first 2 shown]
	v_dot4c_i32_i8 v156, v26, v22
	v_dot4c_i32_i8 v158, v28, v22
	;; [unrolled: 1-line block ×6, first 2 shown]
	s_waitcnt lgkmcnt(0)
	v_dot4c_i32_i8 v161, v240, v23
	v_dot4c_i32_i8 v163, v242, v23
	v_dot4c_i32_i8 v156, v237, v24
	v_dot4c_i32_i8 v158, v239, v24
	v_dot4c_i32_i8 v161, v241, v24
	v_dot4c_i32_i8 v163, v243, v24
	ds_read_b128 v[21:24], v170 offset:33296
	s_waitcnt lgkmcnt(0)
	v_dot4c_i32_i8 v165, v25, v21
	v_dot4c_i32_i8 v168, v27, v21
	v_dot4c_i32_i8 v169, v29, v21
	v_dot4c_i32_i8 v171, v234, v21
	v_dot4c_i32_i8 v165, v26, v22
	v_dot4c_i32_i8 v168, v28, v22
	v_dot4c_i32_i8 v169, v30, v22
	v_dot4c_i32_i8 v171, v235, v22
	v_dot4c_i32_i8 v165, v236, v23
	v_dot4c_i32_i8 v168, v238, v23
	v_dot4c_i32_i8 v169, v240, v23
	v_dot4c_i32_i8 v171, v242, v23
	v_dot4c_i32_i8 v165, v237, v24
	v_dot4c_i32_i8 v168, v239, v24
	v_dot4c_i32_i8 v169, v241, v24
	v_dot4c_i32_i8 v171, v243, v24
	ds_read_b128 v[21:24], v177 offset:33296
	s_waitcnt lgkmcnt(0)
	v_dot4c_i32_i8 v172, v25, v21
	v_dot4c_i32_i8 v174, v27, v21
	v_dot4c_i32_i8 v175, v29, v21
	v_dot4c_i32_i8 v176, v234, v21
	v_dot4c_i32_i8 v172, v26, v22
	v_dot4c_i32_i8 v174, v28, v22
	v_dot4c_i32_i8 v175, v30, v22
	v_dot4c_i32_i8 v176, v235, v22
	v_dot4c_i32_i8 v172, v236, v23
	v_dot4c_i32_i8 v174, v238, v23
	;; [unrolled: 18-line block ×7, first 2 shown]
	v_dot4c_i32_i8 v202, v240, v23
	v_dot4c_i32_i8 v204, v242, v23
	;; [unrolled: 1-line block ×6, first 2 shown]
	ds_read2_b32 v[25:26], v159 offset0:12 offset1:13
	ds_read_b128 v[21:24], v160 offset:33328
	ds_read2_b32 v[27:28], v162 offset0:12 offset1:13
	ds_read2_b32 v[29:30], v164 offset0:12 offset1:13
	;; [unrolled: 1-line block ×7, first 2 shown]
	s_waitcnt lgkmcnt(7)
	v_dot4c_i32_i8 v233, v25, v21
	s_waitcnt lgkmcnt(6)
	v_dot4c_i32_i8 v232, v27, v21
	;; [unrolled: 2-line block ×4, first 2 shown]
	v_dot4c_i32_i8 v233, v26, v22
	v_dot4c_i32_i8 v232, v28, v22
	;; [unrolled: 1-line block ×6, first 2 shown]
	s_waitcnt lgkmcnt(0)
	v_dot4c_i32_i8 v231, v238, v23
	v_dot4c_i32_i8 v230, v240, v23
	v_dot4c_i32_i8 v233, v160, v24
	v_dot4c_i32_i8 v232, v237, v24
	v_dot4c_i32_i8 v231, v239, v24
	v_dot4c_i32_i8 v230, v241, v24
	ds_read_b128 v[21:24], v170 offset:33328
	s_waitcnt lgkmcnt(0)
	v_dot4c_i32_i8 v229, v25, v21
	v_dot4c_i32_i8 v228, v27, v21
	v_dot4c_i32_i8 v227, v29, v21
	v_dot4c_i32_i8 v226, v234, v21
	v_dot4c_i32_i8 v229, v26, v22
	v_dot4c_i32_i8 v228, v28, v22
	v_dot4c_i32_i8 v227, v30, v22
	v_dot4c_i32_i8 v226, v235, v22
	v_dot4c_i32_i8 v229, v159, v23
	v_dot4c_i32_i8 v228, v236, v23
	v_dot4c_i32_i8 v227, v238, v23
	v_dot4c_i32_i8 v226, v240, v23
	v_dot4c_i32_i8 v229, v160, v24
	v_dot4c_i32_i8 v228, v237, v24
	v_dot4c_i32_i8 v227, v239, v24
	v_dot4c_i32_i8 v226, v241, v24
	ds_read_b128 v[21:24], v177 offset:33328
	s_waitcnt lgkmcnt(0)
	v_dot4c_i32_i8 v225, v25, v21
	v_dot4c_i32_i8 v224, v27, v21
	v_dot4c_i32_i8 v223, v29, v21
	v_dot4c_i32_i8 v222, v234, v21
	v_dot4c_i32_i8 v225, v26, v22
	v_dot4c_i32_i8 v224, v28, v22
	v_dot4c_i32_i8 v223, v30, v22
	v_dot4c_i32_i8 v222, v235, v22
	v_dot4c_i32_i8 v225, v159, v23
	v_dot4c_i32_i8 v224, v236, v23
	;; [unrolled: 18-line block ×6, first 2 shown]
	v_dot4c_i32_i8 v36, v238, v23
	v_dot4c_i32_i8 v35, v240, v23
	;; [unrolled: 1-line block ×6, first 2 shown]
	ds_read_b128 v[21:24], v207 offset:33328
	s_waitcnt lgkmcnt(0)
	v_dot4c_i32_i8 v31, v25, v21
	v_dot4c_i32_i8 v32, v27, v21
	;; [unrolled: 1-line block ×4, first 2 shown]
	v_lshrrev_b32_e32 v21, 1, v157
	v_dot4c_i32_i8 v31, v26, v22
	v_dot4c_i32_i8 v32, v28, v22
	;; [unrolled: 1-line block ×12, first 2 shown]
	v_add3_u32 v24, s1, v143, v144
	ds_read_u16 v22, v24
	s_waitcnt lgkmcnt(0)
	v_and_b32_sdwa v25, v139, v22 dst_sel:DWORD dst_unused:UNUSED_PAD src0_sel:DWORD src1_sel:BYTE_1
	v_and_b32_e32 v26, 0xff, v22
	v_mul_lo_u32 v22, v233, v25
	v_mul_lo_u32 v23, v156, v26
	v_cvt_f32_i32_e32 v27, v22
	v_cvt_f32_i32_e32 v28, v23
	ds_read_b64 v[22:23], v21 offset:43584
	s_waitcnt lgkmcnt(0)
	v_fma_mix_f32 v21, v22, v28, 0 op_sel_hi:[1,0,0]
	v_fma_mix_f32 v21, v23, v27, v21 op_sel_hi:[1,0,0]
	v_add3_u32 v27, s1, v145, v140
	ds_read_u16 v28, v27
	s_waitcnt lgkmcnt(0)
	v_and_b32_e32 v29, 0xff, v28
	v_and_b32_sdwa v28, v139, v28 dst_sel:DWORD dst_unused:UNUSED_PAD src0_sel:DWORD src1_sel:BYTE_1
	v_mul_lo_u32 v30, v158, v29
	v_mul_lo_u32 v156, v232, v28
	v_cvt_f32_i32_e32 v30, v30
	v_cvt_f32_i32_e32 v156, v156
	v_fma_mix_f32 v30, v22, v30, 0 op_sel_hi:[1,0,0]
	v_fma_mix_f32 v30, v23, v156, v30 op_sel_hi:[1,0,0]
	v_add3_u32 v156, s1, v146, v141
	ds_read_u16 v157, v156
	s_waitcnt lgkmcnt(0)
	v_and_b32_e32 v158, 0xff, v157
	v_and_b32_sdwa v157, v139, v157 dst_sel:DWORD dst_unused:UNUSED_PAD src0_sel:DWORD src1_sel:BYTE_1
	v_mul_lo_u32 v159, v161, v158
	v_mul_lo_u32 v160, v231, v157
	;; [unrolled: 1-line block ×3, first 2 shown]
	v_cvt_f32_i32_e32 v159, v159
	v_cvt_f32_i32_e32 v160, v160
	v_cvt_f32_i32_e32 v36, v36
	v_fma_mix_f32 v159, v22, v159, 0 op_sel_hi:[1,0,0]
	v_fma_mix_f32 v159, v23, v160, v159 op_sel_hi:[1,0,0]
	v_add3_u32 v160, s1, v147, v142
	s_add_i32 s1, s0, 8
	s_cmp_lt_u32 s0, 24
	s_mov_b32 s0, s1
	ds_read_u16 v161, v160
	ds_read_u16 v24, v24 offset:8
	ds_read_u16 v27, v27 offset:8
	;; [unrolled: 1-line block ×4, first 2 shown]
	s_waitcnt lgkmcnt(2)
	v_cvt_f32_ubyte0_e32 v167, v27
	v_and_b32_e32 v162, 0xff, v161
	v_and_b32_sdwa v161, v139, v161 dst_sel:DWORD dst_unused:UNUSED_PAD src0_sel:DWORD src1_sel:BYTE_1
	s_waitcnt lgkmcnt(1)
	v_cvt_f32_ubyte0_e32 v170, v156
	s_waitcnt lgkmcnt(0)
	v_cvt_f32_ubyte0_e32 v177, v160
	v_cvt_f32_ubyte1_e32 v27, v27
	v_mul_lo_u32 v163, v163, v162
	v_mul_lo_u32 v164, v230, v161
	v_cvt_f32_ubyte1_e32 v156, v156
	v_cvt_f32_ubyte1_e32 v160, v160
	v_fma_mix_f32 v189, v22, v167, 0 op_sel:[1,0,0] op_sel_hi:[1,0,0]
	v_fma_mix_f32 v195, v22, v170, 0 op_sel:[1,0,0] op_sel_hi:[1,0,0]
	v_mul_lo_u32 v35, v35, v161
	v_mul_lo_u32 v34, v34, v161
	v_cvt_f32_i32_e32 v163, v163
	v_cvt_f32_i32_e32 v164, v164
	v_fma_mix_f32 v189, v23, v27, v189 op_sel:[1,0,0] op_sel_hi:[1,0,0]
	v_fma_mix_f32 v195, v23, v156, v195 op_sel:[1,0,0] op_sel_hi:[1,0,0]
	v_fma_mix_f32 v163, v22, v163, 0 op_sel_hi:[1,0,0]
	v_cvt_f32_i32_e32 v35, v35
	v_fma_mix_f32 v163, v23, v164, v163 op_sel_hi:[1,0,0]
	v_cvt_f32_ubyte0_e32 v164, v24
	v_cvt_f32_ubyte1_e32 v24, v24
	v_fma_mix_f32 v183, v22, v164, 0 op_sel:[1,0,0] op_sel_hi:[1,0,0]
	v_fma_mix_f32 v22, v22, v177, 0 op_sel:[1,0,0] op_sel_hi:[1,0,0]
	v_fma_mix_f32 v183, v23, v24, v183 op_sel:[1,0,0] op_sel_hi:[1,0,0]
	v_fma_mix_f32 v205, v23, v160, v22 op_sel:[1,0,0] op_sel_hi:[1,0,0]
	v_mul_lo_u32 v23, v165, v26
	v_lshrrev_b32_e32 v22, 1, v166
	v_mul_lo_u32 v165, v229, v25
	v_cvt_f32_i32_e32 v166, v23
	ds_read_b64 v[22:23], v22 offset:43584
	v_cvt_f32_i32_e32 v165, v165
	s_waitcnt lgkmcnt(0)
	v_fma_mix_f32 v166, v166, v22, 0 op_sel_hi:[0,1,0]
	v_fma_mix_f32 v207, v167, v22, 0 op_sel:[0,1,0] op_sel_hi:[0,1,0]
	v_fma_mix_f32 v165, v165, v23, v166 op_sel_hi:[0,1,0]
	v_mul_lo_u32 v166, v168, v29
	v_mul_lo_u32 v168, v228, v28
	v_fma_mix_f32 v207, v27, v23, v207 op_sel:[0,1,0] op_sel_hi:[0,1,0]
	v_cvt_f32_i32_e32 v166, v166
	v_cvt_f32_i32_e32 v168, v168
	v_fma_mix_f32 v166, v166, v22, 0 op_sel_hi:[0,1,0]
	v_fma_mix_f32 v166, v168, v23, v166 op_sel_hi:[0,1,0]
	v_mul_lo_u32 v168, v169, v158
	v_mul_lo_u32 v169, v227, v157
	v_cvt_f32_i32_e32 v168, v168
	v_cvt_f32_i32_e32 v169, v169
	v_fma_mix_f32 v168, v168, v22, 0 op_sel_hi:[0,1,0]
	v_fma_mix_f32 v168, v169, v23, v168 op_sel_hi:[0,1,0]
	v_mul_lo_u32 v169, v171, v162
	v_mul_lo_u32 v171, v226, v161
	v_fma_mix_f32 v226, v170, v22, 0 op_sel:[0,1,0] op_sel_hi:[0,1,0]
	v_fma_mix_f32 v226, v156, v23, v226 op_sel:[0,1,0] op_sel_hi:[0,1,0]
	v_cvt_f32_i32_e32 v169, v169
	v_cvt_f32_i32_e32 v171, v171
	v_fma_mix_f32 v169, v169, v22, 0 op_sel_hi:[0,1,0]
	v_fma_mix_f32 v169, v171, v23, v169 op_sel_hi:[0,1,0]
	v_fma_mix_f32 v171, v164, v22, 0 op_sel:[0,1,0] op_sel_hi:[0,1,0]
	v_fma_mix_f32 v22, v177, v22, 0 op_sel:[0,1,0] op_sel_hi:[0,1,0]
	v_fma_mix_f32 v171, v24, v23, v171 op_sel:[0,1,0] op_sel_hi:[0,1,0]
	v_fma_mix_f32 v227, v160, v23, v22 op_sel:[0,1,0] op_sel_hi:[0,1,0]
	v_mul_lo_u32 v23, v172, v26
	v_lshrrev_b32_e32 v22, 1, v173
	v_mul_lo_u32 v172, v225, v25
	v_cvt_f32_i32_e32 v173, v23
	ds_read_b64 v[22:23], v22 offset:43584
	v_cvt_f32_i32_e32 v172, v172
	s_waitcnt lgkmcnt(0)
	v_fma_mix_f32 v173, v173, v22, 0 op_sel_hi:[0,1,0]
	v_fma_mix_f32 v172, v172, v23, v173 op_sel_hi:[0,1,0]
	v_mul_lo_u32 v173, v174, v29
	v_mul_lo_u32 v174, v224, v28
	v_cvt_f32_i32_e32 v173, v173
	v_cvt_f32_i32_e32 v174, v174
	v_fma_mix_f32 v173, v173, v22, 0 op_sel_hi:[0,1,0]
	v_fma_mix_f32 v173, v174, v23, v173 op_sel_hi:[0,1,0]
	v_mul_lo_u32 v174, v175, v158
	v_mul_lo_u32 v175, v223, v157
	v_fma_mix_f32 v223, v170, v22, 0 op_sel:[0,1,0] op_sel_hi:[0,1,0]
	v_fma_mix_f32 v223, v156, v23, v223 op_sel:[0,1,0] op_sel_hi:[0,1,0]
	v_cvt_f32_i32_e32 v174, v174
	v_cvt_f32_i32_e32 v175, v175
	v_fma_mix_f32 v174, v174, v22, 0 op_sel_hi:[0,1,0]
	v_fma_mix_f32 v174, v175, v23, v174 op_sel_hi:[0,1,0]
	v_mul_lo_u32 v175, v176, v162
	v_mul_lo_u32 v176, v222, v161
	v_fma_mix_f32 v222, v167, v22, 0 op_sel:[0,1,0] op_sel_hi:[0,1,0]
	v_fma_mix_f32 v222, v27, v23, v222 op_sel:[0,1,0] op_sel_hi:[0,1,0]
	v_cvt_f32_i32_e32 v175, v175
	v_cvt_f32_i32_e32 v176, v176
	v_fma_mix_f32 v175, v175, v22, 0 op_sel_hi:[0,1,0]
	v_fma_mix_f32 v175, v176, v23, v175 op_sel_hi:[0,1,0]
	v_fma_mix_f32 v176, v164, v22, 0 op_sel:[0,1,0] op_sel_hi:[0,1,0]
	v_fma_mix_f32 v22, v177, v22, 0 op_sel:[0,1,0] op_sel_hi:[0,1,0]
	v_fma_mix_f32 v176, v24, v23, v176 op_sel:[0,1,0] op_sel_hi:[0,1,0]
	v_fma_mix_f32 v224, v160, v23, v22 op_sel:[0,1,0] op_sel_hi:[0,1,0]
	v_mul_lo_u32 v23, v178, v26
	v_lshrrev_b32_e32 v22, 1, v179
	v_mul_lo_u32 v178, v221, v25
	v_cvt_f32_i32_e32 v179, v23
	ds_read_b64 v[22:23], v22 offset:43584
	v_cvt_f32_i32_e32 v178, v178
	s_waitcnt lgkmcnt(0)
	v_fma_mix_f32 v179, v179, v22, 0 op_sel_hi:[0,1,0]
	v_fma_mix_f32 v178, v178, v23, v179 op_sel_hi:[0,1,0]
	v_mul_lo_u32 v179, v180, v29
	v_mul_lo_u32 v180, v220, v28
	v_cvt_f32_i32_e32 v179, v179
	v_cvt_f32_i32_e32 v180, v180
	v_fma_mix_f32 v179, v179, v22, 0 op_sel_hi:[0,1,0]
	v_fma_mix_f32 v179, v180, v23, v179 op_sel_hi:[0,1,0]
	v_mul_lo_u32 v180, v181, v158
	v_mul_lo_u32 v181, v219, v157
	v_fma_mix_f32 v219, v170, v22, 0 op_sel:[0,1,0] op_sel_hi:[0,1,0]
	v_fma_mix_f32 v219, v156, v23, v219 op_sel:[0,1,0] op_sel_hi:[0,1,0]
	;; [unrolled: 35-line block ×4, first 2 shown]
	v_cvt_f32_i32_e32 v192, v192
	v_cvt_f32_i32_e32 v193, v193
	v_fma_mix_f32 v192, v192, v22, 0 op_sel_hi:[0,1,0]
	v_fma_mix_f32 v192, v193, v23, v192 op_sel_hi:[0,1,0]
	v_mul_lo_u32 v193, v194, v162
	v_mul_lo_u32 v194, v210, v161
	v_fma_mix_f32 v210, v167, v22, 0 op_sel:[0,1,0] op_sel_hi:[0,1,0]
	v_mul_f32_e32 v161, v224, v154
	v_fma_mix_f32 v210, v27, v23, v210 op_sel:[0,1,0] op_sel_hi:[0,1,0]
	v_cvt_f32_i32_e32 v193, v193
	v_cvt_f32_i32_e32 v194, v194
	v_fma_f32 v161, v175, v155, -v161
	v_fma_mix_f32 v193, v193, v22, 0 op_sel_hi:[0,1,0]
	v_add_f32_e32 v58, v58, v161
	v_fma_mix_f32 v193, v194, v23, v193 op_sel_hi:[0,1,0]
	v_fma_mix_f32 v194, v164, v22, 0 op_sel:[0,1,0] op_sel_hi:[0,1,0]
	v_fma_mix_f32 v22, v177, v22, 0 op_sel:[0,1,0] op_sel_hi:[0,1,0]
	;; [unrolled: 1-line block ×4, first 2 shown]
	v_mul_lo_u32 v23, v196, v26
	v_lshrrev_b32_e32 v22, 1, v197
	v_mul_lo_u32 v196, v209, v25
	v_mul_lo_u32 v26, v198, v26
	;; [unrolled: 1-line block ×4, first 2 shown]
	v_cvt_f32_i32_e32 v197, v23
	ds_read_b64 v[22:23], v22 offset:43584
	v_cvt_f32_i32_e32 v196, v196
	v_cvt_f32_i32_e32 v26, v26
	;; [unrolled: 1-line block ×3, first 2 shown]
	s_waitcnt lgkmcnt(0)
	v_fma_mix_f32 v197, v197, v22, 0 op_sel_hi:[0,1,0]
	v_fma_mix_f32 v196, v196, v23, v197 op_sel_hi:[0,1,0]
	v_mul_lo_u32 v197, v199, v29
	v_mul_lo_u32 v199, v208, v28
	;; [unrolled: 1-line block ×6, first 2 shown]
	v_mul_f32_e32 v157, v176, v149
	v_cvt_f32_i32_e32 v197, v197
	v_cvt_f32_i32_e32 v199, v199
	v_cvt_f32_i32_e32 v28, v28
	v_fma_f32 v157, v172, v148, -v157
	v_fma_mix_f32 v197, v197, v22, 0 op_sel_hi:[0,1,0]
	v_mul_f32_e32 v172, v211, v152
	v_add_f32_e32 v69, v69, v157
	v_fma_mix_f32 v197, v199, v23, v197 op_sel_hi:[0,1,0]
	v_mul_lo_u32 v199, v201, v158
	v_fma_mix_f32 v201, v167, v22, 0 op_sel:[0,1,0] op_sel_hi:[0,1,0]
	v_mul_f32_e32 v158, v222, v150
	v_fma_f32 v172, v192, v153, -v172
	v_fma_mix_f32 v201, v27, v23, v201 op_sel:[0,1,0] op_sel_hi:[0,1,0]
	v_fma_f32 v158, v173, v151, -v158
	v_cvt_f32_i32_e32 v199, v199
	v_mul_f32_e32 v173, v212, v154
	v_add_f32_e32 v46, v46, v172
	v_mul_f32_e32 v175, v201, v150
	v_add_f32_e32 v62, v62, v158
	v_fma_mix_f32 v199, v199, v22, 0 op_sel_hi:[0,1,0]
	v_fma_f32 v173, v193, v155, -v173
	v_fma_f32 v175, v197, v151, -v175
	v_fma_mix_f32 v36, v36, v23, v199 op_sel_hi:[0,1,0]
	v_mul_lo_u32 v199, v203, v162
	v_fma_mix_f32 v203, v170, v22, 0 op_sel:[0,1,0] op_sel_hi:[0,1,0]
	v_mul_f32_e32 v162, v182, v149
	v_add_f32_e32 v45, v45, v173
	v_add_f32_e32 v43, v43, v175
	v_fma_mix_f32 v203, v156, v23, v203 op_sel:[0,1,0] op_sel_hi:[0,1,0]
	v_fma_f32 v162, v178, v148, -v162
	v_cvt_f32_i32_e32 v199, v199
	v_mul_f32_e32 v176, v203, v152
	v_add_f32_e32 v57, v57, v162
	v_fma_mix_f32 v199, v199, v22, 0 op_sel_hi:[0,1,0]
	v_fma_f32 v36, v36, v153, -v176
	v_fma_mix_f32 v35, v35, v23, v199 op_sel_hi:[0,1,0]
	v_fma_mix_f32 v199, v164, v22, 0 op_sel:[0,1,0] op_sel_hi:[0,1,0]
	v_fma_mix_f32 v22, v177, v22, 0 op_sel:[0,1,0] op_sel_hi:[0,1,0]
	v_add_f32_e32 v42, v42, v36
	v_fma_mix_f32 v199, v24, v23, v199 op_sel:[0,1,0] op_sel_hi:[0,1,0]
	v_fma_mix_f32 v208, v160, v23, v22 op_sel:[0,1,0] op_sel_hi:[0,1,0]
	v_lshrrev_b32_e32 v22, 1, v206
	v_mul_f32_e32 v176, v208, v154
	ds_read_b64 v[22:23], v22 offset:43584
	v_fma_f32 v35, v35, v155, -v176
	v_add_f32_e32 v41, v41, v35
	s_waitcnt lgkmcnt(0)
	v_fma_mix_f32 v26, v26, v22, 0 op_sel_hi:[0,1,0]
	v_fma_mix_f32 v164, v164, v22, 0 op_sel:[0,1,0] op_sel_hi:[0,1,0]
	v_fma_mix_f32 v25, v25, v23, v26 op_sel_hi:[0,1,0]
	v_cvt_f32_i32_e32 v26, v29
	v_fma_mix_f32 v24, v24, v23, v164 op_sel:[0,1,0] op_sel_hi:[0,1,0]
	v_fma_mix_f32 v164, v167, v22, 0 op_sel:[0,1,0] op_sel_hi:[0,1,0]
	v_cvt_f32_i32_e32 v29, v32
	v_mul_f32_e32 v32, v207, v150
	v_fma_mix_f32 v26, v26, v22, 0 op_sel_hi:[0,1,0]
	v_mul_f32_e32 v24, v24, v149
	v_fma_mix_f32 v27, v27, v23, v164 op_sel:[0,1,0] op_sel_hi:[0,1,0]
	v_fma_mix_f32 v164, v170, v22, 0 op_sel:[0,1,0] op_sel_hi:[0,1,0]
	v_fma_f32 v32, v166, v151, -v32
	v_fma_mix_f32 v26, v28, v23, v26 op_sel_hi:[0,1,0]
	v_cvt_f32_i32_e32 v28, v31
	v_cvt_f32_i32_e32 v31, v34
	v_fma_mix_f32 v156, v156, v23, v164 op_sel:[0,1,0] op_sel_hi:[0,1,0]
	v_fma_mix_f32 v164, v177, v22, 0 op_sel:[0,1,0] op_sel_hi:[0,1,0]
	v_mul_f32_e32 v34, v227, v154
	v_fma_mix_f32 v28, v28, v22, 0 op_sel_hi:[0,1,0]
	v_fma_f32 v24, v25, v148, -v24
	v_mul_f32_e32 v25, v27, v150
	v_fma_mix_f32 v160, v160, v23, v164 op_sel:[0,1,0] op_sel_hi:[0,1,0]
	v_fma_f32 v34, v169, v155, -v34
	v_fma_mix_f32 v28, v29, v23, v28 op_sel_hi:[0,1,0]
	v_cvt_f32_i32_e32 v29, v33
	v_mul_f32_e32 v33, v226, v152
	v_mul_f32_e32 v164, v219, v152
	;; [unrolled: 1-line block ×4, first 2 shown]
	v_fma_mix_f32 v22, v29, v22, 0 op_sel_hi:[0,1,0]
	v_mul_f32_e32 v29, v195, v152
	v_fma_f32 v33, v168, v153, -v33
	v_mul_f32_e32 v168, v215, v152
	v_mul_f32_e32 v169, v216, v154
	v_fma_mix_f32 v22, v31, v23, v22 op_sel_hi:[0,1,0]
	v_mul_f32_e32 v23, v183, v149
	v_fma_f32 v29, v159, v153, -v29
	v_mul_f32_e32 v31, v171, v149
	v_mul_f32_e32 v159, v223, v152
	;; [unrolled: 1-line block ×3, first 2 shown]
	v_fma_f32 v21, v21, v148, -v23
	v_mul_f32_e32 v23, v189, v150
	v_fma_f32 v31, v165, v148, -v31
	v_fma_f32 v159, v174, v153, -v159
	v_mul_f32_e32 v165, v220, v154
	v_mul_f32_e32 v171, v210, v150
	v_fma_f32 v23, v30, v151, -v23
	v_mul_f32_e32 v30, v205, v154
	v_mul_f32_e32 v174, v199, v149
	;; [unrolled: 3-line block ×3, first 2 shown]
	v_fma_f32 v30, v163, v155, -v30
	v_mul_f32_e32 v163, v218, v150
	v_fma_f32 v164, v180, v153, -v164
	v_fma_f32 v165, v181, v155, -v165
	;; [unrolled: 1-line block ×12, first 2 shown]
	v_add_f32_e32 v95, v95, v21
	v_add_f32_e32 v93, v93, v23
	;; [unrolled: 1-line block ×23, first 2 shown]
	s_cbranch_scc1 .LBB174_8
; %bb.9:                                ;   in Loop: Header=BB174_5 Depth=1
	s_add_i32 s9, s9, 1
	s_cmp_eq_u32 s9, s4
	s_barrier
	buffer_gl0_inv
	s_cbranch_scc0 .LBB174_5
; %bb.10:
	v_mov_b32_e32 v2, v55
.LBB174_11:
	s_mov_b32 s0, exec_lo
	v_cmpx_gt_u32_e64 s10, v2
	s_cbranch_execz .LBB174_62
; %bb.12:
	v_add_nc_u32_e32 v0, s6, v0
	v_mul_lo_u32 v5, v2, s14
	v_cmp_gt_u32_e64 s0, s14, v0
	s_and_saveexec_b32 s1, s0
	s_cbranch_execz .LBB174_14
; %bb.13:
	v_add_nc_u32_e32 v2, v0, v5
	v_mov_b32_e32 v3, 0
	v_bfe_u32 v4, v95, 16, 1
	v_cmp_o_f32_e32 vcc_lo, v95, v95
	v_mov_b32_e32 v6, 0x7fc0
	v_lshlrev_b64 v[2:3], 1, v[2:3]
	v_add3_u32 v4, v95, v4, 0x7fff
	v_cndmask_b32_sdwa v4, v6, v4, vcc_lo dst_sel:DWORD dst_unused:UNUSED_PAD src0_sel:DWORD src1_sel:WORD_1
	s_waitcnt lgkmcnt(0)
	v_add_co_u32 v2, vcc_lo, s12, v2
	v_add_co_ci_u32_e64 v3, null, s13, v3, vcc_lo
	global_store_short v[2:3], v4, off
.LBB174_14:
	s_or_b32 exec_lo, exec_lo, s1
	v_add_nc_u32_e32 v2, 32, v0
	v_cmp_gt_u32_e64 s1, s14, v2
	s_and_saveexec_b32 s2, s1
	s_cbranch_execz .LBB174_16
; %bb.15:
	v_add_nc_u32_e32 v3, v2, v5
	v_mov_b32_e32 v4, 0
	v_bfe_u32 v6, v93, 16, 1
	v_cmp_o_f32_e32 vcc_lo, v93, v93
	v_mov_b32_e32 v7, 0x7fc0
	v_lshlrev_b64 v[3:4], 1, v[3:4]
	v_add3_u32 v6, v93, v6, 0x7fff
	v_cndmask_b32_sdwa v6, v7, v6, vcc_lo dst_sel:DWORD dst_unused:UNUSED_PAD src0_sel:DWORD src1_sel:WORD_1
	s_waitcnt lgkmcnt(0)
	v_add_co_u32 v3, vcc_lo, s12, v3
	v_add_co_ci_u32_e64 v4, null, s13, v4, vcc_lo
	global_store_short v[3:4], v6, off
.LBB174_16:
	s_or_b32 exec_lo, exec_lo, s2
	v_add_nc_u32_e32 v3, 64, v0
	;; [unrolled: 19-line block ×3, first 2 shown]
	v_cmp_gt_u32_e64 s3, s14, v4
	s_and_saveexec_b32 s4, s3
	s_cbranch_execz .LBB174_20
; %bb.19:
	v_add_nc_u32_e32 v5, v4, v5
	v_mov_b32_e32 v6, 0
	v_bfe_u32 v7, v91, 16, 1
	v_cmp_o_f32_e32 vcc_lo, v91, v91
	v_mov_b32_e32 v8, 0x7fc0
	v_lshlrev_b64 v[5:6], 1, v[5:6]
	v_add3_u32 v7, v91, v7, 0x7fff
	v_cndmask_b32_sdwa v7, v8, v7, vcc_lo dst_sel:DWORD dst_unused:UNUSED_PAD src0_sel:DWORD src1_sel:WORD_1
	s_waitcnt lgkmcnt(0)
	v_add_co_u32 v5, vcc_lo, s12, v5
	v_add_co_ci_u32_e64 v6, null, s13, v6, vcc_lo
	global_store_short v[5:6], v7, off
.LBB174_20:
	s_or_b32 exec_lo, exec_lo, s4
	v_add3_u32 v5, v1, s7, 8
	v_cmp_gt_u32_e32 vcc_lo, s10, v5
	s_and_b32 exec_lo, exec_lo, vcc_lo
	s_cbranch_execz .LBB174_62
; %bb.21:
	v_mul_lo_u32 v5, v5, s14
	s_and_saveexec_b32 s4, s0
	s_cbranch_execnz .LBB174_63
; %bb.22:
	s_or_b32 exec_lo, exec_lo, s4
	s_and_saveexec_b32 s4, s1
	s_cbranch_execnz .LBB174_64
.LBB174_23:
	s_or_b32 exec_lo, exec_lo, s4
	s_and_saveexec_b32 s4, s2
	s_cbranch_execnz .LBB174_65
.LBB174_24:
	s_or_b32 exec_lo, exec_lo, s4
	s_and_saveexec_b32 s4, s3
	s_cbranch_execz .LBB174_26
.LBB174_25:
	v_add_nc_u32_e32 v5, v5, v4
	v_mov_b32_e32 v6, 0
	v_bfe_u32 v7, v74, 16, 1
	v_cmp_o_f32_e32 vcc_lo, v74, v74
	v_mov_b32_e32 v8, 0x7fc0
	v_lshlrev_b64 v[5:6], 1, v[5:6]
	v_add3_u32 v7, v74, v7, 0x7fff
	v_cndmask_b32_sdwa v7, v8, v7, vcc_lo dst_sel:DWORD dst_unused:UNUSED_PAD src0_sel:DWORD src1_sel:WORD_1
	s_waitcnt lgkmcnt(0)
	v_add_co_u32 v5, vcc_lo, s12, v5
	v_add_co_ci_u32_e64 v6, null, s13, v6, vcc_lo
	global_store_short v[5:6], v7, off
.LBB174_26:
	s_or_b32 exec_lo, exec_lo, s4
	v_add3_u32 v5, v1, s7, 16
	v_cmp_gt_u32_e32 vcc_lo, s10, v5
	s_and_b32 exec_lo, exec_lo, vcc_lo
	s_cbranch_execz .LBB174_62
; %bb.27:
	v_mul_lo_u32 v5, v5, s14
	s_and_saveexec_b32 s4, s0
	s_cbranch_execnz .LBB174_66
; %bb.28:
	s_or_b32 exec_lo, exec_lo, s4
	s_and_saveexec_b32 s4, s1
	s_cbranch_execnz .LBB174_67
.LBB174_29:
	s_or_b32 exec_lo, exec_lo, s4
	s_and_saveexec_b32 s4, s2
	s_cbranch_execnz .LBB174_68
.LBB174_30:
	s_or_b32 exec_lo, exec_lo, s4
	s_and_saveexec_b32 s4, s3
	s_cbranch_execz .LBB174_32
.LBB174_31:
	v_add_nc_u32_e32 v5, v5, v4
	v_mov_b32_e32 v6, 0
	v_bfe_u32 v7, v58, 16, 1
	v_cmp_o_f32_e32 vcc_lo, v58, v58
	v_mov_b32_e32 v8, 0x7fc0
	v_lshlrev_b64 v[5:6], 1, v[5:6]
	v_add3_u32 v7, v58, v7, 0x7fff
	v_cndmask_b32_sdwa v7, v8, v7, vcc_lo dst_sel:DWORD dst_unused:UNUSED_PAD src0_sel:DWORD src1_sel:WORD_1
	s_waitcnt lgkmcnt(0)
	v_add_co_u32 v5, vcc_lo, s12, v5
	v_add_co_ci_u32_e64 v6, null, s13, v6, vcc_lo
	global_store_short v[5:6], v7, off
.LBB174_32:
	s_or_b32 exec_lo, exec_lo, s4
	v_add3_u32 v5, v1, s7, 24
	v_cmp_gt_u32_e32 vcc_lo, s10, v5
	s_and_b32 exec_lo, exec_lo, vcc_lo
	s_cbranch_execz .LBB174_62
; %bb.33:
	v_mul_lo_u32 v5, v5, s14
	s_and_saveexec_b32 s4, s0
	s_cbranch_execnz .LBB174_69
; %bb.34:
	s_or_b32 exec_lo, exec_lo, s4
	s_and_saveexec_b32 s4, s1
	s_cbranch_execnz .LBB174_70
.LBB174_35:
	s_or_b32 exec_lo, exec_lo, s4
	s_and_saveexec_b32 s4, s2
	s_cbranch_execnz .LBB174_71
.LBB174_36:
	s_or_b32 exec_lo, exec_lo, s4
	s_and_saveexec_b32 s4, s3
	s_cbranch_execz .LBB174_38
.LBB174_37:
	v_add_nc_u32_e32 v5, v5, v4
	v_mov_b32_e32 v6, 0
	v_bfe_u32 v7, v53, 16, 1
	v_cmp_o_f32_e32 vcc_lo, v53, v53
	v_mov_b32_e32 v8, 0x7fc0
	v_lshlrev_b64 v[5:6], 1, v[5:6]
	v_add3_u32 v7, v53, v7, 0x7fff
	v_cndmask_b32_sdwa v7, v8, v7, vcc_lo dst_sel:DWORD dst_unused:UNUSED_PAD src0_sel:DWORD src1_sel:WORD_1
	s_waitcnt lgkmcnt(0)
	v_add_co_u32 v5, vcc_lo, s12, v5
	v_add_co_ci_u32_e64 v6, null, s13, v6, vcc_lo
	global_store_short v[5:6], v7, off
.LBB174_38:
	s_or_b32 exec_lo, exec_lo, s4
	v_add3_u32 v5, v1, s7, 32
	v_cmp_gt_u32_e32 vcc_lo, s10, v5
	s_and_b32 exec_lo, exec_lo, vcc_lo
	s_cbranch_execz .LBB174_62
; %bb.39:
	v_mul_lo_u32 v5, v5, s14
	s_and_saveexec_b32 s4, s0
	s_cbranch_execnz .LBB174_72
; %bb.40:
	s_or_b32 exec_lo, exec_lo, s4
	s_and_saveexec_b32 s4, s1
	s_cbranch_execnz .LBB174_73
.LBB174_41:
	s_or_b32 exec_lo, exec_lo, s4
	s_and_saveexec_b32 s4, s2
	s_cbranch_execnz .LBB174_74
.LBB174_42:
	s_or_b32 exec_lo, exec_lo, s4
	s_and_saveexec_b32 s4, s3
	s_cbranch_execz .LBB174_44
.LBB174_43:
	v_add_nc_u32_e32 v5, v5, v4
	v_mov_b32_e32 v6, 0
	v_bfe_u32 v7, v49, 16, 1
	v_cmp_o_f32_e32 vcc_lo, v49, v49
	v_mov_b32_e32 v8, 0x7fc0
	v_lshlrev_b64 v[5:6], 1, v[5:6]
	v_add3_u32 v7, v49, v7, 0x7fff
	v_cndmask_b32_sdwa v7, v8, v7, vcc_lo dst_sel:DWORD dst_unused:UNUSED_PAD src0_sel:DWORD src1_sel:WORD_1
	s_waitcnt lgkmcnt(0)
	v_add_co_u32 v5, vcc_lo, s12, v5
	v_add_co_ci_u32_e64 v6, null, s13, v6, vcc_lo
	global_store_short v[5:6], v7, off
.LBB174_44:
	s_or_b32 exec_lo, exec_lo, s4
	v_add3_u32 v5, v1, s7, 40
	v_cmp_gt_u32_e32 vcc_lo, s10, v5
	s_and_b32 exec_lo, exec_lo, vcc_lo
	s_cbranch_execz .LBB174_62
; %bb.45:
	v_mul_lo_u32 v5, v5, s14
	s_and_saveexec_b32 s4, s0
	s_cbranch_execnz .LBB174_75
; %bb.46:
	s_or_b32 exec_lo, exec_lo, s4
	s_and_saveexec_b32 s4, s1
	s_cbranch_execnz .LBB174_76
.LBB174_47:
	s_or_b32 exec_lo, exec_lo, s4
	s_and_saveexec_b32 s4, s2
	s_cbranch_execnz .LBB174_77
.LBB174_48:
	s_or_b32 exec_lo, exec_lo, s4
	s_and_saveexec_b32 s4, s3
	s_cbranch_execz .LBB174_50
.LBB174_49:
	v_add_nc_u32_e32 v5, v5, v4
	v_mov_b32_e32 v6, 0
	v_bfe_u32 v7, v45, 16, 1
	v_cmp_o_f32_e32 vcc_lo, v45, v45
	v_mov_b32_e32 v8, 0x7fc0
	v_lshlrev_b64 v[5:6], 1, v[5:6]
	v_add3_u32 v7, v45, v7, 0x7fff
	v_cndmask_b32_sdwa v7, v8, v7, vcc_lo dst_sel:DWORD dst_unused:UNUSED_PAD src0_sel:DWORD src1_sel:WORD_1
	s_waitcnt lgkmcnt(0)
	v_add_co_u32 v5, vcc_lo, s12, v5
	v_add_co_ci_u32_e64 v6, null, s13, v6, vcc_lo
	global_store_short v[5:6], v7, off
.LBB174_50:
	s_or_b32 exec_lo, exec_lo, s4
	v_add3_u32 v5, v1, s7, 48
	v_cmp_gt_u32_e32 vcc_lo, s10, v5
	s_and_b32 exec_lo, exec_lo, vcc_lo
	s_cbranch_execz .LBB174_62
; %bb.51:
	v_mul_lo_u32 v5, v5, s14
	s_and_saveexec_b32 s4, s0
	s_cbranch_execnz .LBB174_78
; %bb.52:
	s_or_b32 exec_lo, exec_lo, s4
	s_and_saveexec_b32 s4, s1
	s_cbranch_execnz .LBB174_79
.LBB174_53:
	s_or_b32 exec_lo, exec_lo, s4
	s_and_saveexec_b32 s4, s2
	s_cbranch_execnz .LBB174_80
.LBB174_54:
	s_or_b32 exec_lo, exec_lo, s4
	s_and_saveexec_b32 s4, s3
	s_cbranch_execz .LBB174_56
.LBB174_55:
	v_add_nc_u32_e32 v5, v5, v4
	v_mov_b32_e32 v6, 0
	v_bfe_u32 v7, v41, 16, 1
	v_cmp_o_f32_e32 vcc_lo, v41, v41
	v_mov_b32_e32 v8, 0x7fc0
	v_lshlrev_b64 v[5:6], 1, v[5:6]
	v_add3_u32 v7, v41, v7, 0x7fff
	v_cndmask_b32_sdwa v7, v8, v7, vcc_lo dst_sel:DWORD dst_unused:UNUSED_PAD src0_sel:DWORD src1_sel:WORD_1
	s_waitcnt lgkmcnt(0)
	v_add_co_u32 v5, vcc_lo, s12, v5
	v_add_co_ci_u32_e64 v6, null, s13, v6, vcc_lo
	global_store_short v[5:6], v7, off
.LBB174_56:
	s_or_b32 exec_lo, exec_lo, s4
	v_add3_u32 v1, v1, s7, 56
	v_cmp_gt_u32_e32 vcc_lo, s10, v1
	s_and_b32 exec_lo, exec_lo, vcc_lo
	s_cbranch_execz .LBB174_62
; %bb.57:
	v_mul_lo_u32 v1, v1, s14
	s_and_saveexec_b32 s4, s0
	s_cbranch_execnz .LBB174_81
; %bb.58:
	s_or_b32 exec_lo, exec_lo, s4
	s_and_saveexec_b32 s0, s1
	s_cbranch_execnz .LBB174_82
.LBB174_59:
	s_or_b32 exec_lo, exec_lo, s0
	s_and_saveexec_b32 s0, s2
	s_cbranch_execnz .LBB174_83
.LBB174_60:
	s_or_b32 exec_lo, exec_lo, s0
	s_and_b32 exec_lo, exec_lo, s3
	s_cbranch_execz .LBB174_62
.LBB174_61:
	v_add_nc_u32_e32 v0, v1, v4
	v_mov_b32_e32 v1, 0
	v_bfe_u32 v2, v37, 16, 1
	v_cmp_o_f32_e32 vcc_lo, v37, v37
	v_mov_b32_e32 v3, 0x7fc0
	v_lshlrev_b64 v[0:1], 1, v[0:1]
	v_add3_u32 v2, v37, v2, 0x7fff
	v_cndmask_b32_sdwa v2, v3, v2, vcc_lo dst_sel:DWORD dst_unused:UNUSED_PAD src0_sel:DWORD src1_sel:WORD_1
	s_waitcnt lgkmcnt(0)
	v_add_co_u32 v0, vcc_lo, s12, v0
	v_add_co_ci_u32_e64 v1, null, s13, v1, vcc_lo
	global_store_short v[0:1], v2, off
.LBB174_62:
	s_endpgm
.LBB174_63:
	v_add_nc_u32_e32 v6, v5, v0
	v_mov_b32_e32 v7, 0
	v_bfe_u32 v8, v87, 16, 1
	v_cmp_o_f32_e32 vcc_lo, v87, v87
	v_mov_b32_e32 v9, 0x7fc0
	v_lshlrev_b64 v[6:7], 1, v[6:7]
	v_add3_u32 v8, v87, v8, 0x7fff
	v_cndmask_b32_sdwa v8, v9, v8, vcc_lo dst_sel:DWORD dst_unused:UNUSED_PAD src0_sel:DWORD src1_sel:WORD_1
	s_waitcnt lgkmcnt(0)
	v_add_co_u32 v6, vcc_lo, s12, v6
	v_add_co_ci_u32_e64 v7, null, s13, v7, vcc_lo
	global_store_short v[6:7], v8, off
	s_or_b32 exec_lo, exec_lo, s4
	s_and_saveexec_b32 s4, s1
	s_cbranch_execz .LBB174_23
.LBB174_64:
	v_add_nc_u32_e32 v6, v5, v2
	v_mov_b32_e32 v7, 0
	v_bfe_u32 v8, v82, 16, 1
	v_cmp_o_f32_e32 vcc_lo, v82, v82
	v_mov_b32_e32 v9, 0x7fc0
	v_lshlrev_b64 v[6:7], 1, v[6:7]
	v_add3_u32 v8, v82, v8, 0x7fff
	v_cndmask_b32_sdwa v8, v9, v8, vcc_lo dst_sel:DWORD dst_unused:UNUSED_PAD src0_sel:DWORD src1_sel:WORD_1
	s_waitcnt lgkmcnt(0)
	v_add_co_u32 v6, vcc_lo, s12, v6
	v_add_co_ci_u32_e64 v7, null, s13, v7, vcc_lo
	global_store_short v[6:7], v8, off
	s_or_b32 exec_lo, exec_lo, s4
	s_and_saveexec_b32 s4, s2
	s_cbranch_execz .LBB174_24
.LBB174_65:
	v_add_nc_u32_e32 v6, v5, v3
	v_mov_b32_e32 v7, 0
	v_bfe_u32 v8, v77, 16, 1
	v_cmp_o_f32_e32 vcc_lo, v77, v77
	v_mov_b32_e32 v9, 0x7fc0
	v_lshlrev_b64 v[6:7], 1, v[6:7]
	v_add3_u32 v8, v77, v8, 0x7fff
	v_cndmask_b32_sdwa v8, v9, v8, vcc_lo dst_sel:DWORD dst_unused:UNUSED_PAD src0_sel:DWORD src1_sel:WORD_1
	s_waitcnt lgkmcnt(0)
	v_add_co_u32 v6, vcc_lo, s12, v6
	v_add_co_ci_u32_e64 v7, null, s13, v7, vcc_lo
	global_store_short v[6:7], v8, off
	s_or_b32 exec_lo, exec_lo, s4
	s_and_saveexec_b32 s4, s3
	s_cbranch_execnz .LBB174_25
	s_branch .LBB174_26
.LBB174_66:
	v_add_nc_u32_e32 v6, v5, v0
	v_mov_b32_e32 v7, 0
	v_bfe_u32 v8, v69, 16, 1
	v_cmp_o_f32_e32 vcc_lo, v69, v69
	v_mov_b32_e32 v9, 0x7fc0
	v_lshlrev_b64 v[6:7], 1, v[6:7]
	v_add3_u32 v8, v69, v8, 0x7fff
	v_cndmask_b32_sdwa v8, v9, v8, vcc_lo dst_sel:DWORD dst_unused:UNUSED_PAD src0_sel:DWORD src1_sel:WORD_1
	s_waitcnt lgkmcnt(0)
	v_add_co_u32 v6, vcc_lo, s12, v6
	v_add_co_ci_u32_e64 v7, null, s13, v7, vcc_lo
	global_store_short v[6:7], v8, off
	s_or_b32 exec_lo, exec_lo, s4
	s_and_saveexec_b32 s4, s1
	s_cbranch_execz .LBB174_29
.LBB174_67:
	v_add_nc_u32_e32 v6, v5, v2
	v_mov_b32_e32 v7, 0
	v_bfe_u32 v8, v62, 16, 1
	v_cmp_o_f32_e32 vcc_lo, v62, v62
	v_mov_b32_e32 v9, 0x7fc0
	v_lshlrev_b64 v[6:7], 1, v[6:7]
	v_add3_u32 v8, v62, v8, 0x7fff
	v_cndmask_b32_sdwa v8, v9, v8, vcc_lo dst_sel:DWORD dst_unused:UNUSED_PAD src0_sel:DWORD src1_sel:WORD_1
	s_waitcnt lgkmcnt(0)
	v_add_co_u32 v6, vcc_lo, s12, v6
	v_add_co_ci_u32_e64 v7, null, s13, v7, vcc_lo
	global_store_short v[6:7], v8, off
	s_or_b32 exec_lo, exec_lo, s4
	s_and_saveexec_b32 s4, s2
	s_cbranch_execz .LBB174_30
.LBB174_68:
	v_add_nc_u32_e32 v6, v5, v3
	v_mov_b32_e32 v7, 0
	v_bfe_u32 v8, v59, 16, 1
	v_cmp_o_f32_e32 vcc_lo, v59, v59
	v_mov_b32_e32 v9, 0x7fc0
	v_lshlrev_b64 v[6:7], 1, v[6:7]
	v_add3_u32 v8, v59, v8, 0x7fff
	v_cndmask_b32_sdwa v8, v9, v8, vcc_lo dst_sel:DWORD dst_unused:UNUSED_PAD src0_sel:DWORD src1_sel:WORD_1
	s_waitcnt lgkmcnt(0)
	v_add_co_u32 v6, vcc_lo, s12, v6
	v_add_co_ci_u32_e64 v7, null, s13, v7, vcc_lo
	global_store_short v[6:7], v8, off
	s_or_b32 exec_lo, exec_lo, s4
	s_and_saveexec_b32 s4, s3
	s_cbranch_execnz .LBB174_31
	s_branch .LBB174_32
.LBB174_69:
	v_add_nc_u32_e32 v6, v5, v0
	v_mov_b32_e32 v7, 0
	v_bfe_u32 v8, v57, 16, 1
	v_cmp_o_f32_e32 vcc_lo, v57, v57
	v_mov_b32_e32 v9, 0x7fc0
	v_lshlrev_b64 v[6:7], 1, v[6:7]
	v_add3_u32 v8, v57, v8, 0x7fff
	v_cndmask_b32_sdwa v8, v9, v8, vcc_lo dst_sel:DWORD dst_unused:UNUSED_PAD src0_sel:DWORD src1_sel:WORD_1
	s_waitcnt lgkmcnt(0)
	v_add_co_u32 v6, vcc_lo, s12, v6
	v_add_co_ci_u32_e64 v7, null, s13, v7, vcc_lo
	global_store_short v[6:7], v8, off
	s_or_b32 exec_lo, exec_lo, s4
	s_and_saveexec_b32 s4, s1
	s_cbranch_execz .LBB174_35
.LBB174_70:
	v_add_nc_u32_e32 v6, v5, v2
	v_mov_b32_e32 v7, 0
	v_bfe_u32 v8, v56, 16, 1
	v_cmp_o_f32_e32 vcc_lo, v56, v56
	v_mov_b32_e32 v9, 0x7fc0
	v_lshlrev_b64 v[6:7], 1, v[6:7]
	v_add3_u32 v8, v56, v8, 0x7fff
	v_cndmask_b32_sdwa v8, v9, v8, vcc_lo dst_sel:DWORD dst_unused:UNUSED_PAD src0_sel:DWORD src1_sel:WORD_1
	s_waitcnt lgkmcnt(0)
	v_add_co_u32 v6, vcc_lo, s12, v6
	v_add_co_ci_u32_e64 v7, null, s13, v7, vcc_lo
	global_store_short v[6:7], v8, off
	s_or_b32 exec_lo, exec_lo, s4
	s_and_saveexec_b32 s4, s2
	s_cbranch_execz .LBB174_36
.LBB174_71:
	v_add_nc_u32_e32 v6, v5, v3
	v_mov_b32_e32 v7, 0
	v_bfe_u32 v8, v54, 16, 1
	v_cmp_o_f32_e32 vcc_lo, v54, v54
	v_mov_b32_e32 v9, 0x7fc0
	v_lshlrev_b64 v[6:7], 1, v[6:7]
	v_add3_u32 v8, v54, v8, 0x7fff
	v_cndmask_b32_sdwa v8, v9, v8, vcc_lo dst_sel:DWORD dst_unused:UNUSED_PAD src0_sel:DWORD src1_sel:WORD_1
	s_waitcnt lgkmcnt(0)
	v_add_co_u32 v6, vcc_lo, s12, v6
	v_add_co_ci_u32_e64 v7, null, s13, v7, vcc_lo
	global_store_short v[6:7], v8, off
	s_or_b32 exec_lo, exec_lo, s4
	s_and_saveexec_b32 s4, s3
	s_cbranch_execnz .LBB174_37
	s_branch .LBB174_38
.LBB174_72:
	v_add_nc_u32_e32 v6, v5, v0
	v_mov_b32_e32 v7, 0
	v_bfe_u32 v8, v52, 16, 1
	v_cmp_o_f32_e32 vcc_lo, v52, v52
	v_mov_b32_e32 v9, 0x7fc0
	v_lshlrev_b64 v[6:7], 1, v[6:7]
	v_add3_u32 v8, v52, v8, 0x7fff
	v_cndmask_b32_sdwa v8, v9, v8, vcc_lo dst_sel:DWORD dst_unused:UNUSED_PAD src0_sel:DWORD src1_sel:WORD_1
	s_waitcnt lgkmcnt(0)
	v_add_co_u32 v6, vcc_lo, s12, v6
	v_add_co_ci_u32_e64 v7, null, s13, v7, vcc_lo
	global_store_short v[6:7], v8, off
	s_or_b32 exec_lo, exec_lo, s4
	s_and_saveexec_b32 s4, s1
	s_cbranch_execz .LBB174_41
.LBB174_73:
	v_add_nc_u32_e32 v6, v5, v2
	v_mov_b32_e32 v7, 0
	v_bfe_u32 v8, v51, 16, 1
	v_cmp_o_f32_e32 vcc_lo, v51, v51
	v_mov_b32_e32 v9, 0x7fc0
	v_lshlrev_b64 v[6:7], 1, v[6:7]
	v_add3_u32 v8, v51, v8, 0x7fff
	v_cndmask_b32_sdwa v8, v9, v8, vcc_lo dst_sel:DWORD dst_unused:UNUSED_PAD src0_sel:DWORD src1_sel:WORD_1
	s_waitcnt lgkmcnt(0)
	v_add_co_u32 v6, vcc_lo, s12, v6
	v_add_co_ci_u32_e64 v7, null, s13, v7, vcc_lo
	global_store_short v[6:7], v8, off
	s_or_b32 exec_lo, exec_lo, s4
	s_and_saveexec_b32 s4, s2
	s_cbranch_execz .LBB174_42
.LBB174_74:
	v_add_nc_u32_e32 v6, v5, v3
	v_mov_b32_e32 v7, 0
	v_bfe_u32 v8, v50, 16, 1
	v_cmp_o_f32_e32 vcc_lo, v50, v50
	v_mov_b32_e32 v9, 0x7fc0
	v_lshlrev_b64 v[6:7], 1, v[6:7]
	v_add3_u32 v8, v50, v8, 0x7fff
	v_cndmask_b32_sdwa v8, v9, v8, vcc_lo dst_sel:DWORD dst_unused:UNUSED_PAD src0_sel:DWORD src1_sel:WORD_1
	s_waitcnt lgkmcnt(0)
	v_add_co_u32 v6, vcc_lo, s12, v6
	v_add_co_ci_u32_e64 v7, null, s13, v7, vcc_lo
	global_store_short v[6:7], v8, off
	s_or_b32 exec_lo, exec_lo, s4
	s_and_saveexec_b32 s4, s3
	s_cbranch_execnz .LBB174_43
	s_branch .LBB174_44
.LBB174_75:
	v_add_nc_u32_e32 v6, v5, v0
	v_mov_b32_e32 v7, 0
	v_bfe_u32 v8, v48, 16, 1
	v_cmp_o_f32_e32 vcc_lo, v48, v48
	v_mov_b32_e32 v9, 0x7fc0
	v_lshlrev_b64 v[6:7], 1, v[6:7]
	v_add3_u32 v8, v48, v8, 0x7fff
	v_cndmask_b32_sdwa v8, v9, v8, vcc_lo dst_sel:DWORD dst_unused:UNUSED_PAD src0_sel:DWORD src1_sel:WORD_1
	s_waitcnt lgkmcnt(0)
	v_add_co_u32 v6, vcc_lo, s12, v6
	v_add_co_ci_u32_e64 v7, null, s13, v7, vcc_lo
	global_store_short v[6:7], v8, off
	s_or_b32 exec_lo, exec_lo, s4
	s_and_saveexec_b32 s4, s1
	s_cbranch_execz .LBB174_47
.LBB174_76:
	v_add_nc_u32_e32 v6, v5, v2
	v_mov_b32_e32 v7, 0
	v_bfe_u32 v8, v47, 16, 1
	v_cmp_o_f32_e32 vcc_lo, v47, v47
	v_mov_b32_e32 v9, 0x7fc0
	v_lshlrev_b64 v[6:7], 1, v[6:7]
	v_add3_u32 v8, v47, v8, 0x7fff
	v_cndmask_b32_sdwa v8, v9, v8, vcc_lo dst_sel:DWORD dst_unused:UNUSED_PAD src0_sel:DWORD src1_sel:WORD_1
	s_waitcnt lgkmcnt(0)
	v_add_co_u32 v6, vcc_lo, s12, v6
	v_add_co_ci_u32_e64 v7, null, s13, v7, vcc_lo
	global_store_short v[6:7], v8, off
	s_or_b32 exec_lo, exec_lo, s4
	s_and_saveexec_b32 s4, s2
	s_cbranch_execz .LBB174_48
.LBB174_77:
	v_add_nc_u32_e32 v6, v5, v3
	v_mov_b32_e32 v7, 0
	v_bfe_u32 v8, v46, 16, 1
	v_cmp_o_f32_e32 vcc_lo, v46, v46
	v_mov_b32_e32 v9, 0x7fc0
	v_lshlrev_b64 v[6:7], 1, v[6:7]
	v_add3_u32 v8, v46, v8, 0x7fff
	v_cndmask_b32_sdwa v8, v9, v8, vcc_lo dst_sel:DWORD dst_unused:UNUSED_PAD src0_sel:DWORD src1_sel:WORD_1
	s_waitcnt lgkmcnt(0)
	v_add_co_u32 v6, vcc_lo, s12, v6
	v_add_co_ci_u32_e64 v7, null, s13, v7, vcc_lo
	global_store_short v[6:7], v8, off
	s_or_b32 exec_lo, exec_lo, s4
	s_and_saveexec_b32 s4, s3
	s_cbranch_execnz .LBB174_49
	s_branch .LBB174_50
.LBB174_78:
	v_add_nc_u32_e32 v6, v5, v0
	v_mov_b32_e32 v7, 0
	v_bfe_u32 v8, v44, 16, 1
	v_cmp_o_f32_e32 vcc_lo, v44, v44
	v_mov_b32_e32 v9, 0x7fc0
	v_lshlrev_b64 v[6:7], 1, v[6:7]
	v_add3_u32 v8, v44, v8, 0x7fff
	v_cndmask_b32_sdwa v8, v9, v8, vcc_lo dst_sel:DWORD dst_unused:UNUSED_PAD src0_sel:DWORD src1_sel:WORD_1
	s_waitcnt lgkmcnt(0)
	v_add_co_u32 v6, vcc_lo, s12, v6
	v_add_co_ci_u32_e64 v7, null, s13, v7, vcc_lo
	global_store_short v[6:7], v8, off
	s_or_b32 exec_lo, exec_lo, s4
	s_and_saveexec_b32 s4, s1
	s_cbranch_execz .LBB174_53
.LBB174_79:
	v_add_nc_u32_e32 v6, v5, v2
	v_mov_b32_e32 v7, 0
	v_bfe_u32 v8, v43, 16, 1
	v_cmp_o_f32_e32 vcc_lo, v43, v43
	v_mov_b32_e32 v9, 0x7fc0
	v_lshlrev_b64 v[6:7], 1, v[6:7]
	v_add3_u32 v8, v43, v8, 0x7fff
	v_cndmask_b32_sdwa v8, v9, v8, vcc_lo dst_sel:DWORD dst_unused:UNUSED_PAD src0_sel:DWORD src1_sel:WORD_1
	s_waitcnt lgkmcnt(0)
	v_add_co_u32 v6, vcc_lo, s12, v6
	v_add_co_ci_u32_e64 v7, null, s13, v7, vcc_lo
	global_store_short v[6:7], v8, off
	s_or_b32 exec_lo, exec_lo, s4
	s_and_saveexec_b32 s4, s2
	s_cbranch_execz .LBB174_54
.LBB174_80:
	v_add_nc_u32_e32 v6, v5, v3
	v_mov_b32_e32 v7, 0
	v_bfe_u32 v8, v42, 16, 1
	v_cmp_o_f32_e32 vcc_lo, v42, v42
	v_mov_b32_e32 v9, 0x7fc0
	v_lshlrev_b64 v[6:7], 1, v[6:7]
	v_add3_u32 v8, v42, v8, 0x7fff
	v_cndmask_b32_sdwa v8, v9, v8, vcc_lo dst_sel:DWORD dst_unused:UNUSED_PAD src0_sel:DWORD src1_sel:WORD_1
	s_waitcnt lgkmcnt(0)
	v_add_co_u32 v6, vcc_lo, s12, v6
	v_add_co_ci_u32_e64 v7, null, s13, v7, vcc_lo
	global_store_short v[6:7], v8, off
	s_or_b32 exec_lo, exec_lo, s4
	s_and_saveexec_b32 s4, s3
	s_cbranch_execnz .LBB174_55
	s_branch .LBB174_56
.LBB174_81:
	v_add_nc_u32_e32 v5, v1, v0
	v_mov_b32_e32 v6, 0
	v_bfe_u32 v7, v40, 16, 1
	v_cmp_o_f32_e32 vcc_lo, v40, v40
	v_mov_b32_e32 v0, 0x7fc0
	v_lshlrev_b64 v[5:6], 1, v[5:6]
	v_add3_u32 v7, v40, v7, 0x7fff
	v_cndmask_b32_sdwa v0, v0, v7, vcc_lo dst_sel:DWORD dst_unused:UNUSED_PAD src0_sel:DWORD src1_sel:WORD_1
	s_waitcnt lgkmcnt(0)
	v_add_co_u32 v5, vcc_lo, s12, v5
	v_add_co_ci_u32_e64 v6, null, s13, v6, vcc_lo
	global_store_short v[5:6], v0, off
	s_or_b32 exec_lo, exec_lo, s4
	s_and_saveexec_b32 s0, s1
	s_cbranch_execz .LBB174_59
.LBB174_82:
	v_add_nc_u32_e32 v5, v1, v2
	v_mov_b32_e32 v6, 0
	v_bfe_u32 v0, v39, 16, 1
	v_cmp_o_f32_e32 vcc_lo, v39, v39
	v_mov_b32_e32 v2, 0x7fc0
	v_lshlrev_b64 v[5:6], 1, v[5:6]
	v_add3_u32 v0, v39, v0, 0x7fff
	v_cndmask_b32_sdwa v0, v2, v0, vcc_lo dst_sel:DWORD dst_unused:UNUSED_PAD src0_sel:DWORD src1_sel:WORD_1
	s_waitcnt lgkmcnt(0)
	v_add_co_u32 v5, vcc_lo, s12, v5
	v_add_co_ci_u32_e64 v6, null, s13, v6, vcc_lo
	global_store_short v[5:6], v0, off
	s_or_b32 exec_lo, exec_lo, s0
	s_and_saveexec_b32 s0, s2
	s_cbranch_execz .LBB174_60
.LBB174_83:
	v_add_nc_u32_e32 v2, v1, v3
	v_mov_b32_e32 v3, 0
	v_bfe_u32 v0, v38, 16, 1
	v_cmp_o_f32_e32 vcc_lo, v38, v38
	v_mov_b32_e32 v5, 0x7fc0
	v_lshlrev_b64 v[2:3], 1, v[2:3]
	v_add3_u32 v0, v38, v0, 0x7fff
	v_cndmask_b32_sdwa v0, v5, v0, vcc_lo dst_sel:DWORD dst_unused:UNUSED_PAD src0_sel:DWORD src1_sel:WORD_1
	s_waitcnt lgkmcnt(0)
	v_add_co_u32 v2, vcc_lo, s12, v2
	v_add_co_ci_u32_e64 v3, null, s13, v3, vcc_lo
	global_store_short v[2:3], v0, off
	s_or_b32 exec_lo, exec_lo, s0
	s_and_b32 exec_lo, exec_lo, s3
	s_cbranch_execnz .LBB174_61
	s_branch .LBB174_62
	.section	.rodata,"a",@progbits
	.p2align	6, 0x0
	.amdhsa_kernel _ZL12mul_mat_q5_KIN3c108BFloat16ELb1EEvPKvS3_PT_iiiii
		.amdhsa_group_segment_fixed_size 45136
		.amdhsa_private_segment_fixed_size 0
		.amdhsa_kernarg_size 44
		.amdhsa_user_sgpr_count 6
		.amdhsa_user_sgpr_private_segment_buffer 1
		.amdhsa_user_sgpr_dispatch_ptr 0
		.amdhsa_user_sgpr_queue_ptr 0
		.amdhsa_user_sgpr_kernarg_segment_ptr 1
		.amdhsa_user_sgpr_dispatch_id 0
		.amdhsa_user_sgpr_flat_scratch_init 0
		.amdhsa_user_sgpr_private_segment_size 0
		.amdhsa_wavefront_size32 1
		.amdhsa_uses_dynamic_stack 0
		.amdhsa_system_sgpr_private_segment_wavefront_offset 0
		.amdhsa_system_sgpr_workgroup_id_x 1
		.amdhsa_system_sgpr_workgroup_id_y 1
		.amdhsa_system_sgpr_workgroup_id_z 0
		.amdhsa_system_sgpr_workgroup_info 0
		.amdhsa_system_vgpr_workitem_id 1
		.amdhsa_next_free_vgpr 244
		.amdhsa_next_free_sgpr 17
		.amdhsa_reserve_vcc 1
		.amdhsa_reserve_flat_scratch 0
		.amdhsa_float_round_mode_32 0
		.amdhsa_float_round_mode_16_64 0
		.amdhsa_float_denorm_mode_32 3
		.amdhsa_float_denorm_mode_16_64 3
		.amdhsa_dx10_clamp 1
		.amdhsa_ieee_mode 1
		.amdhsa_fp16_overflow 0
		.amdhsa_workgroup_processor_mode 1
		.amdhsa_memory_ordered 1
		.amdhsa_forward_progress 1
		.amdhsa_shared_vgpr_count 0
		.amdhsa_exception_fp_ieee_invalid_op 0
		.amdhsa_exception_fp_denorm_src 0
		.amdhsa_exception_fp_ieee_div_zero 0
		.amdhsa_exception_fp_ieee_overflow 0
		.amdhsa_exception_fp_ieee_underflow 0
		.amdhsa_exception_fp_ieee_inexact 0
		.amdhsa_exception_int_div_zero 0
	.end_amdhsa_kernel
	.section	.text._ZL12mul_mat_q5_KIN3c108BFloat16ELb1EEvPKvS3_PT_iiiii,"axG",@progbits,_ZL12mul_mat_q5_KIN3c108BFloat16ELb1EEvPKvS3_PT_iiiii,comdat
.Lfunc_end174:
	.size	_ZL12mul_mat_q5_KIN3c108BFloat16ELb1EEvPKvS3_PT_iiiii, .Lfunc_end174-_ZL12mul_mat_q5_KIN3c108BFloat16ELb1EEvPKvS3_PT_iiiii
                                        ; -- End function
	.set _ZL12mul_mat_q5_KIN3c108BFloat16ELb1EEvPKvS3_PT_iiiii.num_vgpr, 244
	.set _ZL12mul_mat_q5_KIN3c108BFloat16ELb1EEvPKvS3_PT_iiiii.num_agpr, 0
	.set _ZL12mul_mat_q5_KIN3c108BFloat16ELb1EEvPKvS3_PT_iiiii.numbered_sgpr, 17
	.set _ZL12mul_mat_q5_KIN3c108BFloat16ELb1EEvPKvS3_PT_iiiii.num_named_barrier, 0
	.set _ZL12mul_mat_q5_KIN3c108BFloat16ELb1EEvPKvS3_PT_iiiii.private_seg_size, 0
	.set _ZL12mul_mat_q5_KIN3c108BFloat16ELb1EEvPKvS3_PT_iiiii.uses_vcc, 1
	.set _ZL12mul_mat_q5_KIN3c108BFloat16ELb1EEvPKvS3_PT_iiiii.uses_flat_scratch, 0
	.set _ZL12mul_mat_q5_KIN3c108BFloat16ELb1EEvPKvS3_PT_iiiii.has_dyn_sized_stack, 0
	.set _ZL12mul_mat_q5_KIN3c108BFloat16ELb1EEvPKvS3_PT_iiiii.has_recursion, 0
	.set _ZL12mul_mat_q5_KIN3c108BFloat16ELb1EEvPKvS3_PT_iiiii.has_indirect_call, 0
	.section	.AMDGPU.csdata,"",@progbits
; Kernel info:
; codeLenInByte = 20320
; TotalNumSgprs: 19
; NumVgprs: 244
; ScratchSize: 0
; MemoryBound: 0
; FloatMode: 240
; IeeeMode: 1
; LDSByteSize: 45136 bytes/workgroup (compile time only)
; SGPRBlocks: 0
; VGPRBlocks: 30
; NumSGPRsForWavesPerEU: 19
; NumVGPRsForWavesPerEU: 244
; Occupancy: 4
; WaveLimiterHint : 0
; COMPUTE_PGM_RSRC2:SCRATCH_EN: 0
; COMPUTE_PGM_RSRC2:USER_SGPR: 6
; COMPUTE_PGM_RSRC2:TRAP_HANDLER: 0
; COMPUTE_PGM_RSRC2:TGID_X_EN: 1
; COMPUTE_PGM_RSRC2:TGID_Y_EN: 1
; COMPUTE_PGM_RSRC2:TGID_Z_EN: 0
; COMPUTE_PGM_RSRC2:TIDIG_COMP_CNT: 1
	.section	.text._ZL12mul_mat_q6_KIN3c108BFloat16ELb0EEvPKvS3_PT_iiiii,"axG",@progbits,_ZL12mul_mat_q6_KIN3c108BFloat16ELb0EEvPKvS3_PT_iiiii,comdat
	.globl	_ZL12mul_mat_q6_KIN3c108BFloat16ELb0EEvPKvS3_PT_iiiii ; -- Begin function _ZL12mul_mat_q6_KIN3c108BFloat16ELb0EEvPKvS3_PT_iiiii
	.p2align	8
	.type	_ZL12mul_mat_q6_KIN3c108BFloat16ELb0EEvPKvS3_PT_iiiii,@function
_ZL12mul_mat_q6_KIN3c108BFloat16ELb0EEvPKvS3_PT_iiiii: ; @_ZL12mul_mat_q6_KIN3c108BFloat16ELb0EEvPKvS3_PT_iiiii
; %bb.0:
	s_mov_b64 s[22:23], s[2:3]
	s_mov_b64 s[20:21], s[0:1]
	v_mov_b32_e32 v41, v1
	s_add_u32 s20, s20, s8
	s_clause 0x1
	s_load_dword s14, s[4:5], 0x18
	s_load_dwordx4 s[8:11], s[4:5], 0x20
	s_addc_u32 s21, s21, 0
	s_lshl_b32 s7, s7, 6
	v_add_nc_u32_e32 v1, s7, v41
	s_waitcnt lgkmcnt(0)
	s_cmpk_gt_i32 s14, 0xff
	s_cbranch_scc1 .LBB175_2
; %bb.1:
	v_add_nc_u32_e32 v34, s7, v41
	s_mov_b32 s0, 0
	s_branch .LBB175_3
.LBB175_2:
	s_mov_b32 s0, -1
                                        ; implicit-def: $vgpr34
.LBB175_3:
	s_load_dwordx2 s[12:13], s[4:5], 0x10
	v_mov_b32_e32 v4, 0
	v_mov_b32_e32 v5, 0
	;; [unrolled: 1-line block ×32, first 2 shown]
	s_andn2_b32 vcc_lo, exec_lo, s0
	s_lshl_b32 s6, s6, 7
	s_cbranch_vccnz .LBB175_11
; %bb.4:
	s_load_dwordx4 s[0:3], s[4:5], 0x0
	s_ashr_i32 s4, s14, 31
	s_ashr_i32 s5, s9, 31
	s_lshr_b32 s4, s4, 24
	s_lshr_b32 s5, s5, 27
	s_add_i32 s14, s14, s4
	s_add_i32 s5, s9, s5
	s_ashr_i32 s4, s14, 8
	s_ashr_i32 s11, s5, 5
	s_mul_i32 s9, s4, s6
	v_add_nc_u32_e32 v9, 8, v1
	s_mul_i32 s5, s9, 0xd2
	s_mul_hi_i32 s9, s9, 0xd2
	v_add_nc_u32_e32 v10, 16, v1
	v_add_nc_u32_e32 v11, 24, v1
	;; [unrolled: 1-line block ×5, first 2 shown]
	buffer_store_dword v1, off, s[20:23], 0 offset:128 ; 4-byte Folded Spill
	v_add_nc_u32_e32 v21, 56, v1
	s_waitcnt lgkmcnt(0)
	s_add_u32 s5, s0, s5
	s_addc_u32 s9, s1, s9
	s_lshl_b32 s0, s4, 3
	v_and_b32_e32 v13, 31, v0
	v_mad_i32_i24 v2, s4, v41, s0
	v_and_b32_e32 v7, 15, v0
	v_mul_u32_u24_e32 v8, 0x41, v41
	s_add_i32 s1, s8, -1
	v_lshlrev_b32_e32 v31, 1, v13
	buffer_store_dword v2, off, s[20:23], 0 offset:28 ; 4-byte Folded Spill
	v_add_nc_u32_e32 v2, s0, v2
	v_cmp_gt_u32_e32 vcc_lo, 16, v13
	v_lshrrev_b32_e32 v5, 1, v0
	v_add_nc_u32_e32 v16, 0xe0, v31
	v_and_b32_e32 v6, 7, v0
	v_add_nc_u32_e32 v4, s0, v2
	buffer_store_dword v2, off, s[20:23], 0 offset:32 ; 4-byte Folded Spill
	v_cvt_f64_u32_e32 v[2:3], v1
	v_lshlrev_b32_e32 v54, 2, v13
	v_lshlrev_b32_e32 v33, 2, v7
	buffer_store_dword v4, off, s[20:23], 0 offset:36 ; 4-byte Folded Spill
	v_add_nc_u32_e32 v4, s0, v4
	v_lshlrev_b32_e32 v34, 2, v8
	v_cvt_f64_u32_e32 v[7:8], v10
	v_cndmask_b32_e32 v37, v16, v31, vcc_lo
	v_and_or_b32 v32, v5, 8, v6
	v_add_nc_u32_e32 v14, s0, v4
	v_cvt_f64_u32_e32 v[5:6], v9
	v_cvt_f64_u32_e32 v[19:20], v19
	v_lshlrev_b32_e32 v49, 5, v41
	v_lshlrev_b32_e32 v29, 3, v41
	v_add_nc_u32_e32 v1, s0, v14
	buffer_store_dword v14, off, s[20:23], 0 offset:44 ; 4-byte Folded Spill
	v_add_nc_u16 v14, v13, -16
	v_lshrrev_b32_e32 v30, 2, v0
	v_and_b32_e32 v37, 0xfe, v37
	buffer_store_dword v1, off, s[20:23], 0 offset:48 ; 4-byte Folded Spill
	v_add_nc_u32_e32 v1, s0, v1
	v_cndmask_b32_e32 v36, v14, v13, vcc_lo
	v_cvt_f64_i32_e32 v[13:14], s1
	v_cvt_f64_u32_e32 v[9:10], v11
	v_cvt_f64_u32_e32 v[11:12], v12
	buffer_store_dword v1, off, s[20:23], 0 offset:52 ; 4-byte Folded Spill
	v_add_nc_u32_e32 v1, s0, v1
	v_cvt_f64_u32_e32 v[15:16], v15
	v_cvt_f64_u32_e32 v[21:22], v21
	v_add_nc_u32_e32 v35, v49, v0
	v_add_nc_u32_e32 v38, v30, v29
	buffer_store_dword v1, off, s[20:23], 0 offset:56 ; 4-byte Folded Spill
	v_add_nc_u32_e32 v1, s0, v1
	v_add_nc_u16 v29, v30, v29
	v_sub_nc_u32_e32 v30, v31, v37
	v_lshlrev_b32_e32 v62, 2, v32
	v_and_b32_e32 v31, 0x7f, v35
	buffer_store_dword v1, off, s[20:23], 0 offset:60 ; 4-byte Folded Spill
	v_add_nc_u32_e32 v1, s0, v1
	v_lshrrev_b32_e32 v32, 3, v35
	v_lshlrev_b32_e32 v30, 2, v30
	buffer_store_dword v4, off, s[20:23], 0 offset:40 ; 4-byte Folded Spill
	v_and_b32_e32 v4, 3, v0
	buffer_store_dword v1, off, s[20:23], 0 offset:64 ; 4-byte Folded Spill
	v_add_nc_u32_e32 v1, s0, v1
	v_min_f64 v[2:3], v[2:3], v[13:14]
	v_min_f64 v[7:8], v[7:8], v[13:14]
	v_mul_i32_i24_e32 v35, s4, v31
	v_add3_u32 v66, v30, v33, v34
	buffer_store_dword v1, off, s[20:23], 0 offset:68 ; 4-byte Folded Spill
	v_add_nc_u32_e32 v1, s0, v1
	v_and_b32_e32 v30, 12, v32
	v_lshlrev_b32_e32 v31, 2, v31
	v_min_f64 v[5:6], v[5:6], v[13:14]
	v_min_f64 v[19:20], v[19:20], v[13:14]
	buffer_store_dword v1, off, s[20:23], 0 offset:72 ; 4-byte Folded Spill
	v_add_nc_u32_e32 v1, s0, v1
	v_lshlrev_b32_e32 v60, 2, v4
	v_and_b32_e32 v32, 0x7f, v38
	v_lshrrev_b16 v29, 1, v29
	v_min_f64 v[9:10], v[9:10], v[13:14]
	buffer_store_dword v1, off, s[20:23], 0 offset:76 ; 4-byte Folded Spill
	v_add_nc_u32_e32 v1, s0, v1
	v_lshl_or_b32 v33, v32, 4, v60
	v_and_b32_e32 v29, 60, v29
	v_xor_b32_e32 v34, 64, v32
	v_min_f64 v[11:12], v[11:12], v[13:14]
	buffer_store_dword v1, off, s[20:23], 0 offset:84 ; 4-byte Folded Spill
	v_add_nc_u32_e32 v1, s0, v1
	v_min_f64 v[15:16], v[15:16], v[13:14]
	v_min_f64 v[13:14], v[21:22], v[13:14]
	v_lshrrev_b32_e32 v21, 1, v34
	v_cvt_i32_f64_e32 v2, v[2:3]
	buffer_store_dword v1, off, s[20:23], 0 offset:88 ; 4-byte Folded Spill
	v_add3_u32 v1, v31, v30, 0xae40
	v_lshl_or_b32 v3, v34, 4, v60
	v_cvt_i32_f64_e32 v7, v[7:8]
	v_and_b32_e32 v8, 60, v21
	v_cvt_i32_f64_e32 v5, v[5:6]
	buffer_store_dword v1, off, s[20:23], 0 offset:92 ; 4-byte Folded Spill
	v_mul_i32_i24_e32 v1, s4, v32
	v_and_b32_e32 v6, 63, v38
	v_cvt_i32_f64_e32 v9, v[9:10]
	v_lshrrev_b32_e32 v39, 5, v0
	buffer_store_dword v35, off, s[20:23], 0 offset:80 ; 4-byte Folded Spill
	buffer_store_dword v1, off, s[20:23], 0 offset:96 ; 4-byte Folded Spill
	v_add3_u32 v1, v33, v29, 0xa200
	v_lshlrev_b32_e32 v74, 2, v0
	v_cvt_i32_f64_e32 v10, v[11:12]
	v_or_b32_e32 v11, s7, v6
	v_mov_b32_e32 v18, 0
	buffer_store_dword v1, off, s[20:23], 0 offset:100 ; 4-byte Folded Spill
	v_mul_i32_i24_e32 v1, s4, v34
	v_cvt_i32_f64_e32 v13, v[13:14]
	v_cvt_i32_f64_e32 v12, v[15:16]
	v_min_i32_e32 v11, s1, v11
	v_add_nc_u32_e32 v17, 8, v41
	buffer_store_dword v1, off, s[20:23], 0 offset:104 ; 4-byte Folded Spill
	v_add3_u32 v1, v3, v8, 0xa200
	v_cvt_i32_f64_e32 v3, v[19:20]
	v_mad_u64_u32 v[15:16], null, v11, s11, v[4:5]
	v_add_nc_u32_e32 v11, 64, v0
	buffer_store_dword v1, off, s[20:23], 0 offset:108 ; 4-byte Folded Spill
	buffer_store_dword v15, off, s[20:23], 0 offset:112 ; 4-byte Folded Spill
	;; [unrolled: 1-line block ×3, first 2 shown]
	v_lshrrev_b32_e32 v87, 3, v11
	v_add_nc_u32_e32 v23, 16, v41
	v_add_nc_u32_e32 v24, 24, v41
	;; [unrolled: 1-line block ×6, first 2 shown]
	v_mul_lo_u32 v84, s11, v12
	v_add_nc_u32_e32 v12, 0x60, v0
	v_lshl_or_b32 v6, v6, 4, v60
	v_and_b32_e32 v8, 28, v74
	v_or_b32_e32 v14, 0x8200, v54
	v_mul_lo_u32 v1, s11, v3
	v_add_nc_u32_e32 v3, 32, v0
	v_lshrrev_b32_e32 v88, 3, v12
	v_add_nc_u32_e32 v76, 0xaa40, v6
	v_mul_lo_u32 v78, s11, v2
	v_lshlrev_b32_e32 v2, 7, v41
	v_lshrrev_b32_e32 v86, 3, v3
	v_and_b32_e32 v19, 60, v88
	buffer_store_dword v1, off, s[20:23], 0 ; 4-byte Folded Spill
	v_mul_lo_u32 v1, s11, v13
	v_lshlrev_b32_e32 v13, 2, v39
	v_and_b32_e32 v16, 60, v86
	v_mul_lo_u32 v79, s11, v5
	v_lshlrev_b32_e32 v4, 7, v17
	v_mul_lo_u32 v80, s11, v7
	v_lshlrev_b32_e32 v5, 7, v23
	v_mul_lo_u32 v81, s11, v9
	buffer_store_dword v1, off, s[20:23], 0 offset:4 ; 4-byte Folded Spill
	v_add3_u32 v1, v74, v13, 0xae40
	v_and_b32_e32 v13, 60, v87
	v_lshlrev_b32_e32 v6, 7, v24
	v_mul_lo_u32 v82, s11, v10
	v_lshlrev_b32_e32 v7, 7, v25
	buffer_store_dword v1, off, s[20:23], 0 offset:8 ; 4-byte Folded Spill
	v_add3_u32 v1, v74, v16, 0xae40
	v_lshlrev_b32_e32 v9, 7, v26
	v_lshlrev_b32_e32 v10, 7, v27
	;; [unrolled: 1-line block ×4, first 2 shown]
	buffer_store_dword v1, off, s[20:23], 0 offset:12 ; 4-byte Folded Spill
	v_add3_u32 v1, v74, v13, 0xae40
	v_lshlrev_b32_e32 v11, 2, v11
	v_lshlrev_b32_e32 v12, 2, v12
	v_mov_b32_e32 v21, v18
	v_cmp_lt_u16_e32 vcc_lo, 7, v36
	buffer_store_dword v1, off, s[20:23], 0 offset:16 ; 4-byte Folded Spill
	v_add3_u32 v1, v74, v19, 0xae40
	v_mov_b32_e32 v19, v18
	v_mov_b32_e32 v20, v18
	s_movk_i32 s0, 0x104
	buffer_store_dword v39, off, s[20:23], 0 offset:24 ; 4-byte Folded Spill
	s_movk_i32 s1, 0x2080
	s_movk_i32 s11, 0x4100
	v_mad_u32_u24 v103, v0, s0, 0x6180
	v_add_co_u32 v39, s0, s2, v8
	v_lshlrev_b32_e32 v93, 5, v17
	v_lshlrev_b32_e32 v94, 5, v23
	;; [unrolled: 1-line block ×7, first 2 shown]
	v_add_nc_u32_e32 v104, v14, v2
	v_add_nc_u32_e32 v105, v14, v4
	;; [unrolled: 1-line block ×8, first 2 shown]
	v_lshlrev_b32_e32 v112, 2, v3
	v_lshlrev_b32_e32 v113, 2, v11
	;; [unrolled: 1-line block ×3, first 2 shown]
	v_mov_b32_e32 v14, v18
	v_mov_b32_e32 v33, v21
	;; [unrolled: 1-line block ×7, first 2 shown]
	v_cndmask_b32_e64 v64, 0, 2, vcc_lo
	v_lshrrev_b32_e32 v77, 3, v0
	v_mul_u32_u24_e32 v100, 0x104, v0
	v_mad_u32_u24 v101, 0x104, v0, s1
	v_mad_u32_u24 v102, 0x104, v0, s11
	v_add_co_ci_u32_e64 v40, null, s3, 0, s0
	v_mov_b32_e32 v15, v19
	v_mov_b32_e32 v16, v20
	;; [unrolled: 1-line block ×21, first 2 shown]
	s_mov_b32 s11, 0
	buffer_store_dword v1, off, s[20:23], 0 offset:20 ; 4-byte Folded Spill
	buffer_store_dword v0, off, s[20:23], 0 offset:124 ; 4-byte Folded Spill
	buffer_store_dword v41, off, s[20:23], 0 offset:120 ; 4-byte Folded Spill
.LBB175_5:                              ; =>This Loop Header: Depth=1
                                        ;     Child Loop BB175_6 Depth 2
                                        ;     Child Loop BB175_8 Depth 2
	buffer_load_dword v0, off, s[20:23], 0 offset:24 ; 4-byte Folded Reload
	s_mul_i32 s0, s11, 0xd2
	s_mul_hi_u32 s1, s11, 0xd2
	s_add_u32 s0, s5, s0
	s_addc_u32 s1, s9, s1
	s_waitcnt vmcnt(1)
	v_mul_i32_i24_e32 v36, s4, v41
	s_mov_b32 s14, 0
	s_waitcnt vmcnt(0)
	v_mad_u64_u32 v[34:35], null, 0xd2, v0, s[0:1]
	buffer_load_dword v0, off, s[20:23], 0 offset:28 ; 4-byte Folded Reload
	v_mad_u64_u32 v[36:37], null, 0xd2, v36, v[34:35]
	v_add_co_u32 v115, vcc_lo, v36, v54
	v_add_co_ci_u32_e64 v116, null, 0, v37, vcc_lo
	v_add_co_u32 v36, vcc_lo, v36, v62
	v_add_co_ci_u32_e64 v37, null, 0, v37, vcc_lo
	s_waitcnt vmcnt(0)
	v_mad_u64_u32 v[41:42], null, 0xd2, v0, v[34:35]
	buffer_load_dword v0, off, s[20:23], 0 offset:32 ; 4-byte Folded Reload
	v_add_co_u32 v117, vcc_lo, v41, v54
	v_add_co_ci_u32_e64 v118, null, 0, v42, vcc_lo
	v_add_co_u32 v41, vcc_lo, v41, v62
	v_add_co_ci_u32_e64 v42, null, 0, v42, vcc_lo
	s_waitcnt vmcnt(0)
	v_mad_u64_u32 v[43:44], null, 0xd2, v0, v[34:35]
	buffer_load_dword v0, off, s[20:23], 0 offset:36 ; 4-byte Folded Reload
	;; [unrolled: 7-line block ×3, first 2 shown]
	v_add_co_u32 v130, vcc_lo, v121, v54
	v_add_co_ci_u32_e64 v131, null, 0, v122, vcc_lo
	v_add_co_u32 v132, vcc_lo, v121, v62
	v_add_co_ci_u32_e64 v133, null, 0, v122, vcc_lo
	s_waitcnt vmcnt(0)
	v_mad_u64_u32 v[128:129], null, 0xd2, v0, v[34:35]
	v_add_co_u32 v122, vcc_lo, v128, v54
	v_add_co_ci_u32_e64 v123, null, 0, v129, vcc_lo
	s_clause 0x8
	global_load_dword v126, v[115:116], off
	global_load_dword v127, v[36:37], off offset:128
	global_load_dword v124, v[117:118], off
	global_load_dword v125, v[41:42], off offset:128
	;; [unrolled: 2-line block ×4, first 2 shown]
	global_load_dword v122, v[122:123], off
	buffer_load_dword v0, off, s[20:23], 0 offset:44 ; 4-byte Folded Reload
	v_add_co_u32 v41, vcc_lo, v128, v62
	v_add_co_ci_u32_e64 v42, null, 0, v129, vcc_lo
	s_waitcnt vmcnt(8)
	v_ashrrev_i32_e32 v127, v64, v127
	s_waitcnt vmcnt(6)
	v_ashrrev_i32_e32 v125, v64, v125
	;; [unrolled: 2-line block ×4, first 2 shown]
	s_waitcnt vmcnt(0)
	v_mad_u64_u32 v[36:37], null, 0xd2, v0, v[34:35]
	buffer_load_dword v0, off, s[20:23], 0 offset:48 ; 4-byte Folded Reload
	v_add_co_u32 v115, vcc_lo, v36, v54
	v_add_co_ci_u32_e64 v116, null, 0, v37, vcc_lo
	v_add_co_u32 v36, vcc_lo, v36, v62
	v_add_co_ci_u32_e64 v37, null, 0, v37, vcc_lo
	s_waitcnt vmcnt(0)
	v_mad_u64_u32 v[43:44], null, 0xd2, v0, v[34:35]
	v_add_co_u32 v128, vcc_lo, v43, v54
	v_add_co_ci_u32_e64 v129, null, 0, v44, vcc_lo
	v_add_co_u32 v43, vcc_lo, v43, v62
	v_add_co_ci_u32_e64 v44, null, 0, v44, vcc_lo
	s_clause 0x4
	global_load_dword v45, v[41:42], off offset:128
	global_load_dword v46, v[115:116], off
	global_load_dword v47, v[36:37], off offset:128
	global_load_dword v48, v[128:129], off
	global_load_dword v69, v[43:44], off offset:128
	buffer_load_dword v0, off, s[20:23], 0 offset:52 ; 4-byte Folded Reload
	s_waitcnt vmcnt(5)
	v_ashrrev_i32_e32 v45, v64, v45
	s_waitcnt vmcnt(3)
	v_ashrrev_i32_e32 v47, v64, v47
	;; [unrolled: 2-line block ×3, first 2 shown]
	s_waitcnt vmcnt(0)
	v_mad_u64_u32 v[36:37], null, 0xd2, v0, v[34:35]
	buffer_load_dword v0, off, s[20:23], 0 offset:56 ; 4-byte Folded Reload
	v_add_co_u32 v43, vcc_lo, v36, v54
	v_add_co_ci_u32_e64 v44, null, 0, v37, vcc_lo
	v_add_co_u32 v36, vcc_lo, v36, v62
	v_add_co_ci_u32_e64 v37, null, 0, v37, vcc_lo
	s_waitcnt vmcnt(0)
	v_mad_u64_u32 v[41:42], null, 0xd2, v0, v[34:35]
	buffer_load_dword v0, off, s[20:23], 0 offset:60 ; 4-byte Folded Reload
	v_add_co_u32 v136, vcc_lo, v41, v54
	v_add_co_ci_u32_e64 v137, null, 0, v42, vcc_lo
	v_add_co_u32 v41, vcc_lo, v41, v62
	v_add_co_ci_u32_e64 v42, null, 0, v42, vcc_lo
	;; [unrolled: 7-line block ×3, first 2 shown]
	s_waitcnt vmcnt(0)
	v_mad_u64_u32 v[128:129], null, 0xd2, v0, v[34:35]
	buffer_load_dword v0, off, s[20:23], 0 offset:68 ; 4-byte Folded Reload
	s_clause 0x1
	global_load_dword v44, v[43:44], off
	global_load_dword v70, v[36:37], off offset:128
	v_add_co_u32 v140, vcc_lo, v128, v54
	v_add_co_ci_u32_e64 v141, null, 0, v129, vcc_lo
	v_add_co_u32 v128, vcc_lo, v128, v62
	v_add_co_ci_u32_e64 v129, null, 0, v129, vcc_lo
	s_waitcnt vmcnt(2)
	v_mad_u64_u32 v[130:131], null, 0xd2, v0, v[34:35]
	buffer_load_dword v0, off, s[20:23], 0 offset:72 ; 4-byte Folded Reload
	s_waitcnt vmcnt(1)
	v_ashrrev_i32_e32 v70, v64, v70
	v_add_co_u32 v142, vcc_lo, v130, v54
	v_add_co_ci_u32_e64 v143, null, 0, v131, vcc_lo
	v_add_co_u32 v130, vcc_lo, v130, v62
	v_add_co_ci_u32_e64 v131, null, 0, v131, vcc_lo
	s_waitcnt vmcnt(0)
	v_mad_u64_u32 v[36:37], null, 0xd2, v0, v[34:35]
	buffer_load_dword v0, off, s[20:23], 0 offset:76 ; 4-byte Folded Reload
	v_add_co_u32 v144, vcc_lo, v36, v54
	v_add_co_ci_u32_e64 v145, null, 0, v37, vcc_lo
	v_add_co_u32 v36, vcc_lo, v36, v62
	v_add_co_ci_u32_e64 v37, null, 0, v37, vcc_lo
	s_waitcnt vmcnt(0)
	v_mad_u64_u32 v[132:133], null, 0xd2, v0, v[34:35]
	buffer_load_dword v0, off, s[20:23], 0 offset:84 ; 4-byte Folded Reload
	v_add_co_u32 v146, vcc_lo, v132, v54
	v_add_co_ci_u32_e64 v147, null, 0, v133, vcc_lo
	v_add_co_u32 v132, vcc_lo, v132, v62
	v_add_co_ci_u32_e64 v133, null, 0, v133, vcc_lo
	s_waitcnt vmcnt(0)
	v_mad_u64_u32 v[134:135], null, 0xd2, v0, v[34:35]
	v_add_co_u32 v148, vcc_lo, v134, v54
	v_add_co_ci_u32_e64 v149, null, 0, v135, vcc_lo
	v_add_co_u32 v134, vcc_lo, v134, v62
	v_add_co_ci_u32_e64 v135, null, 0, v135, vcc_lo
	s_clause 0xd
	global_load_dword v71, v[136:137], off
	global_load_dword v72, v[41:42], off offset:128
	global_load_dword v137, v[138:139], off
	global_load_dword v138, v[115:116], off offset:128
	;; [unrolled: 2-line block ×7, first 2 shown]
	v_and_b32_e32 v129, 0xf0f0f0f, v126
	v_lshrrev_b32_e32 v126, 4, v126
	v_and_b32_e32 v130, 0xf0f0f0f, v124
	v_lshrrev_b32_e32 v124, 4, v124
	;; [unrolled: 2-line block ×4, first 2 shown]
	v_and_b32_e32 v126, 0xf0f0f0f, v126
	v_lshlrev_b32_e32 v136, 4, v127
	v_and_b32_e32 v133, 0xf0f0f0f, v122
	v_lshrrev_b32_e32 v122, 4, v122
	v_and_b32_e32 v124, 0xf0f0f0f, v124
	v_lshlrev_b32_e32 v139, 4, v125
	v_and_b32_e32 v134, 0xf0f0f0f, v46
	v_lshrrev_b32_e32 v46, 4, v46
	v_and_b32_e32 v120, 0xf0f0f0f, v120
	v_lshlrev_b32_e32 v140, 4, v121
	v_and_b32_e32 v118, 0xf0f0f0f, v118
	v_lshlrev_b32_e32 v141, 4, v119
	v_and_or_b32 v129, 0x30303030, v136, v129
	v_and_or_b32 v126, 0x30303030, v127, v126
	v_and_b32_e32 v122, 0xf0f0f0f, v122
	v_lshlrev_b32_e32 v142, 4, v45
	v_lshlrev_b32_e32 v143, 4, v47
	v_and_or_b32 v127, 0x30303030, v139, v130
	v_and_or_b32 v124, 0x30303030, v125, v124
	v_and_b32_e32 v135, 0xf0f0f0f, v48
	v_and_b32_e32 v46, 0xf0f0f0f, v46
	v_lshlrev_b32_e32 v144, 4, v69
	v_and_or_b32 v125, 0x30303030, v140, v131
	v_and_or_b32 v120, 0x30303030, v121, v120
	;; [unrolled: 1-line block ×4, first 2 shown]
	v_lshrrev_b32_e32 v130, 16, v129
	v_and_b32_e32 v131, 0x3f00, v129
	v_lshlrev_b16 v129, 8, v129
	v_lshrrev_b32_e32 v132, 16, v126
	v_and_or_b32 v119, 0x30303030, v142, v133
	v_and_or_b32 v45, 0x30303030, v45, v122
	;; [unrolled: 1-line block ×3, first 2 shown]
	v_and_b32_e32 v133, 0x3f00, v126
	v_lshlrev_b16 v126, 8, v126
	v_lshrrev_b32_e32 v134, 16, v127
	v_lshrrev_b32_e32 v136, 16, v124
	v_and_or_b32 v46, 0x30303030, v47, v46
	v_and_or_b32 v47, 0x30303030, v144, v135
	v_and_b32_e32 v135, 0x3f00, v127
	v_lshlrev_b16 v127, 8, v127
	v_lshrrev_b32_e32 v140, 16, v125
	v_lshrrev_b32_e32 v142, 16, v120
	v_and_b32_e32 v139, 0x3f00, v124
	v_lshlrev_b16 v124, 8, v124
	v_lshrrev_b32_e32 v144, 16, v121
	v_lshrrev_b32_e32 v146, 16, v118
	v_add_nc_u16 v129, 0xe000, v129
	v_and_b32_e32 v158, 0x3f00, v130
	v_lshlrev_b16 v130, 8, v130
	v_and_b32_e32 v159, 0x3f00, v132
	v_lshlrev_b16 v132, 8, v132
	v_add_nc_u16 v126, 0xe000, v126
	v_and_b32_e32 v160, 0x3f00, v134
	v_lshlrev_b16 v134, 8, v134
	v_and_b32_e32 v161, 0x3f00, v136
	v_lshlrev_b16 v136, 8, v136
	;; [unrolled: 5-line block ×4, first 2 shown]
	v_or_b32_sdwa v129, v131, v129 dst_sel:DWORD dst_unused:UNUSED_PAD src0_sel:DWORD src1_sel:BYTE_1
	v_add_nc_u16 v130, 0xe000, v130
	v_add_nc_u16 v131, 0xe000, v132
	v_or_b32_sdwa v126, v133, v126 dst_sel:DWORD dst_unused:UNUSED_PAD src0_sel:DWORD src1_sel:BYTE_1
	v_add_nc_u16 v132, 0xe000, v134
	v_add_nc_u16 v133, 0xe000, v136
	v_and_b32_e32 v141, 0x3f00, v125
	v_lshlrev_b16 v125, 8, v125
	v_and_b32_e32 v143, 0x3f00, v120
	v_lshlrev_b16 v120, 8, v120
	v_or_b32_sdwa v127, v135, v127 dst_sel:DWORD dst_unused:UNUSED_PAD src0_sel:DWORD src1_sel:BYTE_1
	v_add_nc_u16 v134, 0xe000, v140
	v_add_nc_u16 v135, 0xe000, v142
	v_and_b32_e32 v145, 0x3f00, v121
	v_lshlrev_b16 v121, 8, v121
	v_and_b32_e32 v147, 0x3f00, v118
	v_lshlrev_b16 v118, 8, v118
	v_or_b32_sdwa v124, v139, v124 dst_sel:DWORD dst_unused:UNUSED_PAD src0_sel:DWORD src1_sel:BYTE_1
	v_add_nc_u16 v136, 0xe000, v144
	v_add_nc_u16 v139, 0xe000, v146
	v_or_b32_sdwa v130, v158, v130 dst_sel:DWORD dst_unused:UNUSED_PAD src0_sel:DWORD src1_sel:BYTE_1
	v_or_b32_sdwa v131, v159, v131 dst_sel:DWORD dst_unused:UNUSED_PAD src0_sel:DWORD src1_sel:BYTE_1
	;; [unrolled: 1-line block ×4, first 2 shown]
	v_add_nc_u16 v125, 0xe000, v125
	v_add_nc_u16 v120, 0xe000, v120
	v_or_b32_sdwa v134, v162, v134 dst_sel:DWORD dst_unused:UNUSED_PAD src0_sel:DWORD src1_sel:BYTE_1
	v_or_b32_sdwa v135, v163, v135 dst_sel:DWORD dst_unused:UNUSED_PAD src0_sel:DWORD src1_sel:BYTE_1
	v_add_nc_u16 v121, 0xe000, v121
	v_add_nc_u16 v118, 0xe000, v118
	v_or_b32_sdwa v136, v164, v136 dst_sel:DWORD dst_unused:UNUSED_PAD src0_sel:DWORD src1_sel:BYTE_1
	v_or_b32_sdwa v139, v165, v139 dst_sel:DWORD dst_unused:UNUSED_PAD src0_sel:DWORD src1_sel:BYTE_1
	v_add_nc_u16 v130, 0xe000, v130
	v_add_nc_u16 v131, 0xe000, v131
	;; [unrolled: 1-line block ×4, first 2 shown]
	v_or_b32_sdwa v125, v141, v125 dst_sel:DWORD dst_unused:UNUSED_PAD src0_sel:DWORD src1_sel:BYTE_1
	v_or_b32_sdwa v120, v143, v120 dst_sel:DWORD dst_unused:UNUSED_PAD src0_sel:DWORD src1_sel:BYTE_1
	v_add_nc_u16 v134, 0xe000, v134
	v_add_nc_u16 v135, 0xe000, v135
	v_or_b32_sdwa v121, v145, v121 dst_sel:DWORD dst_unused:UNUSED_PAD src0_sel:DWORD src1_sel:BYTE_1
	v_or_b32_sdwa v118, v147, v118 dst_sel:DWORD dst_unused:UNUSED_PAD src0_sel:DWORD src1_sel:BYTE_1
	v_add_nc_u16 v136, 0xe000, v136
	v_add_nc_u16 v139, 0xe000, v139
	;; [unrolled: 1-line block ×4, first 2 shown]
	v_lshlrev_b32_e32 v130, 16, v130
	v_lshlrev_b32_e32 v131, 16, v131
	v_add_nc_u16 v127, 0xe000, v127
	v_add_nc_u16 v124, 0xe000, v124
	v_lshlrev_b32_e32 v132, 16, v132
	v_lshlrev_b32_e32 v133, 16, v133
	v_add_nc_u16 v125, 0xe000, v125
	v_add_nc_u16 v120, 0xe000, v120
	;; [unrolled: 4-line block ×3, first 2 shown]
	v_lshlrev_b32_e32 v136, 16, v136
	v_lshlrev_b32_e32 v139, 16, v139
	v_or_b32_sdwa v129, v129, v130 dst_sel:DWORD dst_unused:UNUSED_PAD src0_sel:WORD_0 src1_sel:DWORD
	v_or_b32_sdwa v126, v126, v131 dst_sel:DWORD dst_unused:UNUSED_PAD src0_sel:WORD_0 src1_sel:DWORD
	v_or_b32_sdwa v127, v127, v132 dst_sel:DWORD dst_unused:UNUSED_PAD src0_sel:WORD_0 src1_sel:DWORD
	v_or_b32_sdwa v124, v124, v133 dst_sel:DWORD dst_unused:UNUSED_PAD src0_sel:WORD_0 src1_sel:DWORD
	v_add_nc_u32_e32 v130, 0x800, v66
	v_or_b32_sdwa v125, v125, v134 dst_sel:DWORD dst_unused:UNUSED_PAD src0_sel:WORD_0 src1_sel:DWORD
	v_or_b32_sdwa v120, v120, v135 dst_sel:DWORD dst_unused:UNUSED_PAD src0_sel:WORD_0 src1_sel:DWORD
	v_add_nc_u32_e32 v131, 0x1000, v66
	v_or_b32_sdwa v121, v121, v136 dst_sel:DWORD dst_unused:UNUSED_PAD src0_sel:WORD_0 src1_sel:DWORD
	v_or_b32_sdwa v118, v118, v139 dst_sel:DWORD dst_unused:UNUSED_PAD src0_sel:WORD_0 src1_sel:DWORD
	v_add_nc_u32_e32 v132, 0x1800, v66
	ds_write2_b32 v66, v129, v126 offset1:16
	ds_write2_b32 v130, v127, v124 offset0:8 offset1:24
	ds_write2_b32 v131, v125, v120 offset0:16 offset1:32
	;; [unrolled: 1-line block ×3, first 2 shown]
	buffer_load_dword v0, off, s[20:23], 0 offset:88 ; 4-byte Folded Reload
	v_lshrrev_b32_e32 v148, 16, v119
	v_lshrrev_b32_e32 v150, 16, v45
	;; [unrolled: 1-line block ×4, first 2 shown]
	v_and_b32_e32 v149, 0x3f00, v119
	v_and_b32_e32 v166, 0x3f00, v148
	v_lshlrev_b16 v148, 8, v148
	v_and_b32_e32 v167, 0x3f00, v150
	v_lshlrev_b16 v150, 8, v150
	;; [unrolled: 2-line block ×4, first 2 shown]
	v_lshlrev_b16 v119, 8, v119
	v_and_b32_e32 v151, 0x3f00, v45
	v_lshlrev_b16 v45, 8, v45
	v_add_nc_u16 v140, 0xe000, v148
	v_add_nc_u16 v141, 0xe000, v150
	v_and_b32_e32 v153, 0x3f00, v122
	v_lshlrev_b16 v122, 8, v122
	v_and_b32_e32 v155, 0x3f00, v46
	v_lshlrev_b16 v46, 8, v46
	v_add_nc_u16 v142, 0xe000, v152
	v_add_nc_u16 v143, 0xe000, v154
	v_lshrrev_b32_e32 v156, 16, v47
	v_add_nc_u16 v119, 0xe000, v119
	v_add_nc_u16 v45, 0xe000, v45
	v_or_b32_sdwa v140, v166, v140 dst_sel:DWORD dst_unused:UNUSED_PAD src0_sel:DWORD src1_sel:BYTE_1
	v_or_b32_sdwa v141, v167, v141 dst_sel:DWORD dst_unused:UNUSED_PAD src0_sel:DWORD src1_sel:BYTE_1
	v_add_nc_u16 v122, 0xe000, v122
	v_add_nc_u16 v46, 0xe000, v46
	v_or_b32_sdwa v142, v168, v142 dst_sel:DWORD dst_unused:UNUSED_PAD src0_sel:DWORD src1_sel:BYTE_1
	v_or_b32_sdwa v143, v169, v143 dst_sel:DWORD dst_unused:UNUSED_PAD src0_sel:DWORD src1_sel:BYTE_1
	v_and_b32_e32 v170, 0x3f00, v156
	v_lshlrev_b16 v156, 8, v156
	v_or_b32_sdwa v119, v149, v119 dst_sel:DWORD dst_unused:UNUSED_PAD src0_sel:DWORD src1_sel:BYTE_1
	v_or_b32_sdwa v45, v151, v45 dst_sel:DWORD dst_unused:UNUSED_PAD src0_sel:DWORD src1_sel:BYTE_1
	v_add_nc_u16 v140, 0xe000, v140
	v_add_nc_u16 v141, 0xe000, v141
	v_or_b32_sdwa v122, v153, v122 dst_sel:DWORD dst_unused:UNUSED_PAD src0_sel:DWORD src1_sel:BYTE_1
	v_or_b32_sdwa v46, v155, v46 dst_sel:DWORD dst_unused:UNUSED_PAD src0_sel:DWORD src1_sel:BYTE_1
	v_add_nc_u16 v142, 0xe000, v142
	v_add_nc_u16 v143, 0xe000, v143
	;; [unrolled: 1-line block ×4, first 2 shown]
	v_lshlrev_b32_e32 v140, 16, v140
	v_lshlrev_b32_e32 v141, 16, v141
	v_add_nc_u16 v118, 0xe000, v156
	v_add_nc_u16 v122, 0xe000, v122
	;; [unrolled: 1-line block ×3, first 2 shown]
	v_lshlrev_b32_e32 v142, 16, v142
	v_lshlrev_b32_e32 v143, 16, v143
	v_or_b32_sdwa v119, v119, v140 dst_sel:DWORD dst_unused:UNUSED_PAD src0_sel:WORD_0 src1_sel:DWORD
	v_or_b32_sdwa v45, v45, v141 dst_sel:DWORD dst_unused:UNUSED_PAD src0_sel:WORD_0 src1_sel:DWORD
	v_or_b32_sdwa v118, v170, v118 dst_sel:DWORD dst_unused:UNUSED_PAD src0_sel:DWORD src1_sel:BYTE_1
	v_add_nc_u32_e32 v121, 0x2000, v66
	v_or_b32_sdwa v120, v122, v142 dst_sel:DWORD dst_unused:UNUSED_PAD src0_sel:WORD_0 src1_sel:DWORD
	v_or_b32_sdwa v46, v46, v143 dst_sel:DWORD dst_unused:UNUSED_PAD src0_sel:WORD_0 src1_sel:DWORD
	v_add_nc_u32_e32 v122, 0x2800, v66
	ds_write2_b32 v121, v119, v45 offset0:32 offset1:48
	ds_write2_b32 v122, v120, v46 offset0:40 offset1:56
	v_add_nc_u16 v46, 0xe000, v118
	v_lshrrev_b32_e32 v48, 4, v48
	v_and_b32_e32 v157, 0x3f00, v47
	v_lshlrev_b16 v47, 8, v47
	v_lshlrev_b32_e32 v46, 16, v46
	v_and_b32_e32 v48, 0xf0f0f0f, v48
	v_add_nc_u16 v47, 0xe000, v47
	v_and_or_b32 v48, 0x30303030, v69, v48
	v_or_b32_sdwa v47, v157, v47 dst_sel:DWORD dst_unused:UNUSED_PAD src0_sel:DWORD src1_sel:BYTE_1
	v_lshlrev_b16 v69, 8, v48
	v_add_nc_u16 v45, 0xe000, v47
	v_lshrrev_b32_e32 v47, 16, v48
	v_and_b32_e32 v48, 0x3f00, v48
	v_add_nc_u16 v69, 0xe000, v69
	v_or_b32_sdwa v45, v45, v46 dst_sel:DWORD dst_unused:UNUSED_PAD src0_sel:WORD_0 src1_sel:DWORD
	v_lshlrev_b16 v120, 8, v47
	v_or_b32_sdwa v48, v48, v69 dst_sel:DWORD dst_unused:UNUSED_PAD src0_sel:DWORD src1_sel:BYTE_1
	v_add_nc_u16 v48, 0xe000, v48
	s_waitcnt vmcnt(13)
	v_ashrrev_i32_e32 v72, v64, v72
	s_waitcnt vmcnt(3)
	v_ashrrev_i32_e32 v42, v64, v42
	;; [unrolled: 2-line block ×3, first 2 shown]
	s_waitcnt vmcnt(0)
	v_mad_u64_u32 v[34:35], null, 0xd2, v0, v[34:35]
	v_add_co_u32 v118, vcc_lo, v34, v54
	v_add_co_ci_u32_e64 v119, null, 0, v35, vcc_lo
	v_add_co_u32 v34, vcc_lo, v34, v62
	v_add_co_ci_u32_e64 v35, null, 0, v35, vcc_lo
	s_clause 0x1
	global_load_dword v139, v[118:119], off
	global_load_dword v140, v[34:35], off offset:128
	buffer_load_dword v0, off, s[20:23], 0 offset:96 ; 4-byte Folded Reload
	v_and_b32_e32 v34, 0x3f00, v47
	v_add_nc_u16 v35, 0xe000, v120
	v_and_b32_e32 v47, 0xf0f0f0f, v44
	v_lshlrev_b32_e32 v118, 4, v70
	v_lshrrev_b32_e32 v44, 4, v44
	v_or_b32_sdwa v69, v34, v35 dst_sel:DWORD dst_unused:UNUSED_PAD src0_sel:DWORD src1_sel:BYTE_1
	v_and_or_b32 v47, 0x30303030, v118, v47
	v_and_b32_e32 v44, 0xf0f0f0f, v44
	v_add_nc_u16 v69, 0xe000, v69
	v_lshrrev_b32_e32 v141, 16, v47
	v_and_or_b32 v44, 0x30303030, v70, v44
	v_lshlrev_b32_e32 v69, 16, v69
	v_lshrrev_b32_e32 v70, 16, v44
	v_or_b32_sdwa v48, v48, v69 dst_sel:DWORD dst_unused:UNUSED_PAD src0_sel:WORD_0 src1_sel:DWORD
	v_lshlrev_b16 v69, 8, v44
	v_and_b32_e32 v44, 0x3f00, v44
	v_add_nc_u16 v69, 0xe000, v69
	v_or_b32_sdwa v44, v44, v69 dst_sel:DWORD dst_unused:UNUSED_PAD src0_sel:DWORD src1_sel:BYTE_1
	v_add_nc_u16 v44, 0xe000, v44
	s_waitcnt vmcnt(0)
	v_mad_u64_u32 v[34:35], null, 0xd2, v0, s[0:1]
	buffer_load_dword v0, off, s[20:23], 0 offset:80 ; 4-byte Folded Reload
	v_add_co_u32 v34, vcc_lo, v34, v60
	v_add_co_ci_u32_e64 v35, null, 0, v35, vcc_lo
	s_waitcnt vmcnt(0)
	v_mad_u64_u32 v[118:119], null, 0xd2, v0, s[0:1]
	buffer_load_dword v0, off, s[20:23], 0 offset:104 ; 4-byte Folded Reload
	s_waitcnt vmcnt(0)
	v_mad_u64_u32 v[120:121], null, 0xd2, v0, s[0:1]
	s_lshl_b32 s0, s11, 3
	s_mov_b32 s1, -1
	v_add_nc_u32_e32 v131, s0, v77
	v_add_co_u32 v120, vcc_lo, v120, v60
	v_add_co_ci_u32_e64 v121, null, 0, v121, vcc_lo
	s_clause 0x2
	global_load_ushort v142, v[118:119], off offset:208
	global_load_dword v143, v[34:35], off offset:192
	global_load_dword v144, v[120:121], off offset:192
	s_clause 0x1
	buffer_load_dword v0, off, s[20:23], 0 offset:112
	buffer_load_dword v1, off, s[20:23], 0 offset:116
	v_add_nc_u32_e32 v122, v131, v78
	v_add_nc_u32_e32 v118, v131, v79
	;; [unrolled: 1-line block ×5, first 2 shown]
	v_mad_i64_i32 v[34:35], null, v122, 36, v[39:40]
	v_add_nc_u32_e32 v132, v131, v84
	v_mad_i64_i32 v[118:119], null, v118, 36, v[39:40]
	v_mad_i64_i32 v[121:122], null, v121, 36, v[39:40]
	;; [unrolled: 1-line block ×4, first 2 shown]
	s_waitcnt vmcnt(1)
	v_add_nc_u32_e32 v120, s0, v0
	buffer_load_dword v0, off, s[20:23], 0  ; 4-byte Folded Reload
	v_mad_u64_u32 v[129:130], null, v120, 36, s[2:3]
	s_waitcnt vmcnt(0)
	v_add_nc_u32_e32 v133, v131, v0
	buffer_load_dword v0, off, s[20:23], 0 offset:4 ; 4-byte Folded Reload
	v_mad_i64_i32 v[133:134], null, v133, 36, v[39:40]
	s_waitcnt vmcnt(0)
	v_add_nc_u32_e32 v135, v131, v0
	v_mad_i64_i32 v[131:132], null, v132, 36, v[39:40]
	v_add_nc_u32_e32 v0, 0x30c0, v66
	v_mad_i64_i32 v[135:136], null, v135, 36, v[39:40]
	s_clause 0x8
	global_load_dword v129, v[129:130], off
	global_load_dword v34, v[34:35], off offset:4
	global_load_dword v35, v[118:119], off offset:4
	;; [unrolled: 1-line block ×8, first 2 shown]
	v_lshlrev_b16 v126, 8, v47
	v_lshlrev_b16 v127, 8, v141
	v_and_b32_e32 v47, 0x3f00, v47
	v_and_b32_e32 v130, 0x3f00, v141
	ds_write2_b32 v0, v45, v48 offset1:16
	v_add_nc_u16 v126, 0xe000, v126
	v_add_nc_u16 v127, 0xe000, v127
	v_or_b32_sdwa v47, v47, v126 dst_sel:DWORD dst_unused:UNUSED_PAD src0_sel:DWORD src1_sel:BYTE_1
	v_or_b32_sdwa v46, v130, v127 dst_sel:DWORD dst_unused:UNUSED_PAD src0_sel:DWORD src1_sel:BYTE_1
	v_lshlrev_b16 v126, 8, v70
	v_and_b32_e32 v70, 0x3f00, v70
	v_and_b32_e32 v127, 0xf0f0f0f, v71
	v_add_nc_u16 v47, 0xe000, v47
	v_add_nc_u16 v46, 0xe000, v46
	;; [unrolled: 1-line block ×3, first 2 shown]
	v_lshlrev_b32_e32 v130, 4, v72
	v_lshlrev_b32_e32 v46, 16, v46
	v_or_b32_sdwa v45, v70, v126 dst_sel:DWORD dst_unused:UNUSED_PAD src0_sel:DWORD src1_sel:BYTE_1
	v_and_or_b32 v48, 0x30303030, v130, v127
	v_or_b32_sdwa v46, v47, v46 dst_sel:DWORD dst_unused:UNUSED_PAD src0_sel:WORD_0 src1_sel:DWORD
	v_lshrrev_b32_e32 v47, 4, v71
	v_add_nc_u16 v45, 0xe000, v45
	v_lshrrev_b32_e32 v69, 16, v48
	v_lshlrev_b16 v70, 8, v48
	v_and_b32_e32 v48, 0x3f00, v48
	v_and_b32_e32 v47, 0xf0f0f0f, v47
	v_lshlrev_b32_e32 v45, 16, v45
	v_lshlrev_b16 v71, 8, v69
	v_add_nc_u16 v70, 0xe000, v70
	v_and_b32_e32 v69, 0x3f00, v69
	v_and_or_b32 v47, 0x30303030, v72, v47
	v_or_b32_sdwa v44, v44, v45 dst_sel:DWORD dst_unused:UNUSED_PAD src0_sel:WORD_0 src1_sel:DWORD
	v_add_nc_u32_e32 v45, 0x800, v0
	v_add_nc_u16 v71, 0xe000, v71
	v_or_b32_sdwa v48, v48, v70 dst_sel:DWORD dst_unused:UNUSED_PAD src0_sel:DWORD src1_sel:BYTE_1
	v_lshrrev_b32_e32 v70, 16, v47
	v_lshlrev_b16 v72, 8, v47
	ds_write2_b32 v45, v46, v44 offset0:8 offset1:24
	v_ashrrev_i32_e32 v44, v64, v138
	v_or_b32_sdwa v45, v69, v71 dst_sel:DWORD dst_unused:UNUSED_PAD src0_sel:DWORD src1_sel:BYTE_1
	v_add_nc_u16 v46, 0xe000, v48
	v_lshlrev_b16 v48, 8, v70
	v_and_b32_e32 v69, 0xf0f0f0f, v137
	v_lshlrev_b32_e32 v71, 4, v44
	v_and_b32_e32 v70, 0x3f00, v70
	v_and_b32_e32 v47, 0x3f00, v47
	v_add_nc_u16 v48, 0xe000, v48
	v_add_nc_u16 v45, 0xe000, v45
	v_and_or_b32 v69, 0x30303030, v71, v69
	v_add_nc_u16 v71, 0xe000, v72
	v_lshrrev_b32_e32 v72, 4, v137
	v_or_b32_sdwa v48, v70, v48 dst_sel:DWORD dst_unused:UNUSED_PAD src0_sel:DWORD src1_sel:BYTE_1
	v_lshlrev_b32_e32 v45, 16, v45
	v_lshrrev_b32_e32 v70, 16, v69
	v_or_b32_sdwa v47, v47, v71 dst_sel:DWORD dst_unused:UNUSED_PAD src0_sel:DWORD src1_sel:BYTE_1
	v_lshlrev_b16 v71, 8, v69
	v_and_b32_e32 v72, 0xf0f0f0f, v72
	v_add_nc_u16 v48, 0xe000, v48
	v_lshlrev_b16 v126, 8, v70
	v_and_b32_e32 v69, 0x3f00, v69
	v_add_nc_u16 v71, 0xe000, v71
	v_and_b32_e32 v70, 0x3f00, v70
	v_and_or_b32 v44, 0x30303030, v44, v72
	v_add_nc_u16 v126, 0xe000, v126
	v_add_nc_u16 v47, 0xe000, v47
	v_lshlrev_b32_e32 v48, 16, v48
	v_or_b32_sdwa v69, v69, v71 dst_sel:DWORD dst_unused:UNUSED_PAD src0_sel:DWORD src1_sel:BYTE_1
	v_lshrrev_b32_e32 v71, 16, v44
	v_or_b32_sdwa v70, v70, v126 dst_sel:DWORD dst_unused:UNUSED_PAD src0_sel:DWORD src1_sel:BYTE_1
	v_or_b32_sdwa v45, v46, v45 dst_sel:DWORD dst_unused:UNUSED_PAD src0_sel:WORD_0 src1_sel:DWORD
	v_or_b32_sdwa v46, v47, v48 dst_sel:DWORD dst_unused:UNUSED_PAD src0_sel:WORD_0 src1_sel:DWORD
	v_add_nc_u16 v47, 0xe000, v69
	v_lshlrev_b16 v69, 8, v71
	v_add_nc_u16 v48, 0xe000, v70
	v_lshlrev_b16 v70, 8, v44
	v_and_b32_e32 v44, 0x3f00, v44
	v_ashrrev_i32_e32 v72, v64, v128
	v_and_b32_e32 v71, 0x3f00, v71
	v_add_nc_u16 v69, 0xe000, v69
	v_add_nc_u16 v70, 0xe000, v70
	v_and_b32_e32 v126, 0xf0f0f0f, v123
	v_lshlrev_b32_e32 v127, 4, v72
	v_lshlrev_b32_e32 v48, 16, v48
	v_or_b32_sdwa v69, v71, v69 dst_sel:DWORD dst_unused:UNUSED_PAD src0_sel:DWORD src1_sel:BYTE_1
	v_or_b32_sdwa v44, v44, v70 dst_sel:DWORD dst_unused:UNUSED_PAD src0_sel:DWORD src1_sel:BYTE_1
	v_lshrrev_b32_e32 v70, 4, v123
	v_and_or_b32 v71, 0x30303030, v127, v126
	v_or_b32_sdwa v47, v47, v48 dst_sel:DWORD dst_unused:UNUSED_PAD src0_sel:WORD_0 src1_sel:DWORD
	v_add_nc_u16 v48, 0xe000, v69
	v_add_nc_u16 v44, 0xe000, v44
	v_and_b32_e32 v69, 0xf0f0f0f, v70
	v_lshrrev_b32_e32 v70, 16, v71
	v_lshlrev_b16 v123, 8, v71
	v_lshlrev_b32_e32 v48, 16, v48
	v_add_nc_u32_e32 v126, 0x1800, v0
	v_and_or_b32 v69, 0x30303030, v72, v69
	v_lshlrev_b16 v72, 8, v70
	v_and_b32_e32 v71, 0x3f00, v71
	v_or_b32_sdwa v44, v44, v48 dst_sel:DWORD dst_unused:UNUSED_PAD src0_sel:WORD_0 src1_sel:DWORD
	v_and_b32_e32 v48, 0x3f00, v70
	v_add_nc_u32_e32 v70, 0x1000, v0
	v_lshrrev_b32_e32 v127, 16, v69
	v_add_nc_u16 v123, 0xe000, v123
	v_add_nc_u16 v72, 0xe000, v72
	ds_write2_b32 v70, v45, v46 offset0:16 offset1:32
	ds_write2_b32 v126, v47, v44 offset0:24 offset1:40
	v_lshlrev_b16 v44, 8, v127
	v_or_b32_sdwa v71, v71, v123 dst_sel:DWORD dst_unused:UNUSED_PAD src0_sel:DWORD src1_sel:BYTE_1
	v_or_b32_sdwa v45, v48, v72 dst_sel:DWORD dst_unused:UNUSED_PAD src0_sel:DWORD src1_sel:BYTE_1
	v_lshlrev_b16 v47, 8, v69
	v_and_b32_e32 v48, 0x3f00, v127
	v_add_nc_u16 v44, 0xe000, v44
	v_ashrrev_i32_e32 v70, v64, v117
	v_add_nc_u16 v46, 0xe000, v71
	v_add_nc_u16 v45, 0xe000, v45
	v_and_b32_e32 v69, 0x3f00, v69
	v_add_nc_u16 v47, 0xe000, v47
	v_or_b32_sdwa v44, v48, v44 dst_sel:DWORD dst_unused:UNUSED_PAD src0_sel:DWORD src1_sel:BYTE_1
	v_and_b32_e32 v48, 0xf0f0f0f, v116
	v_lshrrev_b32_e32 v71, 4, v116
	v_lshlrev_b32_e32 v72, 4, v70
	v_or_b32_sdwa v47, v69, v47 dst_sel:DWORD dst_unused:UNUSED_PAD src0_sel:DWORD src1_sel:BYTE_1
	v_add_nc_u16 v44, 0xe000, v44
	v_lshlrev_b32_e32 v45, 16, v45
	v_and_b32_e32 v69, 0xf0f0f0f, v71
	v_and_or_b32 v48, 0x30303030, v72, v48
	v_add_nc_u16 v47, 0xe000, v47
	v_lshlrev_b32_e32 v44, 16, v44
	v_or_b32_sdwa v45, v46, v45 dst_sel:DWORD dst_unused:UNUSED_PAD src0_sel:WORD_0 src1_sel:DWORD
	v_and_or_b32 v46, 0x30303030, v70, v69
	v_lshrrev_b32_e32 v69, 16, v48
	v_lshlrev_b16 v70, 8, v48
	v_or_b32_sdwa v44, v47, v44 dst_sel:DWORD dst_unused:UNUSED_PAD src0_sel:WORD_0 src1_sel:DWORD
	v_add_nc_u32_e32 v47, 0x5140, v66
	v_lshrrev_b32_e32 v71, 16, v46
	v_lshlrev_b16 v72, 8, v69
	v_and_b32_e32 v48, 0x3f00, v48
	v_add_nc_u16 v70, 0xe000, v70
	ds_write2_b32 v47, v45, v44 offset1:16
	v_and_b32_e32 v44, 0x3f00, v69
	v_lshlrev_b16 v45, 8, v71
	v_add_nc_u16 v47, 0xe000, v72
	v_or_b32_sdwa v48, v48, v70 dst_sel:DWORD dst_unused:UNUSED_PAD src0_sel:DWORD src1_sel:BYTE_1
	v_lshlrev_b16 v69, 8, v46
	v_and_b32_e32 v70, 0x3f00, v71
	v_add_nc_u16 v45, 0xe000, v45
	v_or_b32_sdwa v44, v44, v47 dst_sel:DWORD dst_unused:UNUSED_PAD src0_sel:DWORD src1_sel:BYTE_1
	v_ashrrev_i32_e32 v47, v64, v115
	v_and_b32_e32 v46, 0x3f00, v46
	v_add_nc_u16 v69, 0xe000, v69
	v_or_b32_sdwa v45, v70, v45 dst_sel:DWORD dst_unused:UNUSED_PAD src0_sel:DWORD src1_sel:BYTE_1
	v_and_b32_e32 v70, 0xf0f0f0f, v43
	v_lshlrev_b32_e32 v71, 4, v47
	v_add_nc_u16 v44, 0xe000, v44
	v_or_b32_sdwa v46, v46, v69 dst_sel:DWORD dst_unused:UNUSED_PAD src0_sel:DWORD src1_sel:BYTE_1
	v_add_nc_u16 v45, 0xe000, v45
	v_lshrrev_b32_e32 v43, 4, v43
	v_and_or_b32 v69, 0x30303030, v71, v70
	v_add_nc_u16 v48, 0xe000, v48
	v_lshlrev_b32_e32 v44, 16, v44
	v_add_nc_u16 v46, 0xe000, v46
	v_lshlrev_b32_e32 v45, 16, v45
	v_lshrrev_b32_e32 v70, 16, v69
	v_and_b32_e32 v43, 0xf0f0f0f, v43
	v_or_b32_sdwa v44, v48, v44 dst_sel:DWORD dst_unused:UNUSED_PAD src0_sel:WORD_0 src1_sel:DWORD
	v_lshlrev_b16 v48, 8, v69
	v_or_b32_sdwa v45, v46, v45 dst_sel:DWORD dst_unused:UNUSED_PAD src0_sel:WORD_0 src1_sel:DWORD
	v_lshlrev_b16 v46, 8, v70
	v_add_nc_u32_e32 v71, 0x5960, v66
	v_and_or_b32 v43, 0x30303030, v47, v43
	v_and_b32_e32 v69, 0x3f00, v69
	v_add_nc_u16 v47, 0xe000, v48
	v_and_b32_e32 v48, 0x3f00, v70
	v_add_nc_u16 v46, 0xe000, v46
	ds_write2_b32 v71, v44, v45 offset1:16
	v_lshrrev_b32_e32 v44, 16, v43
	v_or_b32_sdwa v45, v69, v47 dst_sel:DWORD dst_unused:UNUSED_PAD src0_sel:DWORD src1_sel:BYTE_1
	v_lshlrev_b16 v47, 8, v43
	v_or_b32_sdwa v46, v48, v46 dst_sel:DWORD dst_unused:UNUSED_PAD src0_sel:DWORD src1_sel:BYTE_1
	v_and_b32_e32 v69, 0xf0f0f0f, v41
	v_lshlrev_b16 v48, 8, v44
	v_lshlrev_b32_e32 v70, 4, v42
	v_and_b32_e32 v43, 0x3f00, v43
	v_add_nc_u16 v47, 0xe000, v47
	v_and_b32_e32 v44, 0x3f00, v44
	v_add_nc_u16 v48, 0xe000, v48
	v_and_or_b32 v69, 0x30303030, v70, v69
	v_lshrrev_b32_e32 v41, 4, v41
	v_or_b32_sdwa v43, v43, v47 dst_sel:DWORD dst_unused:UNUSED_PAD src0_sel:DWORD src1_sel:BYTE_1
	v_add_nc_u16 v46, 0xe000, v46
	v_or_b32_sdwa v44, v44, v48 dst_sel:DWORD dst_unused:UNUSED_PAD src0_sel:DWORD src1_sel:BYTE_1
	v_lshrrev_b32_e32 v47, 16, v69
	v_and_b32_e32 v41, 0xf0f0f0f, v41
	v_add_nc_u16 v43, 0xe000, v43
	v_lshlrev_b16 v70, 8, v69
	v_add_nc_u16 v44, 0xe000, v44
	v_lshlrev_b16 v48, 8, v47
	v_and_b32_e32 v47, 0x3f00, v47
	v_and_or_b32 v41, 0x30303030, v42, v41
	v_add_nc_u16 v45, 0xe000, v45
	v_lshlrev_b32_e32 v44, 16, v44
	v_add_nc_u16 v48, 0xe000, v48
	v_lshlrev_b32_e32 v46, 16, v46
	v_and_b32_e32 v69, 0x3f00, v69
	v_add_nc_u16 v70, 0xe000, v70
	v_or_b32_sdwa v43, v43, v44 dst_sel:DWORD dst_unused:UNUSED_PAD src0_sel:WORD_0 src1_sel:DWORD
	v_or_b32_sdwa v42, v47, v48 dst_sel:DWORD dst_unused:UNUSED_PAD src0_sel:DWORD src1_sel:BYTE_1
	v_lshrrev_b32_e32 v44, 16, v41
	v_or_b32_sdwa v45, v45, v46 dst_sel:DWORD dst_unused:UNUSED_PAD src0_sel:WORD_0 src1_sel:DWORD
	v_or_b32_sdwa v46, v69, v70 dst_sel:DWORD dst_unused:UNUSED_PAD src0_sel:DWORD src1_sel:BYTE_1
	v_and_b32_e32 v47, 0xf0f0f0f, v36
	v_add_nc_u16 v42, 0xe000, v42
	v_lshlrev_b32_e32 v48, 4, v37
	v_lshlrev_b16 v69, 8, v44
	v_add_nc_u16 v46, 0xe000, v46
	v_lshlrev_b16 v70, 8, v41
	v_lshlrev_b32_e32 v42, 16, v42
	v_and_b32_e32 v44, 0x3f00, v44
	v_and_or_b32 v47, 0x30303030, v48, v47
	v_add_nc_u16 v48, 0xe000, v69
	v_and_b32_e32 v41, 0x3f00, v41
	v_or_b32_sdwa v42, v46, v42 dst_sel:DWORD dst_unused:UNUSED_PAD src0_sel:WORD_0 src1_sel:DWORD
	v_add_nc_u16 v46, 0xe000, v70
	v_lshlrev_b16 v69, 8, v47
	v_or_b32_sdwa v44, v44, v48 dst_sel:DWORD dst_unused:UNUSED_PAD src0_sel:DWORD src1_sel:BYTE_1
	v_lshrrev_b32_e32 v48, 16, v47
	v_lshrrev_b32_e32 v36, 4, v36
	v_or_b32_sdwa v41, v41, v46 dst_sel:DWORD dst_unused:UNUSED_PAD src0_sel:DWORD src1_sel:BYTE_1
	v_and_b32_e32 v47, 0x3f00, v47
	v_add_nc_u16 v69, 0xe000, v69
	v_lshlrev_b16 v46, 8, v48
	v_and_b32_e32 v36, 0xf0f0f0f, v36
	v_and_b32_e32 v48, 0x3f00, v48
	v_add_nc_u16 v44, 0xe000, v44
	v_or_b32_sdwa v47, v47, v69 dst_sel:DWORD dst_unused:UNUSED_PAD src0_sel:DWORD src1_sel:BYTE_1
	v_add_nc_u16 v46, 0xe000, v46
	v_and_or_b32 v36, 0x30303030, v37, v36
	v_lshrrev_b32_e32 v70, 4, v139
	v_add_nc_u16 v37, 0xe000, v41
	v_lshlrev_b32_e32 v41, 16, v44
	v_or_b32_sdwa v46, v48, v46 dst_sel:DWORD dst_unused:UNUSED_PAD src0_sel:DWORD src1_sel:BYTE_1
	v_ashrrev_i32_e32 v48, v64, v140
	v_add_nc_u16 v44, 0xe000, v47
	v_lshrrev_b32_e32 v47, 16, v36
	v_lshlrev_b16 v69, 8, v36
	v_and_b32_e32 v71, 0xf0f0f0f, v139
	v_lshlrev_b32_e32 v72, 4, v48
	v_and_b32_e32 v70, 0xf0f0f0f, v70
	v_and_b32_e32 v36, 0x3f00, v36
	v_add_nc_u16 v69, 0xe000, v69
	v_lshlrev_b16 v115, 8, v47
	v_and_or_b32 v71, 0x30303030, v72, v71
	v_and_or_b32 v48, 0x30303030, v48, v70
	v_and_b32_e32 v47, 0x3f00, v47
	v_or_b32_sdwa v36, v36, v69 dst_sel:DWORD dst_unused:UNUSED_PAD src0_sel:DWORD src1_sel:BYTE_1
	v_add_nc_u16 v69, 0xe000, v115
	v_lshrrev_b32_e32 v70, 16, v71
	v_lshrrev_b32_e32 v72, 16, v48
	v_lshlrev_b16 v117, 8, v48
	v_and_b32_e32 v115, 0x3f00, v71
	v_or_b32_sdwa v47, v47, v69 dst_sel:DWORD dst_unused:UNUSED_PAD src0_sel:DWORD src1_sel:BYTE_1
	v_lshlrev_b16 v69, 8, v70
	v_lshlrev_b16 v116, 8, v72
	v_and_b32_e32 v70, 0x3f00, v70
	v_and_b32_e32 v72, 0x3f00, v72
	v_lshlrev_b16 v71, 8, v71
	v_add_nc_u16 v69, 0xe000, v69
	v_add_nc_u16 v116, 0xe000, v116
	v_and_b32_e32 v48, 0x3f00, v48
	v_add_nc_u16 v47, 0xe000, v47
	v_add_nc_u16 v71, 0xe000, v71
	v_or_b32_sdwa v69, v70, v69 dst_sel:DWORD dst_unused:UNUSED_PAD src0_sel:DWORD src1_sel:BYTE_1
	v_add_nc_u16 v70, 0xe000, v117
	v_or_b32_sdwa v72, v72, v116 dst_sel:DWORD dst_unused:UNUSED_PAD src0_sel:DWORD src1_sel:BYTE_1
	;; [unrolled: 2-line block ×4, first 2 shown]
	v_add_nc_u16 v70, 0xe000, v72
	v_add_nc_u16 v36, 0xe000, v36
	v_lshlrev_b32_e32 v47, 16, v47
	v_lshlrev_b32_e32 v46, 16, v46
	v_add_nc_u16 v48, 0xe000, v48
	v_lshlrev_b32_e32 v70, 16, v70
	v_add_nc_u16 v71, 0xe000, v71
	v_lshlrev_b32_e32 v69, 16, v69
	v_or_b32_sdwa v36, v36, v47 dst_sel:DWORD dst_unused:UNUSED_PAD src0_sel:WORD_0 src1_sel:DWORD
	v_add_nc_u32_e32 v47, 0x6180, v66
	v_or_b32_sdwa v37, v37, v41 dst_sel:DWORD dst_unused:UNUSED_PAD src0_sel:WORD_0 src1_sel:DWORD
	v_or_b32_sdwa v41, v44, v46 dst_sel:DWORD dst_unused:UNUSED_PAD src0_sel:WORD_0 src1_sel:DWORD
	;; [unrolled: 1-line block ×3, first 2 shown]
	v_add_nc_u32_e32 v48, 0x69a0, v66
	v_or_b32_sdwa v44, v71, v69 dst_sel:DWORD dst_unused:UNUSED_PAD src0_sel:WORD_0 src1_sel:DWORD
	v_add_nc_u32_e32 v69, 0x71c0, v66
	v_add_nc_u32_e32 v70, 0x79e0, v66
	ds_write2_b32 v47, v45, v43 offset1:16
	ds_write2_b32 v48, v42, v37 offset1:16
	;; [unrolled: 1-line block ×4, first 2 shown]
	buffer_load_dword v0, off, s[20:23], 0 offset:92 ; 4-byte Folded Reload
	v_cvt_f32_f16_e32 v71, v142
	s_waitcnt vmcnt(0)
	ds_write_b32 v0, v71
	buffer_load_dword v0, off, s[20:23], 0 offset:100 ; 4-byte Folded Reload
	s_waitcnt vmcnt(0)
	ds_write_b32 v0, v143
	buffer_load_dword v0, off, s[20:23], 0 offset:108 ; 4-byte Folded Reload
	s_waitcnt vmcnt(0)
	ds_write_b32 v0, v144
	ds_write_b32 v104, v34
	;; [unrolled: 1-line block ×5, first 2 shown]
	v_cvt_f32_f16_e32 v34, v129
	ds_write_b32 v108, v121
	ds_write_b32 v109, v122
	;; [unrolled: 1-line block ×5, first 2 shown]
	s_waitcnt lgkmcnt(0)
	s_waitcnt_vscnt null, 0x0
	s_barrier
	buffer_gl0_inv
	buffer_load_dword v0, off, s[20:23], 0 offset:8 ; 4-byte Folded Reload
	s_waitcnt vmcnt(0)
	ds_read_b32 v121, v0
	buffer_load_dword v0, off, s[20:23], 0 offset:12 ; 4-byte Folded Reload
	s_waitcnt lgkmcnt(0)
	v_mov_b32_e32 v125, v121
	v_mov_b32_e32 v126, v121
	v_mov_b32_e32 v127, v121
	s_waitcnt vmcnt(0)
	ds_read_b32 v122, v0 offset:128
	buffer_load_dword v0, off, s[20:23], 0 offset:16 ; 4-byte Folded Reload
	s_waitcnt lgkmcnt(0)
	v_mov_b32_e32 v128, v122
	v_mov_b32_e32 v129, v122
	v_mov_b32_e32 v130, v122
	s_waitcnt vmcnt(0)
	ds_read_b32 v123, v0 offset:256
	;; [unrolled: 7-line block ×3, first 2 shown]
	s_waitcnt lgkmcnt(0)
	v_mov_b32_e32 v134, v124
	v_mov_b32_e32 v135, v124
	;; [unrolled: 1-line block ×3, first 2 shown]
.LBB175_6:                              ;   Parent Loop BB175_5 Depth=1
                                        ; =>  This Inner Loop Header: Depth=2
	s_lshl_b32 s15, s14, 1
	s_lshl_b32 s16, s14, 3
	v_or_b32_e32 v115, s15, v49
	v_add_nc_u32_e32 v116, s16, v100
	v_add_nc_u32_e32 v117, s16, v101
	;; [unrolled: 1-line block ×4, first 2 shown]
	v_lshlrev_b32_e32 v118, 2, v115
	v_or_b32_e32 v165, s15, v93
	ds_read2_b32 v[41:42], v116 offset0:12 offset1:13
	ds_read2_b32 v[43:44], v117 offset1:1
	ds_read2_b32 v[189:190], v116 offset0:14 offset1:15
	ds_read_b128 v[138:141], v118 offset:33328
	ds_read_b128 v[173:176], v118 offset:33312
	ds_read2_b32 v[191:192], v117 offset0:12 offset1:13
	ds_read2_b32 v[193:194], v117 offset0:14 offset1:15
	;; [unrolled: 1-line block ×8, first 2 shown]
	v_lshlrev_b32_e32 v45, 2, v165
	ds_read2_b32 v[201:202], v207 offset0:14 offset1:15
	ds_read_b128 v[34:37], v45 offset:33280
	v_mov_b32_e32 v137, 0
	v_mov_b32_e32 v154, 0
	;; [unrolled: 1-line block ×8, first 2 shown]
	v_or_b32_e32 v147, s15, v94
	v_mov_b32_e32 v151, 0
	s_waitcnt lgkmcnt(11)
	v_dot4c_i32_i8 v137, v41, v138
	s_waitcnt lgkmcnt(9)
	v_dot4c_i32_i8 v154, v191, v138
	;; [unrolled: 2-line block ×4, first 2 shown]
	v_lshlrev_b32_e32 v47, 2, v147
	v_dot4c_i32_i8 v137, v42, v139
	v_dot4c_i32_i8 v154, v192, v139
	;; [unrolled: 1-line block ×4, first 2 shown]
	v_mov_b32_e32 v153, 0
	v_dot4c_i32_i8 v137, v189, v140
	v_dot4c_i32_i8 v154, v193, v140
	;; [unrolled: 1-line block ×3, first 2 shown]
	s_waitcnt lgkmcnt(1)
	v_dot4c_i32_i8 v156, v201, v140
	v_mov_b32_e32 v152, 0
	v_dot4c_i32_i8 v137, v190, v141
	v_dot4c_i32_i8 v154, v194, v141
	;; [unrolled: 1-line block ×4, first 2 shown]
	ds_read_b128 v[138:141], v45 offset:33328
	v_mov_b32_e32 v150, 0
	v_or_b32_e32 v162, s15, v95
	v_mov_b32_e32 v168, 0
	v_mov_b32_e32 v169, 0
	v_mov_b32_e32 v167, 0
	v_mov_b32_e32 v166, 0
	v_lshlrev_b32_e32 v208, 2, v162
	v_or_b32_e32 v142, s15, v96
	v_mov_b32_e32 v145, 0
	v_mov_b32_e32 v148, 0
	v_mov_b32_e32 v146, 0
	v_mov_b32_e32 v144, 0
	v_lshlrev_b32_e32 v48, 2, v142
	;; [unrolled: 6-line block ×3, first 2 shown]
	s_waitcnt lgkmcnt(0)
	v_dot4c_i32_i8 v172, v41, v138
	v_dot4c_i32_i8 v171, v191, v138
	;; [unrolled: 1-line block ×4, first 2 shown]
	v_mov_b32_e32 v143, 0
	v_dot4c_i32_i8 v172, v42, v139
	v_dot4c_i32_i8 v171, v192, v139
	;; [unrolled: 1-line block ×4, first 2 shown]
	v_or_b32_e32 v149, s15, v99
	v_dot4c_i32_i8 v172, v189, v140
	v_dot4c_i32_i8 v171, v193, v140
	;; [unrolled: 1-line block ×4, first 2 shown]
	v_lshlrev_b32_e32 v203, 2, v149
	v_dot4c_i32_i8 v172, v190, v141
	v_dot4c_i32_i8 v171, v194, v141
	;; [unrolled: 1-line block ×4, first 2 shown]
	ds_read_b128 v[138:141], v47 offset:33328
	ds_read_b128 v[177:180], v47 offset:33312
	v_mov_b32_e32 v158, 0
	v_mov_b32_e32 v159, 0
	v_mov_b32_e32 v206, 0
	v_mov_b32_e32 v204, 0
	v_mov_b32_e32 v70, 0
	v_mov_b32_e32 v71, 0
	v_mov_b32_e32 v72, 0
	v_mov_b32_e32 v73, 0
	v_mov_b32_e32 v75, 0
	v_mov_b32_e32 v38, 0
	v_mov_b32_e32 v0, 0
	v_mov_b32_e32 v65, 0
	v_mov_b32_e32 v50, 0
	v_mov_b32_e32 v51, 0
	v_mov_b32_e32 v52, 0
	v_mov_b32_e32 v53, 0
	v_mov_b32_e32 v55, 0
	v_mov_b32_e32 v56, 0
	s_waitcnt lgkmcnt(1)
	v_dot4c_i32_i8 v151, v41, v138
	v_dot4c_i32_i8 v153, v191, v138
	v_dot4c_i32_i8 v152, v195, v138
	v_dot4c_i32_i8 v150, v199, v138
	v_mov_b32_e32 v57, 0
	v_dot4c_i32_i8 v151, v42, v139
	v_dot4c_i32_i8 v153, v192, v139
	v_dot4c_i32_i8 v152, v196, v139
	v_dot4c_i32_i8 v150, v200, v139
	v_mov_b32_e32 v63, 0
	;; [unrolled: 5-line block ×3, first 2 shown]
	v_dot4c_i32_i8 v151, v190, v141
	v_dot4c_i32_i8 v153, v194, v141
	;; [unrolled: 1-line block ×4, first 2 shown]
	ds_read_b128 v[138:141], v208 offset:33328
	v_mov_b32_e32 v68, 0
	v_mov_b32_e32 v1, 0
	;; [unrolled: 1-line block ×5, first 2 shown]
	s_lshr_b32 s14, s14, 1
	s_and_b32 vcc_lo, exec_lo, s1
	s_add_i32 s14, s14, 0xa200
	s_mov_b32 s1, 0
	s_waitcnt lgkmcnt(0)
	v_dot4c_i32_i8 v168, v41, v138
	v_dot4c_i32_i8 v169, v191, v138
	;; [unrolled: 1-line block ×16, first 2 shown]
	ds_read_b128 v[138:141], v48 offset:33328
	ds_read_b128 v[185:188], v48 offset:33312
	s_waitcnt lgkmcnt(1)
	v_dot4c_i32_i8 v145, v41, v138
	v_dot4c_i32_i8 v148, v191, v138
	v_dot4c_i32_i8 v146, v195, v138
	v_dot4c_i32_i8 v144, v199, v138
	v_dot4c_i32_i8 v145, v42, v139
	v_dot4c_i32_i8 v148, v192, v139
	v_dot4c_i32_i8 v146, v196, v139
	v_dot4c_i32_i8 v144, v200, v139
	v_dot4c_i32_i8 v145, v189, v140
	v_dot4c_i32_i8 v148, v193, v140
	v_dot4c_i32_i8 v146, v197, v140
	v_dot4c_i32_i8 v144, v201, v140
	v_dot4c_i32_i8 v145, v190, v141
	v_dot4c_i32_i8 v148, v194, v141
	v_dot4c_i32_i8 v146, v198, v141
	v_dot4c_i32_i8 v144, v202, v141
	ds_read_b128 v[138:141], v209 offset:33328
	s_waitcnt lgkmcnt(0)
	v_dot4c_i32_i8 v163, v41, v138
	v_dot4c_i32_i8 v164, v191, v138
	v_dot4c_i32_i8 v161, v195, v138
	v_dot4c_i32_i8 v160, v199, v138
	v_or_b32_e32 v138, s15, v98
	v_dot4c_i32_i8 v163, v42, v139
	v_dot4c_i32_i8 v164, v192, v139
	;; [unrolled: 1-line block ×4, first 2 shown]
	v_lshlrev_b32_e32 v69, 2, v138
	ds_read_b128 v[181:184], v69 offset:33328
	ds_read_b128 v[210:213], v69 offset:33312
	v_dot4c_i32_i8 v163, v189, v140
	v_dot4c_i32_i8 v164, v193, v140
	;; [unrolled: 1-line block ×4, first 2 shown]
	v_mov_b32_e32 v140, 0
	v_dot4c_i32_i8 v163, v190, v141
	v_dot4c_i32_i8 v164, v194, v141
	;; [unrolled: 1-line block ×4, first 2 shown]
	v_mov_b32_e32 v141, 0
	v_mov_b32_e32 v139, 0
	s_waitcnt lgkmcnt(1)
	v_dot4c_i32_i8 v140, v41, v181
	v_dot4c_i32_i8 v143, v191, v181
	;; [unrolled: 1-line block ×16, first 2 shown]
	ds_read_b128 v[181:184], v203 offset:33328
	ds_read2_b32 v[236:237], v116 offset0:8 offset1:9
	ds_read2_b32 v[238:239], v116 offset0:10 offset1:11
	;; [unrolled: 1-line block ×8, first 2 shown]
	s_waitcnt lgkmcnt(8)
	v_dot4c_i32_i8 v158, v41, v181
	v_dot4c_i32_i8 v159, v191, v181
	v_mov_b32_e32 v191, 0
	v_mov_b32_e32 v41, 0
	v_dot4c_i32_i8 v158, v42, v182
	v_dot4c_i32_i8 v159, v192, v182
	v_mov_b32_e32 v192, 0
	s_waitcnt lgkmcnt(4)
	v_dot4c_i32_i8 v191, v242, v173
	v_dot4c_i32_i8 v41, v199, v181
	;; [unrolled: 1-line block ×3, first 2 shown]
	v_mov_b32_e32 v189, 0
	s_waitcnt lgkmcnt(2)
	v_dot4c_i32_i8 v192, v246, v173
	v_dot4c_i32_i8 v191, v243, v174
	;; [unrolled: 1-line block ×4, first 2 shown]
	v_mov_b32_e32 v190, 0
	v_dot4c_i32_i8 v189, v236, v173
	v_dot4c_i32_i8 v192, v247, v174
	v_dot4c_i32_i8 v191, v230, v175
	v_dot4c_i32_i8 v41, v201, v183
	s_waitcnt lgkmcnt(1)
	v_dot4c_i32_i8 v190, v248, v173
	v_dot4c_i32_i8 v189, v237, v174
	;; [unrolled: 1-line block ×8, first 2 shown]
	v_mov_b32_e32 v202, 0
	v_mov_b32_e32 v201, 0
	v_dot4c_i32_i8 v190, v234, v175
	v_dot4c_i32_i8 v189, v239, v176
	v_mov_b32_e32 v42, 0
	v_mov_b32_e32 v199, 0
	;; [unrolled: 1-line block ×3, first 2 shown]
	v_dot4c_i32_i8 v190, v235, v176
	ds_read_b128 v[173:176], v45 offset:33312
	ds_read_b128 v[214:217], v45 offset:33296
	v_dot4c_i32_i8 v42, v195, v181
	v_dot4c_i32_i8 v159, v193, v183
	v_mov_b32_e32 v195, 0
	v_mov_b32_e32 v193, 0
	;; [unrolled: 1-line block ×3, first 2 shown]
	v_dot4c_i32_i8 v42, v196, v182
	v_dot4c_i32_i8 v159, v194, v184
	v_mov_b32_e32 v196, 0
	v_mov_b32_e32 v194, 0
	;; [unrolled: 1-line block ×3, first 2 shown]
	v_dot4c_i32_i8 v42, v197, v183
	v_mov_b32_e32 v197, 0
	v_mov_b32_e32 v183, 0
	v_dot4c_i32_i8 v181, v248, v177
	v_dot4c_i32_i8 v182, v246, v177
	;; [unrolled: 1-line block ×3, first 2 shown]
	v_mov_b32_e32 v198, 0
	v_mov_b32_e32 v184, 0
	s_waitcnt lgkmcnt(1)
	v_dot4c_i32_i8 v206, v236, v173
	v_dot4c_i32_i8 v204, v242, v173
	;; [unrolled: 1-line block ×19, first 2 shown]
	ds_read_b128 v[173:176], v208 offset:33312
	ds_read_b128 v[218:221], v208 offset:33296
	v_dot4c_i32_i8 v183, v243, v178
	v_dot4c_i32_i8 v182, v247, v178
	;; [unrolled: 1-line block ×4, first 2 shown]
	v_mov_b32_e32 v178, 0
	v_dot4c_i32_i8 v183, v230, v179
	v_dot4c_i32_i8 v182, v232, v179
	;; [unrolled: 1-line block ×4, first 2 shown]
	v_mov_b32_e32 v179, 0
	v_dot4c_i32_i8 v183, v231, v180
	v_dot4c_i32_i8 v182, v233, v180
	;; [unrolled: 1-line block ×3, first 2 shown]
	v_mov_b32_e32 v180, 0
	v_mov_b32_e32 v177, 0
	v_dot4c_i32_i8 v179, v242, v185
	v_dot4c_i32_i8 v178, v246, v185
	s_waitcnt lgkmcnt(1)
	v_dot4c_i32_i8 v199, v236, v173
	v_dot4c_i32_i8 v200, v242, v173
	;; [unrolled: 1-line block ×19, first 2 shown]
	ds_read_b128 v[173:176], v209 offset:33312
	ds_read_b128 v[222:225], v209 offset:33296
	v_dot4c_i32_i8 v179, v243, v186
	v_dot4c_i32_i8 v178, v247, v186
	;; [unrolled: 1-line block ×4, first 2 shown]
	v_mov_b32_e32 v186, 0
	v_dot4c_i32_i8 v179, v230, v187
	v_dot4c_i32_i8 v178, v232, v187
	;; [unrolled: 1-line block ×4, first 2 shown]
	v_mov_b32_e32 v187, 0
	v_dot4c_i32_i8 v179, v231, v188
	v_dot4c_i32_i8 v178, v233, v188
	;; [unrolled: 1-line block ×3, first 2 shown]
	v_mov_b32_e32 v188, 0
	v_mov_b32_e32 v185, 0
	s_waitcnt lgkmcnt(1)
	v_dot4c_i32_i8 v195, v236, v173
	v_dot4c_i32_i8 v196, v242, v173
	v_dot4c_i32_i8 v194, v246, v173
	v_dot4c_i32_i8 v193, v248, v173
	v_mov_b32_e32 v173, 0
	v_dot4c_i32_i8 v195, v237, v174
	v_dot4c_i32_i8 v196, v243, v174
	v_dot4c_i32_i8 v194, v247, v174
	v_dot4c_i32_i8 v193, v249, v174
	v_mov_b32_e32 v174, 0
	;; [unrolled: 5-line block ×4, first 2 shown]
	v_dot4c_i32_i8 v175, v242, v210
	v_dot4c_i32_i8 v174, v246, v210
	;; [unrolled: 1-line block ×16, first 2 shown]
	ds_read_b128 v[210:213], v203 offset:33312
	ds_read_b128 v[226:229], v203 offset:33296
	s_waitcnt lgkmcnt(1)
	v_dot4c_i32_i8 v186, v236, v210
	v_dot4c_i32_i8 v188, v242, v210
	;; [unrolled: 1-line block ×16, first 2 shown]
	ds_read2_b32 v[238:239], v116 offset0:4 offset1:5
	ds_read_b128 v[210:213], v118 offset:33296
	ds_read_b128 v[230:233], v118 offset:33280
	ds_read2_b32 v[242:243], v117 offset0:4 offset1:5
	ds_read2_b32 v[117:118], v117 offset0:2 offset1:3
	;; [unrolled: 1-line block ×7, first 2 shown]
	s_waitcnt lgkmcnt(9)
	v_dot4c_i32_i8 v75, v238, v214
	s_waitcnt lgkmcnt(8)
	v_dot4c_i32_i8 v70, v238, v210
	;; [unrolled: 2-line block ×5, first 2 shown]
	v_dot4c_i32_i8 v38, v242, v214
	v_dot4c_i32_i8 v0, v246, v214
	;; [unrolled: 1-line block ×27, first 2 shown]
	ds_read_b128 v[210:213], v47 offset:33296
	ds_read_b128 v[214:217], v47 offset:33280
	v_mov_b32_e32 v47, 0
	v_dot4c_i32_i8 v53, v238, v218
	v_dot4c_i32_i8 v55, v242, v218
	;; [unrolled: 1-line block ×17, first 2 shown]
	s_waitcnt lgkmcnt(1)
	v_dot4c_i32_i8 v50, v238, v210
	v_dot4c_i32_i8 v47, v242, v210
	;; [unrolled: 1-line block ×19, first 2 shown]
	ds_read_b128 v[210:213], v48 offset:33296
	ds_read_b128 v[218:221], v48 offset:33280
	v_dot4c_i32_i8 v63, v239, v223
	v_dot4c_i32_i8 v67, v243, v223
	;; [unrolled: 1-line block ×4, first 2 shown]
	v_mov_b32_e32 v48, 0
	v_dot4c_i32_i8 v63, v240, v224
	v_dot4c_i32_i8 v67, v244, v224
	v_dot4c_i32_i8 v68, v248, v224
	v_dot4c_i32_i8 v1, v250, v224
	v_dot4c_i32_i8 v63, v241, v225
	v_dot4c_i32_i8 v67, v245, v225
	v_dot4c_i32_i8 v68, v249, v225
	v_dot4c_i32_i8 v1, v251, v225
	ds_read_b128 v[222:225], v69 offset:33296
	ds_read_b128 v[234:237], v69 offset:33280
	v_mov_b32_e32 v69, 0
	s_waitcnt lgkmcnt(3)
	v_dot4c_i32_i8 v58, v238, v210
	v_dot4c_i32_i8 v48, v242, v210
	v_dot4c_i32_i8 v59, v246, v210
	v_dot4c_i32_i8 v61, v254, v210
	v_mov_b32_e32 v210, 0
	v_dot4c_i32_i8 v58, v239, v211
	v_dot4c_i32_i8 v48, v243, v211
	v_dot4c_i32_i8 v59, v247, v211
	v_dot4c_i32_i8 v61, v255, v211
	v_mov_b32_e32 v211, 0
	;; [unrolled: 5-line block ×4, first 2 shown]
	s_waitcnt lgkmcnt(1)
	v_dot4c_i32_i8 v212, v238, v222
	v_dot4c_i32_i8 v211, v246, v222
	;; [unrolled: 1-line block ×5, first 2 shown]
	v_mov_b32_e32 v238, 0
	v_dot4c_i32_i8 v212, v239, v223
	v_dot4c_i32_i8 v211, v247, v223
	;; [unrolled: 1-line block ×6, first 2 shown]
	v_mov_b32_e32 v239, 0
	v_mov_b32_e32 v242, 0
	v_dot4c_i32_i8 v212, v240, v224
	v_dot4c_i32_i8 v213, v244, v224
	;; [unrolled: 1-line block ×13, first 2 shown]
	ds_read2_b32 v[222:223], v116 offset1:1
	ds_read2_b32 v[224:225], v205 offset1:1
	;; [unrolled: 1-line block ×3, first 2 shown]
	v_dot4c_i32_i8 v69, v240, v228
	v_dot4c_i32_i8 v238, v244, v228
	;; [unrolled: 1-line block ×4, first 2 shown]
	v_mov_b32_e32 v240, 0
	v_dot4c_i32_i8 v69, v241, v229
	v_mov_b32_e32 v241, 0
	v_mov_b32_e32 v243, 0
	;; [unrolled: 1-line block ×3, first 2 shown]
	v_dot4c_i32_i8 v238, v245, v229
	v_dot4c_i32_i8 v239, v249, v229
	v_dot4c_i32_i8 v242, v251, v229
	v_dot4c_i32_i8 v241, v43, v230
	ds_read2_b32 v[228:229], v116 offset0:2 offset1:3
	v_mov_b32_e32 v205, 0
	v_mov_b32_e32 v207, 0
	;; [unrolled: 1-line block ×3, first 2 shown]
	s_waitcnt lgkmcnt(3)
	v_dot4c_i32_i8 v240, v222, v230
	s_waitcnt lgkmcnt(2)
	v_dot4c_i32_i8 v243, v224, v230
	;; [unrolled: 2-line block ×3, first 2 shown]
	v_dot4c_i32_i8 v241, v44, v231
	v_mov_b32_e32 v230, 0
	v_dot4c_i32_i8 v240, v223, v231
	v_dot4c_i32_i8 v243, v225, v231
	;; [unrolled: 1-line block ×3, first 2 shown]
	v_mov_b32_e32 v231, 0
	v_dot4c_i32_i8 v205, v222, v34
	v_dot4c_i32_i8 v207, v43, v34
	;; [unrolled: 1-line block ×8, first 2 shown]
	s_waitcnt lgkmcnt(0)
	v_dot4c_i32_i8 v240, v228, v232
	v_dot4c_i32_i8 v231, v227, v35
	;; [unrolled: 1-line block ×16, first 2 shown]
	v_mov_b32_e32 v232, 0
	v_mov_b32_e32 v233, 0
	;; [unrolled: 1-line block ×3, first 2 shown]
	ds_read_b128 v[34:37], v208 offset:33280
	v_dot4c_i32_i8 v245, v224, v214
	v_dot4c_i32_i8 v232, v222, v214
	v_dot4c_i32_i8 v233, v43, v214
	v_dot4c_i32_i8 v246, v226, v214
	v_mov_b32_e32 v214, 0
	v_dot4c_i32_i8 v245, v225, v215
	v_dot4c_i32_i8 v232, v223, v215
	v_dot4c_i32_i8 v233, v44, v215
	v_dot4c_i32_i8 v246, v227, v215
	v_mov_b32_e32 v208, 0
	;; [unrolled: 5-line block ×3, first 2 shown]
	v_mov_b32_e32 v216, 0
	v_dot4c_i32_i8 v232, v229, v217
	v_dot4c_i32_i8 v233, v118, v217
	;; [unrolled: 1-line block ×3, first 2 shown]
	s_waitcnt lgkmcnt(0)
	v_dot4c_i32_i8 v214, v222, v34
	v_dot4c_i32_i8 v208, v43, v34
	;; [unrolled: 1-line block ×9, first 2 shown]
	v_mov_b32_e32 v217, 0
	v_dot4c_i32_i8 v214, v228, v36
	v_dot4c_i32_i8 v208, v117, v36
	;; [unrolled: 1-line block ×4, first 2 shown]
	v_mov_b32_e32 v247, 0
	v_dot4c_i32_i8 v214, v229, v37
	v_dot4c_i32_i8 v208, v118, v37
	;; [unrolled: 1-line block ×4, first 2 shown]
	v_mov_b32_e32 v248, 0
	v_mov_b32_e32 v249, 0
	ds_read_b128 v[34:37], v209 offset:33280
	v_dot4c_i32_i8 v217, v222, v218
	v_dot4c_i32_i8 v247, v43, v218
	v_dot4c_i32_i8 v248, v224, v218
	v_dot4c_i32_i8 v249, v226, v218
	v_mov_b32_e32 v218, 0
	v_dot4c_i32_i8 v217, v223, v219
	v_dot4c_i32_i8 v247, v44, v219
	v_dot4c_i32_i8 v248, v225, v219
	v_dot4c_i32_i8 v249, v227, v219
	v_mov_b32_e32 v209, 0
	;; [unrolled: 5-line block ×3, first 2 shown]
	v_mov_b32_e32 v220, 0
	v_dot4c_i32_i8 v217, v229, v221
	v_dot4c_i32_i8 v247, v118, v221
	v_dot4c_i32_i8 v248, v253, v221
	s_waitcnt lgkmcnt(0)
	v_dot4c_i32_i8 v218, v222, v34
	v_dot4c_i32_i8 v209, v43, v34
	;; [unrolled: 1-line block ×9, first 2 shown]
	v_mov_b32_e32 v221, 0
	v_dot4c_i32_i8 v218, v228, v36
	v_dot4c_i32_i8 v209, v117, v36
	;; [unrolled: 1-line block ×4, first 2 shown]
	v_mov_b32_e32 v250, 0
	v_dot4c_i32_i8 v218, v229, v37
	v_dot4c_i32_i8 v209, v118, v37
	v_dot4c_i32_i8 v219, v253, v37
	v_dot4c_i32_i8 v220, v46, v37
	ds_read_b128 v[34:37], v203 offset:33280
	v_mov_b32_e32 v251, 0
	v_mov_b32_e32 v254, 0
	v_dot4c_i32_i8 v221, v222, v234
	v_dot4c_i32_i8 v250, v43, v234
	v_lshlrev_b32_e32 v116, 2, v74
	v_dot4c_i32_i8 v251, v224, v234
	v_dot4c_i32_i8 v254, v226, v234
	v_mov_b32_e32 v234, 0
	v_dot4c_i32_i8 v221, v223, v235
	v_dot4c_i32_i8 v250, v44, v235
	;; [unrolled: 1-line block ×9, first 2 shown]
	s_waitcnt lgkmcnt(0)
	v_dot4c_i32_i8 v234, v222, v34
	v_mov_b32_e32 v222, 0
	v_dot4c_i32_i8 v254, v46, v237
	v_dot4c_i32_i8 v250, v118, v237
	;; [unrolled: 1-line block ×4, first 2 shown]
	v_mov_b32_e32 v223, 0
	v_dot4c_i32_i8 v222, v43, v34
	v_dot4c_i32_i8 v234, v228, v36
	;; [unrolled: 1-line block ×3, first 2 shown]
	v_mov_b32_e32 v224, 0
	v_dot4c_i32_i8 v222, v44, v35
	v_dot4c_i32_i8 v234, v229, v37
	;; [unrolled: 1-line block ×4, first 2 shown]
	v_lshrrev_b32_e32 v34, 1, v115
	v_lshlrev_b32_e32 v115, 2, v77
	v_dot4c_i32_i8 v222, v117, v36
	v_dot4c_i32_i8 v223, v252, v36
	;; [unrolled: 1-line block ×3, first 2 shown]
	v_lshlrev_b32_e32 v117, 2, v86
	v_add3_u32 v35, s14, v115, v116
	ds_read_b32 v43, v35
	ds_read_b64 v[34:35], v34 offset:43584
	v_dot4c_i32_i8 v224, v45, v36
	v_dot4c_i32_i8 v222, v118, v37
	;; [unrolled: 1-line block ×3, first 2 shown]
	v_lshlrev_b32_e32 v118, 2, v87
	v_dot4c_i32_i8 v224, v46, v37
	s_waitcnt lgkmcnt(1)
	v_bfe_i32 v225, v43, 8, 8
	v_bfe_i32 v226, v43, 0, 8
	;; [unrolled: 1-line block ×3, first 2 shown]
	v_mul_lo_u32 v36, v75, v225
	v_ashrrev_i32_e32 v75, 24, v43
	v_mad_u64_u32 v[36:37], null, v205, v226, v[36:37]
	v_mul_lo_u32 v37, v172, v75
	v_mad_u64_u32 v[43:44], null, v206, v227, v[37:38]
	v_add3_u32 v37, s14, v117, v112
	ds_read_b32 v46, v37
	v_cvt_f32_i32_e32 v43, v43
	s_waitcnt lgkmcnt(0)
	v_bfe_i32 v206, v46, 8, 8
	v_bfe_i32 v228, v46, 0, 8
	v_mul_lo_u32 v37, v38, v206
	v_mad_u64_u32 v[44:45], null, v207, v228, v[37:38]
	v_ashrrev_i32_e32 v38, 24, v46
	v_bfe_i32 v207, v46, 16, 8
	v_mul_lo_u32 v37, v171, v38
	v_cvt_f32_i32_e32 v44, v44
	v_mad_u64_u32 v[45:46], null, v204, v207, v[37:38]
	v_add3_u32 v37, s14, v118, v113
	ds_read_b32 v46, v37
	v_cvt_f32_i32_e32 v45, v45
	s_waitcnt lgkmcnt(0)
	v_bfe_i32 v229, v46, 8, 8
	v_bfe_i32 v235, v46, 0, 8
	v_mul_lo_u32 v37, v0, v229
	v_ashrrev_i32_e32 v0, 24, v46
	v_mad_u64_u32 v[171:172], null, v230, v235, v[37:38]
	v_mul_lo_u32 v37, v119, v0
	v_bfe_i32 v230, v46, 16, 8
	v_lshlrev_b32_e32 v119, 2, v88
	v_mad_u64_u32 v[202:203], null, v202, v230, v[37:38]
	v_add3_u32 v37, s14, v119, v114
	s_mov_b32 s14, 8
	ds_read_b32 v46, v37
	s_waitcnt lgkmcnt(0)
	v_bfe_i32 v236, v46, 8, 8
	v_bfe_i32 v237, v46, 0, 8
	v_mul_lo_u32 v37, v65, v236
	v_ashrrev_i32_e32 v65, 24, v46
	v_mad_u64_u32 v[203:204], null, v231, v237, v[37:38]
	v_mul_lo_u32 v37, v170, v65
	v_bfe_i32 v231, v46, 16, 8
	v_cvt_f32_i32_e32 v46, v36
	v_lshrrev_b32_e32 v36, 1, v165
	v_cvt_f32_i32_e32 v170, v171
	v_cvt_f32_i32_e32 v171, v202
	;; [unrolled: 1-line block ×3, first 2 shown]
	v_mad_u64_u32 v[204:205], null, v201, v231, v[37:38]
	ds_read_b64 v[36:37], v36 offset:43584
	v_cvt_f32_i32_e32 v201, v204
	s_waitcnt lgkmcnt(0)
	v_fma_f32 v165, v36, v46, 0
	v_fma_f32 v202, v36, v44, 0
	;; [unrolled: 1-line block ×4, first 2 shown]
	v_mul_lo_u32 v36, v240, v226
	v_fmac_f32_e32 v165, v37, v43
	v_fmac_f32_e32 v202, v37, v45
	;; [unrolled: 1-line block ×6, first 2 shown]
	v_mad_u64_u32 v[36:37], null, v70, v225, v[36:37]
	v_mul_lo_u32 v37, v189, v227
	v_fmac_f32_e32 v26, v123, v203
	v_fmac_f32_e32 v22, v124, v204
	v_cvt_f32_i32_e32 v36, v36
	v_mad_u64_u32 v[43:44], null, v137, v75, v[37:38]
	v_mul_lo_u32 v37, v241, v228
	v_mad_u64_u32 v[44:45], null, v71, v206, v[37:38]
	v_mul_lo_u32 v37, v191, v207
	;; [unrolled: 2-line block ×4, first 2 shown]
	v_fma_f32 v72, v34, v36, 0
	v_mad_u64_u32 v[154:155], null, v155, v0, v[37:38]
	v_mul_lo_u32 v37, v244, v237
	v_cvt_f32_i32_e32 v46, v154
	v_mad_u64_u32 v[171:172], null, v73, v236, v[37:38]
	v_mul_lo_u32 v37, v190, v231
	v_cvt_f32_i32_e32 v70, v171
	v_mad_u64_u32 v[155:156], null, v156, v65, v[37:38]
	v_cvt_f32_i32_e32 v37, v43
	v_cvt_f32_i32_e32 v43, v44
	;; [unrolled: 1-line block ×4, first 2 shown]
	v_fma_f32 v70, v34, v70, 0
	v_fmac_f32_e32 v72, v35, v37
	v_fma_f32 v73, v34, v43, 0
	v_cvt_f32_i32_e32 v71, v155
	v_fma_f32 v137, v34, v45, 0
	v_mul_lo_u32 v34, v53, v225
	v_fma_f32 v19, v125, v72, v19
	v_fmac_f32_e32 v73, v35, v44
	v_fmac_f32_e32 v70, v35, v71
	;; [unrolled: 1-line block ×3, first 2 shown]
	v_fma_f32 v31, v128, v73, v31
	v_mad_u64_u32 v[34:35], null, v214, v226, v[34:35]
	v_mul_lo_u32 v35, v168, v75
	v_fma_f32 v27, v131, v137, v27
	v_fma_f32 v23, v134, v70, v23
	v_mad_u64_u32 v[35:36], null, v199, v227, v[35:36]
	v_mul_lo_u32 v36, v55, v206
	v_mad_u64_u32 v[36:37], null, v208, v228, v[36:37]
	v_mul_lo_u32 v37, v169, v38
	v_cvt_f32_i32_e32 v36, v36
	v_mad_u64_u32 v[43:44], null, v200, v207, v[37:38]
	v_mul_lo_u32 v37, v56, v229
	v_cvt_f32_i32_e32 v43, v43
	;; [unrolled: 3-line block ×4, first 2 shown]
	v_cvt_f32_i32_e32 v45, v45
	v_mad_u64_u32 v[154:155], null, v216, v237, v[37:38]
	v_mul_lo_u32 v37, v166, v65
	v_cvt_f32_i32_e32 v53, v154
	v_mad_u64_u32 v[155:156], null, v197, v231, v[37:38]
	v_cvt_f32_i32_e32 v37, v34
	v_lshrrev_b32_e32 v34, 1, v162
	ds_read_b64 v[34:35], v34 offset:43584
	v_cvt_f32_i32_e32 v55, v155
	s_waitcnt lgkmcnt(0)
	v_fma_f32 v56, v34, v37, 0
	v_fma_f32 v57, v34, v36, 0
	;; [unrolled: 1-line block ×4, first 2 shown]
	v_mul_lo_u32 v34, v232, v226
	v_fmac_f32_e32 v56, v35, v46
	v_fmac_f32_e32 v57, v35, v43
	;; [unrolled: 1-line block ×4, first 2 shown]
	v_fma_f32 v20, v126, v56, v20
	v_fma_f32 v32, v129, v57, v32
	v_mad_u64_u32 v[34:35], null, v50, v225, v[34:35]
	v_mul_lo_u32 v35, v184, v227
	v_fma_f32 v28, v132, v71, v28
	v_fma_f32 v24, v135, v53, v24
	v_mad_u64_u32 v[35:36], null, v151, v75, v[35:36]
	v_mul_lo_u32 v36, v233, v228
	v_mad_u64_u32 v[36:37], null, v47, v206, v[36:37]
	v_mul_lo_u32 v37, v183, v207
	v_cvt_f32_i32_e32 v36, v36
	v_mad_u64_u32 v[43:44], null, v153, v38, v[37:38]
	v_mul_lo_u32 v37, v245, v235
	v_cvt_f32_i32_e32 v43, v43
	;; [unrolled: 3-line block ×4, first 2 shown]
	v_cvt_f32_i32_e32 v45, v45
	v_mad_u64_u32 v[151:152], null, v52, v236, v[37:38]
	v_mul_lo_u32 v37, v181, v231
	v_cvt_f32_i32_e32 v47, v151
	v_mad_u64_u32 v[152:153], null, v150, v65, v[37:38]
	v_cvt_f32_i32_e32 v37, v34
	v_lshrrev_b32_e32 v34, 1, v147
	ds_read_b64 v[34:35], v34 offset:43584
	v_cvt_f32_i32_e32 v50, v152
	s_waitcnt lgkmcnt(0)
	v_fma_f32 v51, v34, v37, 0
	v_fma_f32 v52, v34, v36, 0
	v_fma_f32 v55, v34, v44, 0
	v_fma_f32 v47, v34, v47, 0
	v_mul_lo_u32 v34, v63, v225
	v_fmac_f32_e32 v51, v35, v46
	v_fmac_f32_e32 v52, v35, v43
	;; [unrolled: 1-line block ×4, first 2 shown]
	v_fma_f32 v21, v127, v51, v21
	v_fma_f32 v33, v130, v52, v33
	v_mad_u64_u32 v[34:35], null, v218, v226, v[34:35]
	v_mul_lo_u32 v35, v163, v75
	v_fma_f32 v29, v133, v55, v29
	v_fma_f32 v25, v136, v47, v25
	v_mad_u64_u32 v[35:36], null, v195, v227, v[35:36]
	v_mul_lo_u32 v36, v67, v206
	v_mad_u64_u32 v[36:37], null, v209, v228, v[36:37]
	v_mul_lo_u32 v37, v164, v38
	v_cvt_f32_i32_e32 v36, v36
	v_mad_u64_u32 v[43:44], null, v196, v207, v[37:38]
	v_mul_lo_u32 v37, v68, v229
	v_cvt_f32_i32_e32 v43, v43
	v_mad_u64_u32 v[44:45], null, v219, v235, v[37:38]
	v_mul_lo_u32 v37, v161, v0
	v_cvt_f32_i32_e32 v44, v44
	v_mad_u64_u32 v[45:46], null, v194, v230, v[37:38]
	v_mul_lo_u32 v37, v1, v236
	v_cvt_f32_i32_e32 v1, v34
	v_lshrrev_b32_e32 v34, 1, v157
	v_cvt_f32_i32_e32 v45, v45
	v_mad_u64_u32 v[150:151], null, v220, v237, v[37:38]
	v_mul_lo_u32 v37, v160, v65
	v_cvt_f32_i32_e32 v46, v150
	v_mad_u64_u32 v[151:152], null, v193, v231, v[37:38]
	v_cvt_f32_i32_e32 v37, v35
	ds_read_b64 v[34:35], v34 offset:43584
	v_cvt_f32_i32_e32 v50, v151
	s_waitcnt lgkmcnt(0)
	v_fma_f32 v1, v34, v1, 0
	v_fma_f32 v63, v34, v36, 0
	;; [unrolled: 1-line block ×4, first 2 shown]
	v_mul_lo_u32 v34, v217, v226
	v_fmac_f32_e32 v1, v35, v37
	v_fmac_f32_e32 v63, v35, v43
	;; [unrolled: 1-line block ×6, first 2 shown]
	v_mad_u64_u32 v[34:35], null, v58, v225, v[34:35]
	v_mul_lo_u32 v35, v180, v227
	v_fmac_f32_e32 v6, v123, v67
	v_fmac_f32_e32 v2, v124, v68
	v_mad_u64_u32 v[35:36], null, v145, v75, v[35:36]
	v_mul_lo_u32 v36, v247, v228
	v_mad_u64_u32 v[36:37], null, v48, v206, v[36:37]
	v_mul_lo_u32 v37, v179, v207
	v_cvt_f32_i32_e32 v36, v36
	v_mad_u64_u32 v[43:44], null, v148, v38, v[37:38]
	v_mul_lo_u32 v37, v248, v235
	v_cvt_f32_i32_e32 v43, v43
	;; [unrolled: 3-line block ×4, first 2 shown]
	v_cvt_f32_i32_e32 v45, v45
	v_mad_u64_u32 v[145:146], null, v61, v236, v[37:38]
	v_mul_lo_u32 v37, v177, v231
	v_cvt_f32_i32_e32 v48, v145
	v_mad_u64_u32 v[146:147], null, v144, v65, v[37:38]
	v_cvt_f32_i32_e32 v37, v34
	v_lshrrev_b32_e32 v34, 1, v142
	ds_read_b64 v[34:35], v34 offset:43584
	v_cvt_f32_i32_e32 v50, v146
	s_waitcnt lgkmcnt(0)
	v_fma_f32 v58, v34, v37, 0
	v_fma_f32 v59, v34, v36, 0
	v_fma_f32 v61, v34, v44, 0
	v_fma_f32 v48, v34, v48, 0
	v_mul_lo_u32 v34, v69, v225
	v_fmac_f32_e32 v58, v35, v46
	v_fmac_f32_e32 v59, v35, v43
	;; [unrolled: 1-line block ×4, first 2 shown]
	v_fma_f32 v15, v125, v58, v15
	v_fma_f32 v11, v128, v59, v11
	v_mad_u64_u32 v[34:35], null, v234, v226, v[34:35]
	v_mul_lo_u32 v35, v158, v75
	v_fma_f32 v7, v131, v61, v7
	v_fma_f32 v3, v134, v48, v3
	v_mad_u64_u32 v[35:36], null, v186, v227, v[35:36]
	v_mul_lo_u32 v36, v238, v206
	v_mad_u64_u32 v[36:37], null, v222, v228, v[36:37]
	v_mul_lo_u32 v37, v159, v38
	v_cvt_f32_i32_e32 v36, v36
	v_mad_u64_u32 v[43:44], null, v188, v207, v[37:38]
	v_mul_lo_u32 v37, v239, v229
	v_cvt_f32_i32_e32 v43, v43
	;; [unrolled: 3-line block ×5, first 2 shown]
	v_mad_u64_u32 v[41:42], null, v185, v231, v[37:38]
	v_cvt_f32_i32_e32 v37, v34
	v_lshrrev_b32_e32 v34, 1, v149
	v_cvt_f32_i32_e32 v42, v35
	ds_read_b64 v[34:35], v34 offset:43584
	v_cvt_f32_i32_e32 v41, v41
	s_waitcnt lgkmcnt(0)
	v_fma_f32 v50, v34, v37, 0
	v_fma_f32 v69, v34, v36, 0
	;; [unrolled: 1-line block ×4, first 2 shown]
	v_mul_lo_u32 v34, v221, v226
	v_fmac_f32_e32 v50, v35, v42
	v_fmac_f32_e32 v69, v35, v43
	;; [unrolled: 1-line block ×4, first 2 shown]
	v_fma_f32 v16, v126, v50, v16
	v_fma_f32 v12, v129, v69, v12
	v_mad_u64_u32 v[34:35], null, v212, v225, v[34:35]
	v_mul_lo_u32 v35, v176, v227
	v_fma_f32 v8, v132, v142, v8
	v_fma_f32 v4, v135, v144, v4
	v_mad_u64_u32 v[35:36], null, v140, v75, v[35:36]
	v_mul_lo_u32 v36, v250, v228
	v_mad_u64_u32 v[36:37], null, v213, v206, v[36:37]
	v_mul_lo_u32 v37, v175, v207
	v_cvt_f32_i32_e32 v36, v36
	v_mad_u64_u32 v[41:42], null, v143, v38, v[37:38]
	v_mul_lo_u32 v37, v251, v235
	v_mad_u64_u32 v[42:43], null, v211, v229, v[37:38]
	v_mul_lo_u32 v37, v174, v230
	;; [unrolled: 2-line block ×3, first 2 shown]
	v_cvt_f32_i32_e32 v0, v34
	v_lshrrev_b32_e32 v34, 1, v138
	v_mad_u64_u32 v[44:45], null, v210, v236, v[37:38]
	v_mul_lo_u32 v37, v173, v231
	v_mad_u64_u32 v[45:46], null, v139, v65, v[37:38]
	v_cvt_f32_i32_e32 v37, v35
	ds_read_b64 v[34:35], v34 offset:43584
	v_cvt_f32_i32_e32 v38, v41
	v_cvt_f32_i32_e32 v41, v42
	;; [unrolled: 1-line block ×5, first 2 shown]
	s_waitcnt lgkmcnt(0)
	v_fma_f32 v0, v34, v0, 0
	v_fma_f32 v36, v34, v36, 0
	v_fmac_f32_e32 v0, v35, v37
	v_fma_f32 v37, v34, v41, 0
	v_fma_f32 v34, v34, v43, 0
	v_fmac_f32_e32 v36, v35, v38
	v_fma_f32 v17, v127, v0, v17
	v_fmac_f32_e32 v37, v35, v42
	v_fmac_f32_e32 v34, v35, v44
	v_fma_f32 v13, v130, v36, v13
	v_fma_f32 v9, v133, v37, v9
	;; [unrolled: 1-line block ×3, first 2 shown]
	s_cbranch_vccnz .LBB175_6
; %bb.7:                                ;   in Loop: Header=BB175_5 Depth=1
	v_add_nc_u32_e32 v0, s0, v86
	s_barrier
	buffer_gl0_inv
	buffer_load_dword v47, off, s[20:23], 0 ; 4-byte Folded Reload
	v_add_nc_u32_e32 v1, v0, v78
	v_add_nc_u32_e32 v38, v0, v80
	;; [unrolled: 1-line block ×3, first 2 shown]
	v_mov_b32_e32 v85, v78
	v_mov_b32_e32 v89, v79
	v_mad_i64_i32 v[34:35], null, v1, 36, v[39:40]
	v_add_nc_u32_e32 v1, v0, v81
	v_mad_i64_i32 v[41:42], null, v38, 36, v[39:40]
	v_add_nc_u32_e32 v38, v0, v82
	v_mad_i64_i32 v[36:37], null, v36, 36, v[39:40]
	v_mad_i64_i32 v[43:44], null, v1, 36, v[39:40]
	v_add_nc_u32_e32 v1, 4, v120
	v_mad_i64_i32 v[45:46], null, v38, 36, v[39:40]
	v_add_nc_u32_e32 v38, v0, v84
	v_mov_b32_e32 v90, v80
	v_mad_u64_u32 v[120:121], null, v1, 36, s[2:3]
	buffer_load_dword v1, off, s[20:23], 0 offset:4 ; 4-byte Folded Reload
	v_mad_i64_i32 v[122:123], null, v38, 36, v[39:40]
	v_mov_b32_e32 v91, v81
	v_mov_b32_e32 v83, v82
	;; [unrolled: 1-line block ×4, first 2 shown]
	s_mov_b32 s0, 16
	s_waitcnt vmcnt(1)
	v_add_nc_u32_e32 v47, v0, v47
	v_mad_i64_i32 v[124:125], null, v47, 36, v[39:40]
	s_waitcnt vmcnt(0)
	v_add_nc_u32_e32 v0, v0, v1
	v_mad_i64_i32 v[126:127], null, v0, 36, v[39:40]
	s_clause 0x8
	global_load_dword v0, v[120:121], off
	global_load_dword v1, v[34:35], off offset:4
	global_load_dword v34, v[36:37], off offset:4
	;; [unrolled: 1-line block ×8, first 2 shown]
	s_waitcnt vmcnt(7)
	ds_write_b32 v104, v1
	s_waitcnt vmcnt(6)
	ds_write_b32 v105, v34
	;; [unrolled: 2-line block ×8, first 2 shown]
	v_cvt_f32_f16_e32 v0, v0
	ds_write_b32 v76, v0
	s_waitcnt lgkmcnt(0)
	s_barrier
	buffer_gl0_inv
	buffer_load_dword v0, off, s[20:23], 0 offset:8 ; 4-byte Folded Reload
	s_waitcnt vmcnt(0)
	ds_read_b32 v120, v0
	buffer_load_dword v0, off, s[20:23], 0 offset:12 ; 4-byte Folded Reload
	s_waitcnt lgkmcnt(0)
	v_mov_b32_e32 v124, v120
	v_mov_b32_e32 v125, v120
	v_mov_b32_e32 v126, v120
	s_waitcnt vmcnt(0)
	ds_read_b32 v121, v0 offset:128
	buffer_load_dword v0, off, s[20:23], 0 offset:16 ; 4-byte Folded Reload
	s_waitcnt lgkmcnt(0)
	v_mov_b32_e32 v127, v121
	v_mov_b32_e32 v128, v121
	v_mov_b32_e32 v129, v121
	s_waitcnt vmcnt(0)
	ds_read_b32 v122, v0 offset:256
	;; [unrolled: 7-line block ×3, first 2 shown]
	s_waitcnt lgkmcnt(0)
	v_mov_b32_e32 v133, v123
	v_mov_b32_e32 v134, v123
	;; [unrolled: 1-line block ×3, first 2 shown]
.LBB175_8:                              ;   Parent Loop BB175_5 Depth=1
                                        ; =>  This Inner Loop Header: Depth=2
	s_lshl_b32 s14, s0, 1
	s_lshl_b32 s1, s0, 3
	s_and_b32 s14, s14, 16
	v_add_nc_u32_e32 v138, s1, v100
	v_or_b32_e32 v137, s14, v49
	v_add_nc_u32_e32 v139, s1, v101
	v_add_nc_u32_e32 v209, s1, v102
	;; [unrolled: 1-line block ×3, first 2 shown]
	ds_read2_b32 v[41:42], v138 offset0:12 offset1:13
	v_lshlrev_b32_e32 v140, 2, v137
	v_or_b32_e32 v168, s14, v93
	v_mov_b32_e32 v136, 0
	ds_read2_b32 v[43:44], v139 offset1:1
	ds_read2_b32 v[45:46], v138 offset0:14 offset1:15
	ds_read_b128 v[141:144], v140 offset:33328
	ds_read_b128 v[177:180], v140 offset:33312
	ds_read2_b32 v[193:194], v139 offset0:12 offset1:13
	ds_read2_b32 v[195:196], v139 offset0:14 offset1:15
	;; [unrolled: 1-line block ×8, first 2 shown]
	v_lshlrev_b32_e32 v0, 2, v168
	ds_read2_b32 v[203:204], v210 offset0:14 offset1:15
	ds_read_b128 v[34:37], v0 offset:33280
	v_mov_b32_e32 v157, 0
	v_mov_b32_e32 v158, 0
	;; [unrolled: 1-line block ×7, first 2 shown]
	v_or_b32_e32 v150, s14, v94
	v_mov_b32_e32 v154, 0
	v_mov_b32_e32 v156, 0
	s_waitcnt lgkmcnt(11)
	v_dot4c_i32_i8 v136, v41, v141
	s_waitcnt lgkmcnt(9)
	v_dot4c_i32_i8 v157, v193, v141
	;; [unrolled: 2-line block ×4, first 2 shown]
	v_lshlrev_b32_e32 v1, 2, v150
	v_dot4c_i32_i8 v136, v42, v142
	v_dot4c_i32_i8 v157, v194, v142
	;; [unrolled: 1-line block ×4, first 2 shown]
	v_mov_b32_e32 v155, 0
	v_dot4c_i32_i8 v136, v45, v143
	v_dot4c_i32_i8 v157, v195, v143
	;; [unrolled: 1-line block ×3, first 2 shown]
	s_waitcnt lgkmcnt(1)
	v_dot4c_i32_i8 v159, v203, v143
	v_mov_b32_e32 v153, 0
	v_dot4c_i32_i8 v136, v46, v144
	v_dot4c_i32_i8 v157, v196, v144
	v_dot4c_i32_i8 v158, v200, v144
	v_dot4c_i32_i8 v159, v204, v144
	ds_read_b128 v[141:144], v0 offset:33328
	v_or_b32_e32 v165, s14, v95
	v_mov_b32_e32 v171, 0
	v_mov_b32_e32 v172, 0
	v_mov_b32_e32 v170, 0
	v_mov_b32_e32 v169, 0
	v_lshlrev_b32_e32 v212, 2, v165
	v_or_b32_e32 v145, s14, v96
	v_mov_b32_e32 v148, 0
	v_mov_b32_e32 v151, 0
	v_mov_b32_e32 v149, 0
	v_mov_b32_e32 v147, 0
	v_lshlrev_b32_e32 v38, 2, v145
	v_or_b32_e32 v160, s14, v97
	v_mov_b32_e32 v166, 0
	v_mov_b32_e32 v167, 0
	v_mov_b32_e32 v164, 0
	v_mov_b32_e32 v163, 0
	v_lshlrev_b32_e32 v213, 2, v160
	v_mov_b32_e32 v146, 0
	s_waitcnt lgkmcnt(0)
	v_dot4c_i32_i8 v176, v41, v141
	v_dot4c_i32_i8 v175, v193, v141
	;; [unrolled: 1-line block ×4, first 2 shown]
	v_or_b32_e32 v152, s14, v99
	v_dot4c_i32_i8 v176, v42, v142
	v_dot4c_i32_i8 v175, v194, v142
	;; [unrolled: 1-line block ×4, first 2 shown]
	v_lshlrev_b32_e32 v206, 2, v152
	v_dot4c_i32_i8 v176, v45, v143
	v_dot4c_i32_i8 v175, v195, v143
	;; [unrolled: 1-line block ×4, first 2 shown]
	v_mov_b32_e32 v161, 0
	v_dot4c_i32_i8 v176, v46, v144
	v_dot4c_i32_i8 v175, v196, v144
	;; [unrolled: 1-line block ×4, first 2 shown]
	ds_read_b128 v[141:144], v1 offset:33328
	ds_read_b128 v[181:184], v1 offset:33312
	v_mov_b32_e32 v162, 0
	v_mov_b32_e32 v211, 0
	;; [unrolled: 1-line block ×18, first 2 shown]
	s_waitcnt lgkmcnt(1)
	v_dot4c_i32_i8 v154, v41, v141
	v_dot4c_i32_i8 v156, v193, v141
	v_dot4c_i32_i8 v155, v197, v141
	v_dot4c_i32_i8 v153, v201, v141
	v_mov_b32_e32 v73, 0
	v_dot4c_i32_i8 v154, v42, v142
	v_dot4c_i32_i8 v156, v194, v142
	v_dot4c_i32_i8 v155, v198, v142
	v_dot4c_i32_i8 v153, v202, v142
	v_mov_b32_e32 v79, 0
	;; [unrolled: 5-line block ×3, first 2 shown]
	v_dot4c_i32_i8 v154, v46, v144
	v_dot4c_i32_i8 v156, v196, v144
	;; [unrolled: 1-line block ×4, first 2 shown]
	ds_read_b128 v[141:144], v212 offset:33328
	v_mov_b32_e32 v81, 0
	v_mov_b32_e32 v82, 0
	;; [unrolled: 1-line block ×5, first 2 shown]
	s_lshr_b32 s1, s0, 1
	s_add_i32 s1, s1, 0xa200
	s_waitcnt lgkmcnt(0)
	v_dot4c_i32_i8 v171, v41, v141
	v_dot4c_i32_i8 v172, v193, v141
	;; [unrolled: 1-line block ×16, first 2 shown]
	ds_read_b128 v[141:144], v38 offset:33328
	ds_read_b128 v[189:192], v38 offset:33312
	s_waitcnt lgkmcnt(1)
	v_dot4c_i32_i8 v148, v41, v141
	v_dot4c_i32_i8 v151, v193, v141
	;; [unrolled: 1-line block ×16, first 2 shown]
	ds_read_b128 v[141:144], v213 offset:33328
	s_waitcnt lgkmcnt(0)
	v_dot4c_i32_i8 v166, v41, v141
	v_dot4c_i32_i8 v167, v193, v141
	;; [unrolled: 1-line block ×4, first 2 shown]
	v_or_b32_e32 v141, s14, v98
	v_dot4c_i32_i8 v166, v42, v142
	v_dot4c_i32_i8 v167, v194, v142
	;; [unrolled: 1-line block ×4, first 2 shown]
	v_lshlrev_b32_e32 v50, 2, v141
	ds_read_b128 v[185:188], v50 offset:33328
	ds_read_b128 v[214:217], v50 offset:33312
	v_dot4c_i32_i8 v166, v45, v143
	v_dot4c_i32_i8 v167, v195, v143
	;; [unrolled: 1-line block ×4, first 2 shown]
	v_mov_b32_e32 v143, 0
	v_dot4c_i32_i8 v166, v46, v144
	v_dot4c_i32_i8 v167, v196, v144
	;; [unrolled: 1-line block ×4, first 2 shown]
	v_mov_b32_e32 v144, 0
	v_mov_b32_e32 v142, 0
	s_waitcnt lgkmcnt(1)
	v_dot4c_i32_i8 v143, v41, v185
	v_dot4c_i32_i8 v146, v193, v185
	;; [unrolled: 1-line block ×16, first 2 shown]
	ds_read_b128 v[185:188], v206 offset:33328
	s_waitcnt lgkmcnt(0)
	v_dot4c_i32_i8 v161, v41, v185
	v_dot4c_i32_i8 v162, v193, v185
	v_mov_b32_e32 v193, 0
	v_mov_b32_e32 v41, 0
	v_dot4c_i32_i8 v161, v42, v186
	v_dot4c_i32_i8 v162, v194, v186
	v_mov_b32_e32 v194, 0
	v_dot4c_i32_i8 v41, v201, v185
	v_mov_b32_e32 v201, 0
	v_dot4c_i32_i8 v161, v45, v187
	v_dot4c_i32_i8 v162, v195, v187
	v_mov_b32_e32 v195, 0
	v_dot4c_i32_i8 v41, v202, v186
	v_mov_b32_e32 v202, 0
	v_dot4c_i32_i8 v161, v46, v188
	ds_read2_b32 v[45:46], v138 offset0:8 offset1:9
	ds_read2_b32 v[240:241], v138 offset0:10 offset1:11
	;; [unrolled: 1-line block ×8, first 2 shown]
	v_dot4c_i32_i8 v162, v196, v188
	v_mov_b32_e32 v196, 0
	v_dot4c_i32_i8 v41, v203, v187
	v_mov_b32_e32 v203, 0
	v_mov_b32_e32 v42, 0
	v_dot4c_i32_i8 v41, v204, v188
	v_mov_b32_e32 v204, 0
	v_dot4c_i32_i8 v42, v197, v185
	v_mov_b32_e32 v197, 0
	v_mov_b32_e32 v185, 0
	s_waitcnt lgkmcnt(7)
	v_dot4c_i32_i8 v193, v45, v177
	v_dot4c_i32_i8 v42, v198, v186
	s_waitcnt lgkmcnt(4)
	v_dot4c_i32_i8 v195, v244, v177
	v_mov_b32_e32 v198, 0
	s_waitcnt lgkmcnt(2)
	v_dot4c_i32_i8 v196, v248, v177
	s_waitcnt lgkmcnt(1)
	v_dot4c_i32_i8 v194, v250, v177
	v_dot4c_i32_i8 v193, v46, v178
	;; [unrolled: 1-line block ×13, first 2 shown]
	v_mov_b32_e32 v199, 0
	v_dot4c_i32_i8 v196, v237, v180
	v_dot4c_i32_i8 v194, v239, v180
	ds_read_b128 v[177:180], v0 offset:33312
	ds_read_b128 v[218:221], v0 offset:33296
	v_mov_b32_e32 v200, 0
	v_mov_b32_e32 v188, 0
	;; [unrolled: 1-line block ×4, first 2 shown]
	v_dot4c_i32_i8 v185, v250, v181
	v_mov_b32_e32 v0, 0
	v_dot4c_i32_i8 v188, v45, v181
	v_dot4c_i32_i8 v187, v244, v181
	;; [unrolled: 1-line block ×4, first 2 shown]
	v_mov_b32_e32 v181, 0
	v_dot4c_i32_i8 v188, v46, v182
	v_dot4c_i32_i8 v187, v245, v182
	;; [unrolled: 1-line block ×4, first 2 shown]
	v_mov_b32_e32 v182, 0
	v_dot4c_i32_i8 v188, v240, v183
	v_dot4c_i32_i8 v187, v234, v183
	s_waitcnt lgkmcnt(1)
	v_dot4c_i32_i8 v211, v45, v177
	v_dot4c_i32_i8 v208, v244, v177
	;; [unrolled: 1-line block ×19, first 2 shown]
	ds_read_b128 v[177:180], v212 offset:33312
	ds_read_b128 v[222:225], v212 offset:33296
	v_dot4c_i32_i8 v186, v237, v184
	v_dot4c_i32_i8 v185, v239, v184
	v_mov_b32_e32 v184, 0
	v_mov_b32_e32 v183, 0
	v_dot4c_i32_i8 v182, v248, v189
	v_dot4c_i32_i8 v181, v250, v189
	;; [unrolled: 1-line block ×6, first 2 shown]
	v_mov_b32_e32 v189, 0
	v_dot4c_i32_i8 v184, v46, v190
	v_dot4c_i32_i8 v183, v245, v190
	;; [unrolled: 1-line block ×4, first 2 shown]
	v_mov_b32_e32 v190, 0
	v_dot4c_i32_i8 v184, v240, v191
	s_waitcnt lgkmcnt(1)
	v_dot4c_i32_i8 v203, v45, v177
	v_dot4c_i32_i8 v204, v244, v177
	;; [unrolled: 1-line block ×19, first 2 shown]
	ds_read_b128 v[177:180], v213 offset:33312
	ds_read_b128 v[226:229], v213 offset:33296
	v_dot4c_i32_i8 v182, v237, v192
	v_dot4c_i32_i8 v181, v239, v192
	v_mov_b32_e32 v192, 0
	v_mov_b32_e32 v191, 0
	s_waitcnt lgkmcnt(1)
	v_dot4c_i32_i8 v199, v45, v177
	v_dot4c_i32_i8 v200, v244, v177
	v_dot4c_i32_i8 v198, v248, v177
	v_dot4c_i32_i8 v197, v250, v177
	v_mov_b32_e32 v177, 0
	v_dot4c_i32_i8 v199, v46, v178
	v_dot4c_i32_i8 v200, v245, v178
	v_dot4c_i32_i8 v198, v249, v178
	v_dot4c_i32_i8 v197, v251, v178
	v_mov_b32_e32 v178, 0
	;; [unrolled: 5-line block ×4, first 2 shown]
	v_dot4c_i32_i8 v179, v244, v214
	v_dot4c_i32_i8 v178, v248, v214
	;; [unrolled: 1-line block ×16, first 2 shown]
	ds_read_b128 v[214:217], v206 offset:33312
	ds_read_b128 v[230:233], v206 offset:33296
	s_waitcnt lgkmcnt(1)
	v_dot4c_i32_i8 v190, v45, v214
	v_dot4c_i32_i8 v192, v244, v214
	;; [unrolled: 1-line block ×16, first 2 shown]
	ds_read2_b32 v[45:46], v138 offset0:4 offset1:5
	ds_read_b128 v[214:217], v140 offset:33296
	ds_read_b128 v[234:237], v140 offset:33280
	ds_read2_b32 v[244:245], v139 offset0:4 offset1:5
	ds_read2_b32 v[248:249], v139 offset0:2 offset1:3
	;; [unrolled: 1-line block ×7, first 2 shown]
	v_mov_b32_e32 v140, 0
	v_mov_b32_e32 v139, 0
	s_waitcnt lgkmcnt(9)
	v_dot4c_i32_i8 v55, v45, v218
	s_waitcnt lgkmcnt(8)
	v_dot4c_i32_i8 v0, v45, v214
	;; [unrolled: 2-line block ×5, first 2 shown]
	v_dot4c_i32_i8 v56, v244, v218
	v_dot4c_i32_i8 v57, v250, v218
	;; [unrolled: 1-line block ×27, first 2 shown]
	ds_read_b128 v[214:217], v1 offset:33296
	ds_read_b128 v[218:221], v1 offset:33280
	v_mov_b32_e32 v1, 0
	v_dot4c_i32_i8 v65, v45, v222
	v_dot4c_i32_i8 v67, v244, v222
	;; [unrolled: 1-line block ×17, first 2 shown]
	s_waitcnt lgkmcnt(1)
	v_dot4c_i32_i8 v59, v45, v214
	v_dot4c_i32_i8 v1, v244, v214
	;; [unrolled: 1-line block ×19, first 2 shown]
	ds_read_b128 v[214:217], v38 offset:33296
	ds_read_b128 v[222:225], v38 offset:33280
	v_dot4c_i32_i8 v79, v46, v227
	v_dot4c_i32_i8 v80, v245, v227
	v_dot4c_i32_i8 v81, v251, v227
	v_dot4c_i32_i8 v82, v72, v227
	v_mov_b32_e32 v38, 0
	v_dot4c_i32_i8 v79, v242, v228
	v_dot4c_i32_i8 v80, v246, v228
	;; [unrolled: 1-line block ×8, first 2 shown]
	ds_read_b128 v[226:229], v50 offset:33296
	ds_read_b128 v[238:241], v50 offset:33280
	v_mov_b32_e32 v50, 0
	s_waitcnt lgkmcnt(3)
	v_dot4c_i32_i8 v75, v45, v214
	v_dot4c_i32_i8 v38, v244, v214
	;; [unrolled: 1-line block ×4, first 2 shown]
	v_mov_b32_e32 v214, 0
	v_dot4c_i32_i8 v75, v46, v215
	v_dot4c_i32_i8 v38, v245, v215
	;; [unrolled: 1-line block ×4, first 2 shown]
	v_mov_b32_e32 v215, 0
	v_dot4c_i32_i8 v75, v242, v216
	v_dot4c_i32_i8 v38, v246, v216
	;; [unrolled: 1-line block ×5, first 2 shown]
	s_waitcnt lgkmcnt(1)
	v_dot4c_i32_i8 v214, v45, v226
	v_dot4c_i32_i8 v215, v244, v226
	v_dot4c_i32_i8 v140, v250, v226
	v_dot4c_i32_i8 v139, v71, v226
	v_dot4c_i32_i8 v75, v243, v217
	v_dot4c_i32_i8 v214, v46, v227
	v_dot4c_i32_i8 v215, v245, v227
	v_dot4c_i32_i8 v140, v251, v227
	v_dot4c_i32_i8 v139, v72, v227
	v_dot4c_i32_i8 v38, v247, v217
	v_dot4c_i32_i8 v214, v242, v228
	v_dot4c_i32_i8 v215, v246, v228
	v_dot4c_i32_i8 v140, v254, v228
	v_dot4c_i32_i8 v139, v252, v228
	v_mov_b32_e32 v228, 0
	v_dot4c_i32_i8 v76, v255, v217
	v_dot4c_i32_i8 v78, v253, v217
	;; [unrolled: 1-line block ×3, first 2 shown]
	v_mov_b32_e32 v226, 0
	v_dot4c_i32_i8 v228, v71, v230
	v_mov_b32_e32 v227, 0
	ds_read2_b32 v[45:46], v138 offset1:1
	ds_read2_b32 v[216:217], v138 offset0:2 offset1:3
	v_dot4c_i32_i8 v226, v244, v230
	v_dot4c_i32_i8 v228, v72, v231
	ds_read2_b32 v[71:72], v209 offset1:1
	ds_read2_b32 v[209:210], v210 offset1:1
	v_dot4c_i32_i8 v227, v250, v230
	v_dot4c_i32_i8 v226, v245, v231
	;; [unrolled: 1-line block ×11, first 2 shown]
	v_mov_b32_e32 v229, 0
	v_mov_b32_e32 v230, 0
	;; [unrolled: 1-line block ×4, first 2 shown]
	v_dot4c_i32_i8 v50, v243, v233
	s_waitcnt lgkmcnt(3)
	v_dot4c_i32_i8 v229, v45, v234
	v_dot4c_i32_i8 v230, v43, v234
	s_waitcnt lgkmcnt(1)
	v_dot4c_i32_i8 v231, v71, v234
	s_waitcnt lgkmcnt(0)
	v_dot4c_i32_i8 v232, v209, v234
	v_dot4c_i32_i8 v226, v247, v233
	;; [unrolled: 1-line block ×8, first 2 shown]
	v_mov_b32_e32 v138, 0
	v_mov_b32_e32 v233, 0
	;; [unrolled: 1-line block ×4, first 2 shown]
	v_dot4c_i32_i8 v229, v216, v236
	v_dot4c_i32_i8 v138, v45, v34
	;; [unrolled: 1-line block ×24, first 2 shown]
	v_mov_b32_e32 v236, 0
	v_mov_b32_e32 v237, 0
	;; [unrolled: 1-line block ×4, first 2 shown]
	ds_read_b128 v[34:37], v212 offset:33280
	v_dot4c_i32_i8 v236, v45, v218
	v_dot4c_i32_i8 v237, v43, v218
	v_dot4c_i32_i8 v242, v71, v218
	v_dot4c_i32_i8 v243, v209, v218
	v_mov_b32_e32 v218, 0
	v_dot4c_i32_i8 v236, v46, v219
	v_dot4c_i32_i8 v237, v44, v219
	v_dot4c_i32_i8 v242, v72, v219
	v_dot4c_i32_i8 v243, v210, v219
	v_mov_b32_e32 v212, 0
	v_dot4c_i32_i8 v236, v216, v220
	v_dot4c_i32_i8 v237, v248, v220
	v_dot4c_i32_i8 v242, v69, v220
	v_dot4c_i32_i8 v243, v47, v220
	v_mov_b32_e32 v219, 0
	v_mov_b32_e32 v220, 0
	v_dot4c_i32_i8 v236, v217, v221
	v_dot4c_i32_i8 v237, v249, v221
	v_dot4c_i32_i8 v242, v70, v221
	s_waitcnt lgkmcnt(0)
	v_dot4c_i32_i8 v218, v45, v34
	v_dot4c_i32_i8 v212, v43, v34
	;; [unrolled: 1-line block ×9, first 2 shown]
	v_mov_b32_e32 v221, 0
	v_dot4c_i32_i8 v218, v216, v36
	v_dot4c_i32_i8 v212, v248, v36
	;; [unrolled: 1-line block ×4, first 2 shown]
	v_mov_b32_e32 v244, 0
	v_dot4c_i32_i8 v218, v217, v37
	v_dot4c_i32_i8 v212, v249, v37
	v_dot4c_i32_i8 v219, v70, v37
	v_dot4c_i32_i8 v220, v48, v37
	v_mov_b32_e32 v245, 0
	v_mov_b32_e32 v246, 0
	ds_read_b128 v[34:37], v213 offset:33280
	v_dot4c_i32_i8 v221, v45, v222
	v_dot4c_i32_i8 v244, v43, v222
	v_dot4c_i32_i8 v245, v71, v222
	v_dot4c_i32_i8 v246, v209, v222
	v_mov_b32_e32 v222, 0
	v_dot4c_i32_i8 v221, v46, v223
	v_dot4c_i32_i8 v244, v44, v223
	v_dot4c_i32_i8 v245, v72, v223
	v_dot4c_i32_i8 v246, v210, v223
	v_mov_b32_e32 v213, 0
	;; [unrolled: 5-line block ×3, first 2 shown]
	v_mov_b32_e32 v224, 0
	v_dot4c_i32_i8 v221, v217, v225
	v_dot4c_i32_i8 v244, v249, v225
	v_dot4c_i32_i8 v245, v70, v225
	s_waitcnt lgkmcnt(0)
	v_dot4c_i32_i8 v222, v45, v34
	v_dot4c_i32_i8 v213, v43, v34
	;; [unrolled: 1-line block ×9, first 2 shown]
	v_mov_b32_e32 v225, 0
	v_dot4c_i32_i8 v222, v216, v36
	v_dot4c_i32_i8 v213, v248, v36
	;; [unrolled: 1-line block ×4, first 2 shown]
	v_mov_b32_e32 v247, 0
	v_dot4c_i32_i8 v222, v217, v37
	v_dot4c_i32_i8 v213, v249, v37
	;; [unrolled: 1-line block ×4, first 2 shown]
	ds_read_b128 v[34:37], v206 offset:33280
	v_mov_b32_e32 v250, 0
	v_mov_b32_e32 v251, 0
	v_dot4c_i32_i8 v225, v45, v238
	v_dot4c_i32_i8 v247, v43, v238
	v_mov_b32_e32 v206, 0
	v_dot4c_i32_i8 v250, v71, v238
	v_dot4c_i32_i8 v251, v209, v238
	;; [unrolled: 1-line block ×4, first 2 shown]
	v_mov_b32_e32 v238, 0
	v_dot4c_i32_i8 v250, v72, v239
	v_dot4c_i32_i8 v251, v210, v239
	v_mov_b32_e32 v239, 0
	v_dot4c_i32_i8 v225, v216, v240
	v_dot4c_i32_i8 v247, v248, v240
	;; [unrolled: 1-line block ×5, first 2 shown]
	s_waitcnt lgkmcnt(0)
	v_dot4c_i32_i8 v239, v71, v34
	v_dot4c_i32_i8 v238, v45, v34
	;; [unrolled: 1-line block ×6, first 2 shown]
	v_mov_b32_e32 v72, 0
	v_dot4c_i32_i8 v238, v46, v35
	v_dot4c_i32_i8 v206, v44, v35
	;; [unrolled: 1-line block ×5, first 2 shown]
	v_add3_u32 v34, s1, v115, v116
	v_dot4c_i32_i8 v238, v216, v36
	v_dot4c_i32_i8 v206, v248, v36
	;; [unrolled: 1-line block ×4, first 2 shown]
	ds_read_b32 v43, v34
	v_lshrrev_b32_e32 v34, 1, v137
	v_dot4c_i32_i8 v238, v217, v37
	v_dot4c_i32_i8 v206, v249, v37
	v_dot4c_i32_i8 v72, v47, v36
	ds_read_b64 v[34:35], v34 offset:43584
	v_dot4c_i32_i8 v72, v48, v37
	s_waitcnt lgkmcnt(1)
	v_bfe_i32 v137, v43, 8, 8
	v_bfe_i32 v209, v43, 0, 8
	v_mul_lo_u32 v36, v55, v137
	v_ashrrev_i32_e32 v55, 24, v43
	v_mad_u64_u32 v[36:37], null, v138, v209, v[36:37]
	v_mul_lo_u32 v37, v176, v55
	v_bfe_i32 v138, v43, 16, 8
	v_mad_u64_u32 v[43:44], null, v211, v138, v[37:38]
	v_add3_u32 v37, s1, v117, v112
	ds_read_b32 v46, v37
	v_cvt_f32_i32_e32 v43, v43
	s_waitcnt lgkmcnt(0)
	v_bfe_i32 v176, v46, 8, 8
	v_bfe_i32 v210, v46, 0, 8
	;; [unrolled: 1-line block ×3, first 2 shown]
	v_mul_lo_u32 v37, v56, v176
	v_ashrrev_i32_e32 v56, 24, v46
	v_mad_u64_u32 v[44:45], null, v233, v210, v[37:38]
	v_mul_lo_u32 v37, v175, v56
	v_cvt_f32_i32_e32 v44, v44
	v_mad_u64_u32 v[45:46], null, v208, v211, v[37:38]
	v_add3_u32 v37, s1, v118, v113
	ds_read_b32 v48, v37
	v_cvt_f32_i32_e32 v45, v45
	s_waitcnt lgkmcnt(0)
	v_bfe_i32 v175, v48, 8, 8
	v_bfe_i32 v208, v48, 0, 8
	;; [unrolled: 1-line block ×3, first 2 shown]
	v_mul_lo_u32 v37, v57, v175
	v_ashrrev_i32_e32 v57, 24, v48
	v_mad_u64_u32 v[46:47], null, v234, v208, v[37:38]
	v_mul_lo_u32 v37, v174, v57
	v_cvt_f32_i32_e32 v46, v46
	v_mad_u64_u32 v[47:48], null, v207, v216, v[37:38]
	v_add3_u32 v37, s1, v119, v114
	s_add_i32 s1, s0, 8
	s_cmp_lt_u32 s0, 24
	s_mov_b32 s0, s1
	ds_read_b32 v48, v37
	v_cvt_f32_i32_e32 v47, v47
	s_waitcnt lgkmcnt(0)
	v_bfe_i32 v174, v48, 8, 8
	v_bfe_i32 v207, v48, 0, 8
	;; [unrolled: 1-line block ×3, first 2 shown]
	v_mul_lo_u32 v37, v58, v174
	v_ashrrev_i32_e32 v58, 24, v48
	v_cvt_f32_i32_e32 v48, v36
	v_lshrrev_b32_e32 v36, 1, v168
	v_mad_u64_u32 v[69:70], null, v235, v207, v[37:38]
	v_mul_lo_u32 v37, v173, v58
	v_cvt_f32_i32_e32 v69, v69
	v_mad_u64_u32 v[70:71], null, v205, v217, v[37:38]
	ds_read_b64 v[36:37], v36 offset:43584
	v_cvt_f32_i32_e32 v70, v70
	s_waitcnt lgkmcnt(0)
	v_fma_f32 v168, v36, v48, 0
	v_fma_f32 v173, v36, v44, 0
	;; [unrolled: 1-line block ×4, first 2 shown]
	v_mul_lo_u32 v36, v229, v209
	v_fmac_f32_e32 v168, v37, v43
	v_fmac_f32_e32 v173, v37, v45
	;; [unrolled: 1-line block ×6, first 2 shown]
	v_mad_u64_u32 v[36:37], null, v0, v137, v[36:37]
	v_mul_lo_u32 v37, v193, v138
	v_fmac_f32_e32 v26, v122, v205
	v_fmac_f32_e32 v22, v123, v233
	v_cvt_f32_i32_e32 v0, v36
	v_mad_u64_u32 v[43:44], null, v136, v55, v[37:38]
	v_mul_lo_u32 v37, v230, v210
	v_fma_f32 v0, v34, v0, 0
	v_cvt_f32_i32_e32 v36, v43
	v_mad_u64_u32 v[44:45], null, v51, v176, v[37:38]
	v_mul_lo_u32 v37, v195, v211
	v_fmac_f32_e32 v0, v35, v36
	v_fma_f32 v19, v124, v0, v19
	v_mad_u64_u32 v[45:46], null, v157, v56, v[37:38]
	v_mul_lo_u32 v37, v231, v208
	v_cvt_f32_i32_e32 v43, v45
	v_mad_u64_u32 v[46:47], null, v52, v175, v[37:38]
	v_mul_lo_u32 v37, v196, v216
	v_mad_u64_u32 v[47:48], null, v158, v57, v[37:38]
	v_mul_lo_u32 v37, v232, v207
	v_cvt_f32_i32_e32 v45, v47
	v_mad_u64_u32 v[69:70], null, v53, v174, v[37:38]
	v_mul_lo_u32 v37, v194, v217
	v_mad_u64_u32 v[70:71], null, v159, v58, v[37:38]
	v_cvt_f32_i32_e32 v37, v44
	v_cvt_f32_i32_e32 v44, v46
	v_cvt_f32_i32_e32 v46, v69
	v_fma_f32 v51, v34, v37, 0
	v_fma_f32 v52, v34, v44, 0
	;; [unrolled: 1-line block ×3, first 2 shown]
	v_mul_lo_u32 v34, v65, v137
	v_cvt_f32_i32_e32 v47, v70
	v_fmac_f32_e32 v51, v35, v43
	v_fmac_f32_e32 v52, v35, v45
	v_fmac_f32_e32 v53, v35, v47
	v_fma_f32 v31, v127, v51, v31
	v_mad_u64_u32 v[34:35], null, v218, v209, v[34:35]
	v_mul_lo_u32 v35, v171, v55
	v_fma_f32 v27, v130, v52, v27
	v_fma_f32 v23, v133, v53, v23
	v_mad_u64_u32 v[35:36], null, v203, v138, v[35:36]
	v_mul_lo_u32 v36, v67, v176
	v_mad_u64_u32 v[36:37], null, v212, v210, v[36:37]
	v_mul_lo_u32 v37, v172, v56
	v_cvt_f32_i32_e32 v36, v36
	v_mad_u64_u32 v[43:44], null, v204, v211, v[37:38]
	v_mul_lo_u32 v37, v68, v175
	v_cvt_f32_i32_e32 v43, v43
	;; [unrolled: 3-line block ×5, first 2 shown]
	v_mad_u64_u32 v[47:48], null, v201, v217, v[37:38]
	v_cvt_f32_i32_e32 v37, v34
	v_lshrrev_b32_e32 v34, 1, v165
	v_cvt_f32_i32_e32 v48, v35
	ds_read_b64 v[34:35], v34 offset:43584
	v_cvt_f32_i32_e32 v47, v47
	s_waitcnt lgkmcnt(0)
	v_fma_f32 v65, v34, v37, 0
	v_fma_f32 v67, v34, v36, 0
	;; [unrolled: 1-line block ×4, first 2 shown]
	v_mul_lo_u32 v34, v236, v209
	v_fmac_f32_e32 v65, v35, v48
	v_fmac_f32_e32 v67, v35, v43
	;; [unrolled: 1-line block ×4, first 2 shown]
	v_fma_f32 v20, v125, v65, v20
	v_fma_f32 v32, v128, v67, v32
	v_mad_u64_u32 v[34:35], null, v59, v137, v[34:35]
	v_mul_lo_u32 v35, v188, v138
	v_fma_f32 v28, v131, v68, v28
	v_fma_f32 v24, v134, v69, v24
	v_mad_u64_u32 v[35:36], null, v154, v55, v[35:36]
	v_mul_lo_u32 v36, v237, v210
	v_mad_u64_u32 v[36:37], null, v1, v176, v[36:37]
	v_mul_lo_u32 v37, v187, v211
	v_cvt_f32_i32_e32 v1, v34
	v_lshrrev_b32_e32 v34, 1, v150
	v_cvt_f32_i32_e32 v36, v36
	v_mad_u64_u32 v[43:44], null, v156, v56, v[37:38]
	v_mul_lo_u32 v37, v242, v208
	v_cvt_f32_i32_e32 v43, v43
	v_mad_u64_u32 v[44:45], null, v61, v175, v[37:38]
	v_mul_lo_u32 v37, v186, v216
	;; [unrolled: 3-line block ×4, first 2 shown]
	v_cvt_f32_i32_e32 v46, v46
	v_mad_u64_u32 v[47:48], null, v153, v58, v[37:38]
	v_cvt_f32_i32_e32 v37, v35
	ds_read_b64 v[34:35], v34 offset:43584
	v_cvt_f32_i32_e32 v47, v47
	s_waitcnt lgkmcnt(0)
	v_fma_f32 v1, v34, v1, 0
	v_fma_f32 v59, v34, v36, 0
	;; [unrolled: 1-line block ×4, first 2 shown]
	v_mul_lo_u32 v34, v79, v137
	v_fmac_f32_e32 v1, v35, v37
	v_fmac_f32_e32 v59, v35, v43
	;; [unrolled: 1-line block ×4, first 2 shown]
	v_fma_f32 v21, v126, v1, v21
	v_fma_f32 v33, v129, v59, v33
	v_mad_u64_u32 v[34:35], null, v222, v209, v[34:35]
	v_mul_lo_u32 v35, v166, v55
	v_fma_f32 v29, v132, v61, v29
	v_fma_f32 v25, v135, v63, v25
	v_mad_u64_u32 v[35:36], null, v199, v138, v[35:36]
	v_mul_lo_u32 v36, v80, v176
	v_mad_u64_u32 v[36:37], null, v213, v210, v[36:37]
	v_mul_lo_u32 v37, v167, v56
	v_cvt_f32_i32_e32 v36, v36
	v_mad_u64_u32 v[43:44], null, v200, v211, v[37:38]
	v_mul_lo_u32 v37, v81, v175
	v_cvt_f32_i32_e32 v43, v43
	;; [unrolled: 3-line block ×5, first 2 shown]
	v_mad_u64_u32 v[47:48], null, v197, v217, v[37:38]
	v_cvt_f32_i32_e32 v37, v34
	v_lshrrev_b32_e32 v34, 1, v160
	v_cvt_f32_i32_e32 v48, v35
	ds_read_b64 v[34:35], v34 offset:43584
	v_cvt_f32_i32_e32 v47, v47
	s_waitcnt lgkmcnt(0)
	v_fma_f32 v70, v34, v37, 0
	v_fma_f32 v71, v34, v36, 0
	;; [unrolled: 1-line block ×4, first 2 shown]
	v_mul_lo_u32 v34, v221, v209
	v_fmac_f32_e32 v70, v35, v48
	v_fmac_f32_e32 v71, v35, v43
	;; [unrolled: 1-line block ×6, first 2 shown]
	v_mad_u64_u32 v[34:35], null, v75, v137, v[34:35]
	v_mul_lo_u32 v35, v184, v138
	v_fmac_f32_e32 v6, v122, v73
	v_fmac_f32_e32 v2, v123, v79
	v_mad_u64_u32 v[35:36], null, v148, v55, v[35:36]
	v_mul_lo_u32 v36, v244, v210
	v_mad_u64_u32 v[36:37], null, v38, v176, v[36:37]
	v_mul_lo_u32 v37, v183, v211
	v_cvt_f32_i32_e32 v36, v36
	v_mad_u64_u32 v[43:44], null, v151, v56, v[37:38]
	v_mul_lo_u32 v37, v245, v208
	v_cvt_f32_i32_e32 v43, v43
	;; [unrolled: 3-line block ×5, first 2 shown]
	v_mad_u64_u32 v[47:48], null, v147, v58, v[37:38]
	v_cvt_f32_i32_e32 v37, v34
	v_lshrrev_b32_e32 v34, 1, v145
	v_cvt_f32_i32_e32 v38, v35
	ds_read_b64 v[34:35], v34 offset:43584
	v_cvt_f32_i32_e32 v47, v47
	s_waitcnt lgkmcnt(0)
	v_fma_f32 v48, v34, v37, 0
	v_fma_f32 v75, v34, v44, 0
	;; [unrolled: 1-line block ×3, first 2 shown]
	v_fmac_f32_e32 v48, v35, v38
	v_fma_f32 v38, v34, v36, 0
	v_mul_lo_u32 v34, v50, v137
	v_fmac_f32_e32 v75, v35, v45
	v_fmac_f32_e32 v76, v35, v47
	v_fma_f32 v15, v124, v48, v15
	v_fmac_f32_e32 v38, v35, v43
	v_fma_f32 v7, v130, v75, v7
	v_fma_f32 v3, v133, v76, v3
	v_mad_u64_u32 v[34:35], null, v238, v209, v[34:35]
	v_mul_lo_u32 v35, v161, v55
	v_fma_f32 v11, v127, v38, v11
	v_mad_u64_u32 v[35:36], null, v190, v138, v[35:36]
	v_mul_lo_u32 v36, v226, v176
	v_mad_u64_u32 v[36:37], null, v206, v210, v[36:37]
	v_mul_lo_u32 v37, v162, v56
	v_cvt_f32_i32_e32 v36, v36
	v_mad_u64_u32 v[43:44], null, v192, v211, v[37:38]
	v_mul_lo_u32 v37, v227, v175
	v_cvt_f32_i32_e32 v43, v43
	;; [unrolled: 3-line block ×5, first 2 shown]
	v_mad_u64_u32 v[41:42], null, v189, v217, v[37:38]
	v_cvt_f32_i32_e32 v37, v34
	v_lshrrev_b32_e32 v34, 1, v152
	v_cvt_f32_i32_e32 v42, v35
	ds_read_b64 v[34:35], v34 offset:43584
	v_cvt_f32_i32_e32 v41, v41
	s_waitcnt lgkmcnt(0)
	v_fma_f32 v47, v34, v37, 0
	v_fma_f32 v50, v34, v36, 0
	;; [unrolled: 1-line block ×4, first 2 shown]
	v_mul_lo_u32 v34, v225, v209
	v_fmac_f32_e32 v47, v35, v42
	v_fmac_f32_e32 v50, v35, v43
	;; [unrolled: 1-line block ×4, first 2 shown]
	v_fma_f32 v16, v125, v47, v16
	v_fma_f32 v12, v128, v50, v12
	v_mad_u64_u32 v[34:35], null, v214, v137, v[34:35]
	v_mul_lo_u32 v35, v180, v138
	v_fma_f32 v8, v131, v72, v8
	v_fma_f32 v4, v134, v78, v4
	v_mad_u64_u32 v[35:36], null, v143, v55, v[35:36]
	v_mul_lo_u32 v36, v247, v210
	v_mad_u64_u32 v[36:37], null, v215, v176, v[36:37]
	v_mul_lo_u32 v37, v179, v211
	v_cvt_f32_i32_e32 v36, v36
	v_mad_u64_u32 v[41:42], null, v146, v56, v[37:38]
	v_mul_lo_u32 v37, v250, v208
	v_cvt_f32_i32_e32 v41, v41
	;; [unrolled: 3-line block ×5, first 2 shown]
	v_mad_u64_u32 v[45:46], null, v142, v58, v[37:38]
	v_cvt_f32_i32_e32 v37, v34
	v_lshrrev_b32_e32 v34, 1, v141
	v_cvt_f32_i32_e32 v46, v35
	ds_read_b64 v[34:35], v34 offset:43584
	v_cvt_f32_i32_e32 v45, v45
	s_waitcnt lgkmcnt(0)
	v_fma_f32 v36, v34, v36, 0
	v_fma_f32 v37, v34, v37, 0
	v_fmac_f32_e32 v36, v35, v41
	v_fma_f32 v41, v34, v42, 0
	v_fma_f32 v34, v34, v44, 0
	v_fmac_f32_e32 v37, v35, v46
	v_fma_f32 v13, v129, v36, v13
	v_fmac_f32_e32 v41, v35, v43
	v_fmac_f32_e32 v34, v35, v45
	v_fma_f32 v17, v126, v37, v17
	v_fma_f32 v9, v132, v41, v9
	;; [unrolled: 1-line block ×3, first 2 shown]
	s_cbranch_scc1 .LBB175_8
; %bb.9:                                ;   in Loop: Header=BB175_5 Depth=1
	s_barrier
	buffer_gl0_inv
	buffer_load_dword v41, off, s[20:23], 0 offset:120 ; 4-byte Folded Reload
	v_mov_b32_e32 v76, v84
	v_mov_b32_e32 v78, v85
	;; [unrolled: 1-line block ×7, first 2 shown]
	s_add_i32 s11, s11, 1
	s_cmp_eq_u32 s11, s4
	s_cbranch_scc0 .LBB175_5
; %bb.10:
	s_clause 0x1
	buffer_load_dword v34, off, s[20:23], 0 offset:128
	buffer_load_dword v0, off, s[20:23], 0 offset:124
.LBB175_11:
	s_mov_b32 s0, exec_lo
	s_waitcnt vmcnt(1)
	v_cmpx_gt_u32_e64 s8, v34
	s_cbranch_execz .LBB175_62
; %bb.12:
	s_waitcnt vmcnt(0)
	v_add_nc_u32_e32 v0, s6, v0
	v_mul_lo_u32 v34, v34, s10
	v_cmp_gt_u32_e64 s0, s10, v0
	s_and_saveexec_b32 s1, s0
	s_cbranch_execz .LBB175_14
; %bb.13:
	v_add_nc_u32_e32 v35, v0, v34
	v_mov_b32_e32 v36, 0
	v_bfe_u32 v1, v19, 16, 1
	v_cmp_o_f32_e32 vcc_lo, v19, v19
	v_mov_b32_e32 v37, 0x7fc0
	v_lshlrev_b64 v[35:36], 1, v[35:36]
	v_add3_u32 v1, v19, v1, 0x7fff
	v_cndmask_b32_sdwa v1, v37, v1, vcc_lo dst_sel:DWORD dst_unused:UNUSED_PAD src0_sel:DWORD src1_sel:WORD_1
	s_waitcnt lgkmcnt(0)
	v_add_co_u32 v35, vcc_lo, s12, v35
	v_add_co_ci_u32_e64 v36, null, s13, v36, vcc_lo
	global_store_short v[35:36], v1, off
.LBB175_14:
	s_or_b32 exec_lo, exec_lo, s1
	v_add_nc_u32_e32 v19, 32, v0
	v_cmp_gt_u32_e64 s1, s10, v19
	s_and_saveexec_b32 s2, s1
	s_cbranch_execz .LBB175_16
; %bb.15:
	v_add_nc_u32_e32 v35, v19, v34
	v_mov_b32_e32 v36, 0
	v_bfe_u32 v1, v31, 16, 1
	v_cmp_o_f32_e32 vcc_lo, v31, v31
	v_mov_b32_e32 v37, 0x7fc0
	v_lshlrev_b64 v[35:36], 1, v[35:36]
	v_add3_u32 v1, v31, v1, 0x7fff
	v_cndmask_b32_sdwa v1, v37, v1, vcc_lo dst_sel:DWORD dst_unused:UNUSED_PAD src0_sel:DWORD src1_sel:WORD_1
	s_waitcnt lgkmcnt(0)
	v_add_co_u32 v35, vcc_lo, s12, v35
	v_add_co_ci_u32_e64 v36, null, s13, v36, vcc_lo
	global_store_short v[35:36], v1, off
.LBB175_16:
	s_or_b32 exec_lo, exec_lo, s2
	v_add_nc_u32_e32 v31, 64, v0
	;; [unrolled: 19-line block ×3, first 2 shown]
	v_cmp_gt_u32_e64 s3, s10, v27
	s_and_saveexec_b32 s4, s3
	s_cbranch_execz .LBB175_20
; %bb.19:
	v_add_nc_u32_e32 v34, v27, v34
	v_mov_b32_e32 v35, 0
	v_bfe_u32 v1, v23, 16, 1
	v_cmp_o_f32_e32 vcc_lo, v23, v23
	v_mov_b32_e32 v36, 0x7fc0
	v_lshlrev_b64 v[34:35], 1, v[34:35]
	v_add3_u32 v1, v23, v1, 0x7fff
	v_cndmask_b32_sdwa v1, v36, v1, vcc_lo dst_sel:DWORD dst_unused:UNUSED_PAD src0_sel:DWORD src1_sel:WORD_1
	s_waitcnt lgkmcnt(0)
	v_add_co_u32 v34, vcc_lo, s12, v34
	v_add_co_ci_u32_e64 v35, null, s13, v35, vcc_lo
	global_store_short v[34:35], v1, off
.LBB175_20:
	s_or_b32 exec_lo, exec_lo, s4
	v_add3_u32 v23, v41, s7, 8
	v_cmp_gt_u32_e32 vcc_lo, s8, v23
	s_and_b32 exec_lo, exec_lo, vcc_lo
	s_cbranch_execz .LBB175_62
; %bb.21:
	v_mul_lo_u32 v23, v23, s10
	s_and_saveexec_b32 s4, s0
	s_cbranch_execnz .LBB175_63
; %bb.22:
	s_or_b32 exec_lo, exec_lo, s4
	s_and_saveexec_b32 s4, s1
	s_cbranch_execnz .LBB175_64
.LBB175_23:
	s_or_b32 exec_lo, exec_lo, s4
	s_and_saveexec_b32 s4, s2
	s_cbranch_execnz .LBB175_65
.LBB175_24:
	s_or_b32 exec_lo, exec_lo, s4
	s_and_saveexec_b32 s4, s3
	s_cbranch_execz .LBB175_26
.LBB175_25:
	v_bfe_u32 v1, v22, 16, 1
	v_add_nc_u32_e32 v34, v23, v27
	v_mov_b32_e32 v35, 0
	v_cmp_o_f32_e32 vcc_lo, v22, v22
	v_mov_b32_e32 v18, 0x7fc0
	v_add3_u32 v1, v22, v1, 0x7fff
	v_lshlrev_b64 v[22:23], 1, v[34:35]
	v_cndmask_b32_sdwa v1, v18, v1, vcc_lo dst_sel:DWORD dst_unused:UNUSED_PAD src0_sel:DWORD src1_sel:WORD_1
	s_waitcnt lgkmcnt(0)
	v_add_co_u32 v22, vcc_lo, s12, v22
	v_add_co_ci_u32_e64 v23, null, s13, v23, vcc_lo
	global_store_short v[22:23], v1, off
.LBB175_26:
	s_or_b32 exec_lo, exec_lo, s4
	v_add3_u32 v18, v41, s7, 16
	v_cmp_gt_u32_e32 vcc_lo, s8, v18
	s_and_b32 exec_lo, exec_lo, vcc_lo
	s_cbranch_execz .LBB175_62
; %bb.27:
	v_mul_lo_u32 v18, v18, s10
	s_and_saveexec_b32 s4, s0
	s_cbranch_execnz .LBB175_66
; %bb.28:
	s_or_b32 exec_lo, exec_lo, s4
	s_and_saveexec_b32 s4, s1
	s_cbranch_execnz .LBB175_67
.LBB175_29:
	s_or_b32 exec_lo, exec_lo, s4
	s_and_saveexec_b32 s4, s2
	s_cbranch_execnz .LBB175_68
.LBB175_30:
	s_or_b32 exec_lo, exec_lo, s4
	s_and_saveexec_b32 s4, s3
	s_cbranch_execz .LBB175_32
.LBB175_31:
	v_add_nc_u32_e32 v21, v18, v27
	v_mov_b32_e32 v22, 0
	v_bfe_u32 v1, v25, 16, 1
	v_cmp_o_f32_e32 vcc_lo, v25, v25
	v_mov_b32_e32 v18, 0x7fc0
	v_lshlrev_b64 v[21:22], 1, v[21:22]
	v_add3_u32 v1, v25, v1, 0x7fff
	v_cndmask_b32_sdwa v1, v18, v1, vcc_lo dst_sel:DWORD dst_unused:UNUSED_PAD src0_sel:DWORD src1_sel:WORD_1
	s_waitcnt lgkmcnt(0)
	v_add_co_u32 v21, vcc_lo, s12, v21
	v_add_co_ci_u32_e64 v22, null, s13, v22, vcc_lo
	global_store_short v[21:22], v1, off
.LBB175_32:
	s_or_b32 exec_lo, exec_lo, s4
	v_add3_u32 v18, v41, s7, 24
	v_cmp_gt_u32_e32 vcc_lo, s8, v18
	s_and_b32 exec_lo, exec_lo, vcc_lo
	s_cbranch_execz .LBB175_62
; %bb.33:
	v_mul_lo_u32 v18, v18, s10
	s_and_saveexec_b32 s4, s0
	s_cbranch_execnz .LBB175_69
; %bb.34:
	s_or_b32 exec_lo, exec_lo, s4
	s_and_saveexec_b32 s4, s1
	s_cbranch_execnz .LBB175_70
.LBB175_35:
	s_or_b32 exec_lo, exec_lo, s4
	s_and_saveexec_b32 s4, s2
	s_cbranch_execnz .LBB175_71
.LBB175_36:
	s_or_b32 exec_lo, exec_lo, s4
	s_and_saveexec_b32 s4, s3
	s_cbranch_execz .LBB175_38
.LBB175_37:
	v_add_nc_u32_e32 v20, v18, v27
	v_mov_b32_e32 v21, 0
	v_bfe_u32 v1, v24, 16, 1
	v_cmp_o_f32_e32 vcc_lo, v24, v24
	v_mov_b32_e32 v18, 0x7fc0
	v_lshlrev_b64 v[20:21], 1, v[20:21]
	v_add3_u32 v1, v24, v1, 0x7fff
	v_cndmask_b32_sdwa v1, v18, v1, vcc_lo dst_sel:DWORD dst_unused:UNUSED_PAD src0_sel:DWORD src1_sel:WORD_1
	s_waitcnt lgkmcnt(0)
	v_add_co_u32 v20, vcc_lo, s12, v20
	v_add_co_ci_u32_e64 v21, null, s13, v21, vcc_lo
	global_store_short v[20:21], v1, off
.LBB175_38:
	s_or_b32 exec_lo, exec_lo, s4
	v_add3_u32 v18, v41, s7, 32
	v_cmp_gt_u32_e32 vcc_lo, s8, v18
	s_and_b32 exec_lo, exec_lo, vcc_lo
	s_cbranch_execz .LBB175_62
; %bb.39:
	v_mul_lo_u32 v18, v18, s10
	s_and_saveexec_b32 s4, s0
	s_cbranch_execnz .LBB175_72
; %bb.40:
	s_or_b32 exec_lo, exec_lo, s4
	s_and_saveexec_b32 s4, s1
	s_cbranch_execnz .LBB175_73
.LBB175_41:
	s_or_b32 exec_lo, exec_lo, s4
	s_and_saveexec_b32 s4, s2
	s_cbranch_execnz .LBB175_74
.LBB175_42:
	s_or_b32 exec_lo, exec_lo, s4
	s_and_saveexec_b32 s4, s3
	s_cbranch_execz .LBB175_44
.LBB175_43:
	v_add_nc_u32_e32 v20, v18, v27
	v_mov_b32_e32 v21, 0
	v_bfe_u32 v1, v3, 16, 1
	v_cmp_o_f32_e32 vcc_lo, v3, v3
	v_mov_b32_e32 v7, 0x7fc0
	v_lshlrev_b64 v[20:21], 1, v[20:21]
	v_add3_u32 v1, v3, v1, 0x7fff
	v_cndmask_b32_sdwa v1, v7, v1, vcc_lo dst_sel:DWORD dst_unused:UNUSED_PAD src0_sel:DWORD src1_sel:WORD_1
	s_waitcnt lgkmcnt(0)
	v_add_co_u32 v20, vcc_lo, s12, v20
	v_add_co_ci_u32_e64 v21, null, s13, v21, vcc_lo
	global_store_short v[20:21], v1, off
.LBB175_44:
	s_or_b32 exec_lo, exec_lo, s4
	v_add3_u32 v3, v41, s7, 40
	v_cmp_gt_u32_e32 vcc_lo, s8, v3
	s_and_b32 exec_lo, exec_lo, vcc_lo
	s_cbranch_execz .LBB175_62
; %bb.45:
	v_mul_lo_u32 v3, v3, s10
	s_and_saveexec_b32 s4, s0
	s_cbranch_execnz .LBB175_75
; %bb.46:
	s_or_b32 exec_lo, exec_lo, s4
	s_and_saveexec_b32 s4, s1
	s_cbranch_execnz .LBB175_76
.LBB175_47:
	s_or_b32 exec_lo, exec_lo, s4
	s_and_saveexec_b32 s4, s2
	s_cbranch_execnz .LBB175_77
.LBB175_48:
	s_or_b32 exec_lo, exec_lo, s4
	s_and_saveexec_b32 s4, s3
	s_cbranch_execz .LBB175_50
.LBB175_49:
	v_bfe_u32 v1, v2, 16, 1
	v_add_nc_u32_e32 v6, v3, v27
	v_mov_b32_e32 v7, 0
	v_cmp_o_f32_e32 vcc_lo, v2, v2
	v_mov_b32_e32 v10, 0x7fc0
	v_add3_u32 v1, v2, v1, 0x7fff
	v_lshlrev_b64 v[2:3], 1, v[6:7]
	v_cndmask_b32_sdwa v1, v10, v1, vcc_lo dst_sel:DWORD dst_unused:UNUSED_PAD src0_sel:DWORD src1_sel:WORD_1
	s_waitcnt lgkmcnt(0)
	v_add_co_u32 v2, vcc_lo, s12, v2
	v_add_co_ci_u32_e64 v3, null, s13, v3, vcc_lo
	global_store_short v[2:3], v1, off
.LBB175_50:
	s_or_b32 exec_lo, exec_lo, s4
	v_add3_u32 v2, v41, s7, 48
	v_cmp_gt_u32_e32 vcc_lo, s8, v2
	s_and_b32 exec_lo, exec_lo, vcc_lo
	s_cbranch_execz .LBB175_62
; %bb.51:
	v_mul_lo_u32 v2, v2, s10
	s_and_saveexec_b32 s4, s0
	s_cbranch_execnz .LBB175_78
; %bb.52:
	s_or_b32 exec_lo, exec_lo, s4
	s_and_saveexec_b32 s4, s1
	s_cbranch_execnz .LBB175_79
.LBB175_53:
	s_or_b32 exec_lo, exec_lo, s4
	s_and_saveexec_b32 s4, s2
	s_cbranch_execnz .LBB175_80
.LBB175_54:
	s_or_b32 exec_lo, exec_lo, s4
	s_and_saveexec_b32 s4, s3
	s_cbranch_execz .LBB175_56
.LBB175_55:
	v_add_nc_u32_e32 v2, v2, v27
	v_mov_b32_e32 v3, 0
	v_bfe_u32 v1, v5, 16, 1
	v_cmp_o_f32_e32 vcc_lo, v5, v5
	v_mov_b32_e32 v6, 0x7fc0
	v_lshlrev_b64 v[2:3], 1, v[2:3]
	v_add3_u32 v1, v5, v1, 0x7fff
	v_cndmask_b32_sdwa v1, v6, v1, vcc_lo dst_sel:DWORD dst_unused:UNUSED_PAD src0_sel:DWORD src1_sel:WORD_1
	s_waitcnt lgkmcnt(0)
	v_add_co_u32 v2, vcc_lo, s12, v2
	v_add_co_ci_u32_e64 v3, null, s13, v3, vcc_lo
	global_store_short v[2:3], v1, off
.LBB175_56:
	s_or_b32 exec_lo, exec_lo, s4
	v_add3_u32 v1, v41, s7, 56
	v_cmp_gt_u32_e32 vcc_lo, s8, v1
	s_and_b32 exec_lo, exec_lo, vcc_lo
	s_cbranch_execz .LBB175_62
; %bb.57:
	v_mul_lo_u32 v1, v1, s10
	s_and_saveexec_b32 s4, s0
	s_cbranch_execnz .LBB175_81
; %bb.58:
	s_or_b32 exec_lo, exec_lo, s4
	s_and_saveexec_b32 s0, s1
	s_cbranch_execnz .LBB175_82
.LBB175_59:
	s_or_b32 exec_lo, exec_lo, s0
	s_and_saveexec_b32 s0, s2
	s_cbranch_execnz .LBB175_83
.LBB175_60:
	s_or_b32 exec_lo, exec_lo, s0
	s_and_b32 exec_lo, exec_lo, s3
	s_cbranch_execz .LBB175_62
.LBB175_61:
	v_add_nc_u32_e32 v0, v1, v27
	v_mov_b32_e32 v1, 0
	v_bfe_u32 v2, v4, 16, 1
	v_cmp_o_f32_e32 vcc_lo, v4, v4
	v_mov_b32_e32 v3, 0x7fc0
	v_lshlrev_b64 v[0:1], 1, v[0:1]
	v_add3_u32 v2, v4, v2, 0x7fff
	v_cndmask_b32_sdwa v2, v3, v2, vcc_lo dst_sel:DWORD dst_unused:UNUSED_PAD src0_sel:DWORD src1_sel:WORD_1
	s_waitcnt lgkmcnt(0)
	v_add_co_u32 v0, vcc_lo, s12, v0
	v_add_co_ci_u32_e64 v1, null, s13, v1, vcc_lo
	global_store_short v[0:1], v2, off
.LBB175_62:
	s_endpgm
.LBB175_63:
	v_add_nc_u32_e32 v34, v23, v0
	v_mov_b32_e32 v35, 0
	v_bfe_u32 v1, v18, 16, 1
	v_cmp_o_f32_e32 vcc_lo, v18, v18
	v_mov_b32_e32 v36, 0x7fc0
	v_lshlrev_b64 v[34:35], 1, v[34:35]
	v_add3_u32 v1, v18, v1, 0x7fff
	v_cndmask_b32_sdwa v1, v36, v1, vcc_lo dst_sel:DWORD dst_unused:UNUSED_PAD src0_sel:DWORD src1_sel:WORD_1
	s_waitcnt lgkmcnt(0)
	v_add_co_u32 v34, vcc_lo, s12, v34
	v_add_co_ci_u32_e64 v35, null, s13, v35, vcc_lo
	global_store_short v[34:35], v1, off
	s_or_b32 exec_lo, exec_lo, s4
	s_and_saveexec_b32 s4, s1
	s_cbranch_execz .LBB175_23
.LBB175_64:
	v_add_nc_u32_e32 v34, v23, v19
	v_mov_b32_e32 v35, 0
	v_bfe_u32 v1, v30, 16, 1
	v_cmp_o_f32_e32 vcc_lo, v30, v30
	v_mov_b32_e32 v18, 0x7fc0
	v_lshlrev_b64 v[34:35], 1, v[34:35]
	v_add3_u32 v1, v30, v1, 0x7fff
	v_cndmask_b32_sdwa v1, v18, v1, vcc_lo dst_sel:DWORD dst_unused:UNUSED_PAD src0_sel:DWORD src1_sel:WORD_1
	s_waitcnt lgkmcnt(0)
	v_add_co_u32 v34, vcc_lo, s12, v34
	v_add_co_ci_u32_e64 v35, null, s13, v35, vcc_lo
	global_store_short v[34:35], v1, off
	s_or_b32 exec_lo, exec_lo, s4
	s_and_saveexec_b32 s4, s2
	s_cbranch_execz .LBB175_24
.LBB175_65:
	v_add_nc_u32_e32 v34, v23, v31
	v_mov_b32_e32 v35, 0
	v_bfe_u32 v1, v26, 16, 1
	v_cmp_o_f32_e32 vcc_lo, v26, v26
	v_mov_b32_e32 v18, 0x7fc0
	v_lshlrev_b64 v[34:35], 1, v[34:35]
	v_add3_u32 v1, v26, v1, 0x7fff
	v_cndmask_b32_sdwa v1, v18, v1, vcc_lo dst_sel:DWORD dst_unused:UNUSED_PAD src0_sel:DWORD src1_sel:WORD_1
	s_waitcnt lgkmcnt(0)
	v_add_co_u32 v34, vcc_lo, s12, v34
	v_add_co_ci_u32_e64 v35, null, s13, v35, vcc_lo
	global_store_short v[34:35], v1, off
	s_or_b32 exec_lo, exec_lo, s4
	s_and_saveexec_b32 s4, s3
	s_cbranch_execnz .LBB175_25
	s_branch .LBB175_26
.LBB175_66:
	v_bfe_u32 v1, v21, 16, 1
	v_add_nc_u32_e32 v22, v18, v0
	v_mov_b32_e32 v23, 0
	v_cmp_o_f32_e32 vcc_lo, v21, v21
	v_mov_b32_e32 v26, 0x7fc0
	v_add3_u32 v1, v21, v1, 0x7fff
	v_lshlrev_b64 v[21:22], 1, v[22:23]
	v_cndmask_b32_sdwa v1, v26, v1, vcc_lo dst_sel:DWORD dst_unused:UNUSED_PAD src0_sel:DWORD src1_sel:WORD_1
	s_waitcnt lgkmcnt(0)
	v_add_co_u32 v21, vcc_lo, s12, v21
	v_add_co_ci_u32_e64 v22, null, s13, v22, vcc_lo
	global_store_short v[21:22], v1, off
	s_or_b32 exec_lo, exec_lo, s4
	s_and_saveexec_b32 s4, s1
	s_cbranch_execz .LBB175_29
.LBB175_67:
	v_add_nc_u32_e32 v21, v18, v19
	v_mov_b32_e32 v22, 0
	v_bfe_u32 v1, v33, 16, 1
	v_cmp_o_f32_e32 vcc_lo, v33, v33
	v_mov_b32_e32 v23, 0x7fc0
	v_lshlrev_b64 v[21:22], 1, v[21:22]
	v_add3_u32 v1, v33, v1, 0x7fff
	v_cndmask_b32_sdwa v1, v23, v1, vcc_lo dst_sel:DWORD dst_unused:UNUSED_PAD src0_sel:DWORD src1_sel:WORD_1
	s_waitcnt lgkmcnt(0)
	v_add_co_u32 v21, vcc_lo, s12, v21
	v_add_co_ci_u32_e64 v22, null, s13, v22, vcc_lo
	global_store_short v[21:22], v1, off
	s_or_b32 exec_lo, exec_lo, s4
	s_and_saveexec_b32 s4, s2
	s_cbranch_execz .LBB175_30
.LBB175_68:
	v_add_nc_u32_e32 v21, v18, v31
	v_mov_b32_e32 v22, 0
	v_bfe_u32 v1, v29, 16, 1
	v_cmp_o_f32_e32 vcc_lo, v29, v29
	v_mov_b32_e32 v23, 0x7fc0
	v_lshlrev_b64 v[21:22], 1, v[21:22]
	v_add3_u32 v1, v29, v1, 0x7fff
	v_cndmask_b32_sdwa v1, v23, v1, vcc_lo dst_sel:DWORD dst_unused:UNUSED_PAD src0_sel:DWORD src1_sel:WORD_1
	s_waitcnt lgkmcnt(0)
	v_add_co_u32 v21, vcc_lo, s12, v21
	v_add_co_ci_u32_e64 v22, null, s13, v22, vcc_lo
	global_store_short v[21:22], v1, off
	s_or_b32 exec_lo, exec_lo, s4
	s_and_saveexec_b32 s4, s3
	s_cbranch_execnz .LBB175_31
	s_branch .LBB175_32
.LBB175_69:
	v_bfe_u32 v1, v20, 16, 1
	v_add_nc_u32_e32 v21, v18, v0
	v_mov_b32_e32 v22, 0
	v_cmp_o_f32_e32 vcc_lo, v20, v20
	v_mov_b32_e32 v23, 0x7fc0
	v_add3_u32 v1, v20, v1, 0x7fff
	v_lshlrev_b64 v[20:21], 1, v[21:22]
	v_cndmask_b32_sdwa v1, v23, v1, vcc_lo dst_sel:DWORD dst_unused:UNUSED_PAD src0_sel:DWORD src1_sel:WORD_1
	s_waitcnt lgkmcnt(0)
	v_add_co_u32 v20, vcc_lo, s12, v20
	v_add_co_ci_u32_e64 v21, null, s13, v21, vcc_lo
	global_store_short v[20:21], v1, off
	s_or_b32 exec_lo, exec_lo, s4
	s_and_saveexec_b32 s4, s1
	s_cbranch_execz .LBB175_35
.LBB175_70:
	v_add_nc_u32_e32 v20, v18, v19
	v_mov_b32_e32 v21, 0
	v_bfe_u32 v1, v32, 16, 1
	v_cmp_o_f32_e32 vcc_lo, v32, v32
	v_mov_b32_e32 v22, 0x7fc0
	v_lshlrev_b64 v[20:21], 1, v[20:21]
	v_add3_u32 v1, v32, v1, 0x7fff
	v_cndmask_b32_sdwa v1, v22, v1, vcc_lo dst_sel:DWORD dst_unused:UNUSED_PAD src0_sel:DWORD src1_sel:WORD_1
	s_waitcnt lgkmcnt(0)
	v_add_co_u32 v20, vcc_lo, s12, v20
	v_add_co_ci_u32_e64 v21, null, s13, v21, vcc_lo
	global_store_short v[20:21], v1, off
	s_or_b32 exec_lo, exec_lo, s4
	s_and_saveexec_b32 s4, s2
	s_cbranch_execz .LBB175_36
.LBB175_71:
	v_add_nc_u32_e32 v20, v18, v31
	v_mov_b32_e32 v21, 0
	v_bfe_u32 v1, v28, 16, 1
	v_cmp_o_f32_e32 vcc_lo, v28, v28
	v_mov_b32_e32 v22, 0x7fc0
	v_lshlrev_b64 v[20:21], 1, v[20:21]
	v_add3_u32 v1, v28, v1, 0x7fff
	v_cndmask_b32_sdwa v1, v22, v1, vcc_lo dst_sel:DWORD dst_unused:UNUSED_PAD src0_sel:DWORD src1_sel:WORD_1
	s_waitcnt lgkmcnt(0)
	v_add_co_u32 v20, vcc_lo, s12, v20
	v_add_co_ci_u32_e64 v21, null, s13, v21, vcc_lo
	global_store_short v[20:21], v1, off
	s_or_b32 exec_lo, exec_lo, s4
	s_and_saveexec_b32 s4, s3
	s_cbranch_execnz .LBB175_37
	s_branch .LBB175_38
.LBB175_72:
	v_add_nc_u32_e32 v20, v18, v0
	v_mov_b32_e32 v21, 0
	v_bfe_u32 v1, v15, 16, 1
	v_cmp_o_f32_e32 vcc_lo, v15, v15
	v_mov_b32_e32 v22, 0x7fc0
	v_lshlrev_b64 v[20:21], 1, v[20:21]
	v_add3_u32 v1, v15, v1, 0x7fff
	v_cndmask_b32_sdwa v1, v22, v1, vcc_lo dst_sel:DWORD dst_unused:UNUSED_PAD src0_sel:DWORD src1_sel:WORD_1
	s_waitcnt lgkmcnt(0)
	v_add_co_u32 v20, vcc_lo, s12, v20
	v_add_co_ci_u32_e64 v21, null, s13, v21, vcc_lo
	global_store_short v[20:21], v1, off
	s_or_b32 exec_lo, exec_lo, s4
	s_and_saveexec_b32 s4, s1
	s_cbranch_execz .LBB175_41
.LBB175_73:
	v_add_nc_u32_e32 v20, v18, v19
	v_mov_b32_e32 v21, 0
	v_bfe_u32 v1, v11, 16, 1
	v_cmp_o_f32_e32 vcc_lo, v11, v11
	v_mov_b32_e32 v15, 0x7fc0
	v_lshlrev_b64 v[20:21], 1, v[20:21]
	v_add3_u32 v1, v11, v1, 0x7fff
	v_cndmask_b32_sdwa v1, v15, v1, vcc_lo dst_sel:DWORD dst_unused:UNUSED_PAD src0_sel:DWORD src1_sel:WORD_1
	s_waitcnt lgkmcnt(0)
	v_add_co_u32 v20, vcc_lo, s12, v20
	v_add_co_ci_u32_e64 v21, null, s13, v21, vcc_lo
	global_store_short v[20:21], v1, off
	s_or_b32 exec_lo, exec_lo, s4
	s_and_saveexec_b32 s4, s2
	s_cbranch_execz .LBB175_42
.LBB175_74:
	v_add_nc_u32_e32 v20, v18, v31
	v_mov_b32_e32 v21, 0
	v_bfe_u32 v1, v7, 16, 1
	v_cmp_o_f32_e32 vcc_lo, v7, v7
	v_mov_b32_e32 v11, 0x7fc0
	v_lshlrev_b64 v[20:21], 1, v[20:21]
	v_add3_u32 v1, v7, v1, 0x7fff
	v_cndmask_b32_sdwa v1, v11, v1, vcc_lo dst_sel:DWORD dst_unused:UNUSED_PAD src0_sel:DWORD src1_sel:WORD_1
	s_waitcnt lgkmcnt(0)
	v_add_co_u32 v20, vcc_lo, s12, v20
	v_add_co_ci_u32_e64 v21, null, s13, v21, vcc_lo
	global_store_short v[20:21], v1, off
	s_or_b32 exec_lo, exec_lo, s4
	s_and_saveexec_b32 s4, s3
	s_cbranch_execnz .LBB175_43
	s_branch .LBB175_44
.LBB175_75:
	v_bfe_u32 v1, v14, 16, 1
	v_add_nc_u32_e32 v20, v3, v0
	v_mov_b32_e32 v21, 0
	v_cmp_o_f32_e32 vcc_lo, v14, v14
	v_mov_b32_e32 v7, 0x7fc0
	v_add3_u32 v1, v14, v1, 0x7fff
	v_lshlrev_b64 v[14:15], 1, v[20:21]
	v_cndmask_b32_sdwa v1, v7, v1, vcc_lo dst_sel:DWORD dst_unused:UNUSED_PAD src0_sel:DWORD src1_sel:WORD_1
	s_waitcnt lgkmcnt(0)
	v_add_co_u32 v14, vcc_lo, s12, v14
	v_add_co_ci_u32_e64 v15, null, s13, v15, vcc_lo
	global_store_short v[14:15], v1, off
	s_or_b32 exec_lo, exec_lo, s4
	s_and_saveexec_b32 s4, s1
	s_cbranch_execz .LBB175_47
.LBB175_76:
	v_bfe_u32 v1, v10, 16, 1
	v_add_nc_u32_e32 v14, v3, v19
	v_mov_b32_e32 v15, 0
	v_cmp_o_f32_e32 vcc_lo, v10, v10
	v_mov_b32_e32 v7, 0x7fc0
	v_add3_u32 v1, v10, v1, 0x7fff
	v_lshlrev_b64 v[10:11], 1, v[14:15]
	v_cndmask_b32_sdwa v1, v7, v1, vcc_lo dst_sel:DWORD dst_unused:UNUSED_PAD src0_sel:DWORD src1_sel:WORD_1
	s_waitcnt lgkmcnt(0)
	v_add_co_u32 v10, vcc_lo, s12, v10
	v_add_co_ci_u32_e64 v11, null, s13, v11, vcc_lo
	global_store_short v[10:11], v1, off
	s_or_b32 exec_lo, exec_lo, s4
	s_and_saveexec_b32 s4, s2
	s_cbranch_execz .LBB175_48
.LBB175_77:
	v_bfe_u32 v1, v6, 16, 1
	v_add_nc_u32_e32 v10, v3, v31
	v_mov_b32_e32 v11, 0
	v_cmp_o_f32_e32 vcc_lo, v6, v6
	v_mov_b32_e32 v14, 0x7fc0
	v_add3_u32 v1, v6, v1, 0x7fff
	v_lshlrev_b64 v[6:7], 1, v[10:11]
	v_cndmask_b32_sdwa v1, v14, v1, vcc_lo dst_sel:DWORD dst_unused:UNUSED_PAD src0_sel:DWORD src1_sel:WORD_1
	s_waitcnt lgkmcnt(0)
	v_add_co_u32 v6, vcc_lo, s12, v6
	v_add_co_ci_u32_e64 v7, null, s13, v7, vcc_lo
	global_store_short v[6:7], v1, off
	s_or_b32 exec_lo, exec_lo, s4
	s_and_saveexec_b32 s4, s3
	s_cbranch_execnz .LBB175_49
	s_branch .LBB175_50
.LBB175_78:
	v_add_nc_u32_e32 v6, v2, v0
	v_mov_b32_e32 v7, 0
	v_bfe_u32 v1, v17, 16, 1
	v_cmp_o_f32_e32 vcc_lo, v17, v17
	v_mov_b32_e32 v3, 0x7fc0
	v_lshlrev_b64 v[6:7], 1, v[6:7]
	v_add3_u32 v1, v17, v1, 0x7fff
	v_cndmask_b32_sdwa v1, v3, v1, vcc_lo dst_sel:DWORD dst_unused:UNUSED_PAD src0_sel:DWORD src1_sel:WORD_1
	s_waitcnt lgkmcnt(0)
	v_add_co_u32 v6, vcc_lo, s12, v6
	v_add_co_ci_u32_e64 v7, null, s13, v7, vcc_lo
	global_store_short v[6:7], v1, off
	s_or_b32 exec_lo, exec_lo, s4
	s_and_saveexec_b32 s4, s1
	s_cbranch_execz .LBB175_53
.LBB175_79:
	v_add_nc_u32_e32 v6, v2, v19
	v_mov_b32_e32 v7, 0
	v_bfe_u32 v1, v13, 16, 1
	v_cmp_o_f32_e32 vcc_lo, v13, v13
	v_mov_b32_e32 v3, 0x7fc0
	v_lshlrev_b64 v[6:7], 1, v[6:7]
	v_add3_u32 v1, v13, v1, 0x7fff
	v_cndmask_b32_sdwa v1, v3, v1, vcc_lo dst_sel:DWORD dst_unused:UNUSED_PAD src0_sel:DWORD src1_sel:WORD_1
	s_waitcnt lgkmcnt(0)
	v_add_co_u32 v6, vcc_lo, s12, v6
	v_add_co_ci_u32_e64 v7, null, s13, v7, vcc_lo
	global_store_short v[6:7], v1, off
	s_or_b32 exec_lo, exec_lo, s4
	s_and_saveexec_b32 s4, s2
	s_cbranch_execz .LBB175_54
.LBB175_80:
	v_add_nc_u32_e32 v6, v2, v31
	v_mov_b32_e32 v7, 0
	v_bfe_u32 v1, v9, 16, 1
	v_cmp_o_f32_e32 vcc_lo, v9, v9
	v_mov_b32_e32 v3, 0x7fc0
	v_lshlrev_b64 v[6:7], 1, v[6:7]
	v_add3_u32 v1, v9, v1, 0x7fff
	v_cndmask_b32_sdwa v1, v3, v1, vcc_lo dst_sel:DWORD dst_unused:UNUSED_PAD src0_sel:DWORD src1_sel:WORD_1
	s_waitcnt lgkmcnt(0)
	v_add_co_u32 v6, vcc_lo, s12, v6
	v_add_co_ci_u32_e64 v7, null, s13, v7, vcc_lo
	global_store_short v[6:7], v1, off
	s_or_b32 exec_lo, exec_lo, s4
	s_and_saveexec_b32 s4, s3
	s_cbranch_execnz .LBB175_55
	s_branch .LBB175_56
.LBB175_81:
	v_add_nc_u32_e32 v2, v1, v0
	v_mov_b32_e32 v3, 0
	v_bfe_u32 v5, v16, 16, 1
	v_cmp_o_f32_e32 vcc_lo, v16, v16
	v_mov_b32_e32 v0, 0x7fc0
	v_lshlrev_b64 v[2:3], 1, v[2:3]
	v_add3_u32 v5, v16, v5, 0x7fff
	v_cndmask_b32_sdwa v0, v0, v5, vcc_lo dst_sel:DWORD dst_unused:UNUSED_PAD src0_sel:DWORD src1_sel:WORD_1
	s_waitcnt lgkmcnt(0)
	v_add_co_u32 v2, vcc_lo, s12, v2
	v_add_co_ci_u32_e64 v3, null, s13, v3, vcc_lo
	global_store_short v[2:3], v0, off
	s_or_b32 exec_lo, exec_lo, s4
	s_and_saveexec_b32 s0, s1
	s_cbranch_execz .LBB175_59
.LBB175_82:
	v_add_nc_u32_e32 v2, v1, v19
	v_mov_b32_e32 v3, 0
	v_bfe_u32 v0, v12, 16, 1
	v_cmp_o_f32_e32 vcc_lo, v12, v12
	v_mov_b32_e32 v5, 0x7fc0
	v_lshlrev_b64 v[2:3], 1, v[2:3]
	v_add3_u32 v0, v12, v0, 0x7fff
	v_cndmask_b32_sdwa v0, v5, v0, vcc_lo dst_sel:DWORD dst_unused:UNUSED_PAD src0_sel:DWORD src1_sel:WORD_1
	s_waitcnt lgkmcnt(0)
	v_add_co_u32 v2, vcc_lo, s12, v2
	v_add_co_ci_u32_e64 v3, null, s13, v3, vcc_lo
	global_store_short v[2:3], v0, off
	s_or_b32 exec_lo, exec_lo, s0
	s_and_saveexec_b32 s0, s2
	s_cbranch_execz .LBB175_60
.LBB175_83:
	v_add_nc_u32_e32 v2, v1, v31
	v_mov_b32_e32 v3, 0
	v_bfe_u32 v0, v8, 16, 1
	v_cmp_o_f32_e32 vcc_lo, v8, v8
	v_mov_b32_e32 v5, 0x7fc0
	v_lshlrev_b64 v[2:3], 1, v[2:3]
	v_add3_u32 v0, v8, v0, 0x7fff
	v_cndmask_b32_sdwa v0, v5, v0, vcc_lo dst_sel:DWORD dst_unused:UNUSED_PAD src0_sel:DWORD src1_sel:WORD_1
	s_waitcnt lgkmcnt(0)
	v_add_co_u32 v2, vcc_lo, s12, v2
	v_add_co_ci_u32_e64 v3, null, s13, v3, vcc_lo
	global_store_short v[2:3], v0, off
	s_or_b32 exec_lo, exec_lo, s0
	s_and_b32 exec_lo, exec_lo, s3
	s_cbranch_execnz .LBB175_61
	s_branch .LBB175_62
	.section	.rodata,"a",@progbits
	.p2align	6, 0x0
	.amdhsa_kernel _ZL12mul_mat_q6_KIN3c108BFloat16ELb0EEvPKvS3_PT_iiiii
		.amdhsa_group_segment_fixed_size 45136
		.amdhsa_private_segment_fixed_size 136
		.amdhsa_kernarg_size 44
		.amdhsa_user_sgpr_count 6
		.amdhsa_user_sgpr_private_segment_buffer 1
		.amdhsa_user_sgpr_dispatch_ptr 0
		.amdhsa_user_sgpr_queue_ptr 0
		.amdhsa_user_sgpr_kernarg_segment_ptr 1
		.amdhsa_user_sgpr_dispatch_id 0
		.amdhsa_user_sgpr_flat_scratch_init 0
		.amdhsa_user_sgpr_private_segment_size 0
		.amdhsa_wavefront_size32 1
		.amdhsa_uses_dynamic_stack 0
		.amdhsa_system_sgpr_private_segment_wavefront_offset 1
		.amdhsa_system_sgpr_workgroup_id_x 1
		.amdhsa_system_sgpr_workgroup_id_y 1
		.amdhsa_system_sgpr_workgroup_id_z 0
		.amdhsa_system_sgpr_workgroup_info 0
		.amdhsa_system_vgpr_workitem_id 1
		.amdhsa_next_free_vgpr 256
		.amdhsa_next_free_sgpr 24
		.amdhsa_reserve_vcc 1
		.amdhsa_reserve_flat_scratch 0
		.amdhsa_float_round_mode_32 0
		.amdhsa_float_round_mode_16_64 0
		.amdhsa_float_denorm_mode_32 3
		.amdhsa_float_denorm_mode_16_64 3
		.amdhsa_dx10_clamp 1
		.amdhsa_ieee_mode 1
		.amdhsa_fp16_overflow 0
		.amdhsa_workgroup_processor_mode 1
		.amdhsa_memory_ordered 1
		.amdhsa_forward_progress 1
		.amdhsa_shared_vgpr_count 0
		.amdhsa_exception_fp_ieee_invalid_op 0
		.amdhsa_exception_fp_denorm_src 0
		.amdhsa_exception_fp_ieee_div_zero 0
		.amdhsa_exception_fp_ieee_overflow 0
		.amdhsa_exception_fp_ieee_underflow 0
		.amdhsa_exception_fp_ieee_inexact 0
		.amdhsa_exception_int_div_zero 0
	.end_amdhsa_kernel
	.section	.text._ZL12mul_mat_q6_KIN3c108BFloat16ELb0EEvPKvS3_PT_iiiii,"axG",@progbits,_ZL12mul_mat_q6_KIN3c108BFloat16ELb0EEvPKvS3_PT_iiiii,comdat
.Lfunc_end175:
	.size	_ZL12mul_mat_q6_KIN3c108BFloat16ELb0EEvPKvS3_PT_iiiii, .Lfunc_end175-_ZL12mul_mat_q6_KIN3c108BFloat16ELb0EEvPKvS3_PT_iiiii
                                        ; -- End function
	.set _ZL12mul_mat_q6_KIN3c108BFloat16ELb0EEvPKvS3_PT_iiiii.num_vgpr, 256
	.set _ZL12mul_mat_q6_KIN3c108BFloat16ELb0EEvPKvS3_PT_iiiii.num_agpr, 0
	.set _ZL12mul_mat_q6_KIN3c108BFloat16ELb0EEvPKvS3_PT_iiiii.numbered_sgpr, 24
	.set _ZL12mul_mat_q6_KIN3c108BFloat16ELb0EEvPKvS3_PT_iiiii.num_named_barrier, 0
	.set _ZL12mul_mat_q6_KIN3c108BFloat16ELb0EEvPKvS3_PT_iiiii.private_seg_size, 136
	.set _ZL12mul_mat_q6_KIN3c108BFloat16ELb0EEvPKvS3_PT_iiiii.uses_vcc, 1
	.set _ZL12mul_mat_q6_KIN3c108BFloat16ELb0EEvPKvS3_PT_iiiii.uses_flat_scratch, 0
	.set _ZL12mul_mat_q6_KIN3c108BFloat16ELb0EEvPKvS3_PT_iiiii.has_dyn_sized_stack, 0
	.set _ZL12mul_mat_q6_KIN3c108BFloat16ELb0EEvPKvS3_PT_iiiii.has_recursion, 0
	.set _ZL12mul_mat_q6_KIN3c108BFloat16ELb0EEvPKvS3_PT_iiiii.has_indirect_call, 0
	.section	.AMDGPU.csdata,"",@progbits
; Kernel info:
; codeLenInByte = 23548
; TotalNumSgprs: 26
; NumVgprs: 256
; ScratchSize: 136
; MemoryBound: 0
; FloatMode: 240
; IeeeMode: 1
; LDSByteSize: 45136 bytes/workgroup (compile time only)
; SGPRBlocks: 0
; VGPRBlocks: 31
; NumSGPRsForWavesPerEU: 26
; NumVGPRsForWavesPerEU: 256
; Occupancy: 4
; WaveLimiterHint : 0
; COMPUTE_PGM_RSRC2:SCRATCH_EN: 1
; COMPUTE_PGM_RSRC2:USER_SGPR: 6
; COMPUTE_PGM_RSRC2:TRAP_HANDLER: 0
; COMPUTE_PGM_RSRC2:TGID_X_EN: 1
; COMPUTE_PGM_RSRC2:TGID_Y_EN: 1
; COMPUTE_PGM_RSRC2:TGID_Z_EN: 0
; COMPUTE_PGM_RSRC2:TIDIG_COMP_CNT: 1
	.section	.text._ZL12mul_mat_q6_KIN3c108BFloat16ELb1EEvPKvS3_PT_iiiii,"axG",@progbits,_ZL12mul_mat_q6_KIN3c108BFloat16ELb1EEvPKvS3_PT_iiiii,comdat
	.globl	_ZL12mul_mat_q6_KIN3c108BFloat16ELb1EEvPKvS3_PT_iiiii ; -- Begin function _ZL12mul_mat_q6_KIN3c108BFloat16ELb1EEvPKvS3_PT_iiiii
	.p2align	8
	.type	_ZL12mul_mat_q6_KIN3c108BFloat16ELb1EEvPKvS3_PT_iiiii,@function
_ZL12mul_mat_q6_KIN3c108BFloat16ELb1EEvPKvS3_PT_iiiii: ; @_ZL12mul_mat_q6_KIN3c108BFloat16ELb1EEvPKvS3_PT_iiiii
; %bb.0:
	s_mov_b64 s[22:23], s[2:3]
	s_mov_b64 s[20:21], s[0:1]
	v_mov_b32_e32 v38, v1
	s_add_u32 s20, s20, s8
	s_clause 0x1
	s_load_dwordx4 s[8:11], s[4:5], 0x18
	s_load_dword s14, s[4:5], 0x28
	s_addc_u32 s21, s21, 0
	s_lshl_b32 s7, s7, 6
	v_add_nc_u32_e32 v36, s7, v38
	s_waitcnt lgkmcnt(0)
	s_cmpk_gt_i32 s8, 0xff
	s_cbranch_scc1 .LBB176_2
; %bb.1:
	v_add_nc_u32_e32 v34, s7, v38
	s_mov_b32 s0, 0
	s_branch .LBB176_3
.LBB176_2:
	s_mov_b32 s0, -1
                                        ; implicit-def: $vgpr34
.LBB176_3:
	s_load_dwordx2 s[12:13], s[4:5], 0x10
	v_mov_b32_e32 v4, 0
	v_mov_b32_e32 v5, 0
	;; [unrolled: 1-line block ×32, first 2 shown]
	s_andn2_b32 vcc_lo, exec_lo, s0
	s_lshl_b32 s6, s6, 7
	s_cbranch_vccnz .LBB176_11
; %bb.4:
	s_load_dwordx4 s[0:3], s[4:5], 0x0
	v_and_b32_e32 v6, 31, v0
	s_ashr_i32 s4, s8, 31
	s_ashr_i32 s5, s11, 31
	s_lshr_b32 s4, s4, 24
	v_lshrrev_b32_e32 v1, 1, v0
	v_lshlrev_b32_e32 v3, 1, v6
	v_cmp_gt_u32_e32 vcc_lo, 16, v6
	s_add_i32 s4, s8, s4
	v_and_b32_e32 v2, 7, v0
	s_ashr_i32 s4, s4, 8
	v_add_nc_u32_e32 v5, 0xe0, v3
	s_lshr_b32 s5, s5, 27
	s_mul_i32 s8, s4, s6
	s_add_i32 s5, s11, s5
	s_mul_hi_i32 s15, s8, 0xd2
	v_cndmask_b32_e32 v5, v5, v3, vcc_lo
	s_mulk_i32 s8, 0xd2
	s_ashr_i32 s11, s5, 5
	v_and_or_b32 v1, v1, 8, v2
	s_waitcnt lgkmcnt(0)
	s_add_u32 s5, s0, s8
	v_and_b32_e32 v2, 0xfe, v5
	s_addc_u32 s8, s1, s15
	s_not_b32 s0, s6
	v_add_nc_u16 v4, v6, -16
	s_add_i32 s0, s9, s0
	v_sub_nc_u32_e32 v3, v3, v2
	v_min_i32_e32 v2, s0, v38
	v_lshlrev_b32_e32 v102, 2, v1
	v_cndmask_b32_e32 v4, v4, v6, vcc_lo
	v_and_b32_e32 v1, 15, v0
	v_add_nc_u32_e32 v23, 8, v38
	v_mul_lo_u32 v5, v2, s4
	v_lshlrev_b32_e32 v101, 2, v6
	v_cmp_lt_u16_e32 vcc_lo, 7, v4
	v_add_lshl_u32 v3, v3, v1, 2
	v_min_i32_e32 v4, s0, v23
	v_add_nc_u32_e32 v1, 16, v38
	v_add_nc_u32_e32 v24, 24, v38
	v_add_nc_u32_e32 v35, 32, v38
	buffer_store_dword v5, off, s[20:23], 0 offset:60 ; 4-byte Folded Spill
	v_mad_u64_u32 v[5:6], null, 0x104, v2, v[3:4]
	v_mul_lo_u32 v2, v4, s4
	v_add_nc_u32_e32 v25, 40, v38
	v_add_nc_u32_e32 v26, 48, v38
	buffer_store_dword v5, off, s[20:23], 0 offset:64 ; 4-byte Folded Spill
	buffer_store_dword v6, off, s[20:23], 0 offset:68 ; 4-byte Folded Spill
	v_mad_u64_u32 v[4:5], null, 0x104, v4, v[3:4]
	buffer_store_dword v2, off, s[20:23], 0 offset:72 ; 4-byte Folded Spill
	v_min_i32_e32 v2, s0, v1
	v_add_nc_u32_e32 v27, 56, v38
	buffer_store_dword v4, off, s[20:23], 0 offset:76 ; 4-byte Folded Spill
	buffer_store_dword v5, off, s[20:23], 0 offset:80 ; 4-byte Folded Spill
	v_mul_lo_u32 v4, v2, s4
	v_lshlrev_b32_e32 v115, 5, v38
	s_add_i32 s1, s10, -1
	v_add_nc_u32_e32 v10, 16, v36
	v_add_nc_u32_e32 v13, 24, v36
	;; [unrolled: 1-line block ×5, first 2 shown]
	buffer_store_dword v4, off, s[20:23], 0 offset:84 ; 4-byte Folded Spill
	v_min_i32_e32 v4, s0, v24
	v_add_nc_u32_e32 v22, 56, v36
	v_cvt_f64_u32_e32 v[10:11], v10
	v_cvt_f64_u32_e32 v[14:15], v14
	;; [unrolled: 1-line block ×3, first 2 shown]
	v_mad_u64_u32 v[5:6], null, 0x104, v2, v[3:4]
	v_min_i32_e32 v2, s0, v35
	v_lshrrev_b32_e32 v37, 5, v0
	buffer_store_dword v5, off, s[20:23], 0 offset:88 ; 4-byte Folded Spill
	buffer_store_dword v6, off, s[20:23], 0 offset:92 ; 4-byte Folded Spill
	v_mul_lo_u32 v5, v4, s4
	v_lshlrev_b32_e32 v126, 2, v0
	v_lshrrev_b32_e32 v128, 3, v0
	v_mul_u32_u24_e32 v151, 0x104, v0
	v_mov_b32_e32 v18, 0
	v_lshlrev_b32_e32 v144, 5, v23
	v_lshlrev_b32_e32 v146, 5, v24
	;; [unrolled: 1-line block ×3, first 2 shown]
	buffer_store_dword v5, off, s[20:23], 0 offset:96 ; 4-byte Folded Spill
	v_mad_u64_u32 v[4:5], null, 0x104, v4, v[3:4]
	v_lshlrev_b32_e32 v149, 5, v26
	buffer_store_dword v4, off, s[20:23], 0 offset:100 ; 4-byte Folded Spill
	buffer_store_dword v5, off, s[20:23], 0 offset:104 ; 4-byte Folded Spill
	v_mul_lo_u32 v4, v2, s4
	v_lshlrev_b32_e32 v150, 5, v27
	v_cndmask_b32_e64 v103, 0, 2, vcc_lo
	v_lshlrev_b32_e32 v145, 5, v1
	v_lshlrev_b32_e32 v147, 5, v35
	s_mov_b32 s9, 0
	buffer_store_dword v4, off, s[20:23], 0 offset:108 ; 4-byte Folded Spill
	v_min_i32_e32 v4, s0, v25
	v_mad_u64_u32 v[5:6], null, 0x104, v2, v[3:4]
	v_mul_lo_u32 v2, v4, s4
	buffer_store_dword v5, off, s[20:23], 0 offset:112 ; 4-byte Folded Spill
	buffer_store_dword v6, off, s[20:23], 0 offset:116 ; 4-byte Folded Spill
	v_mad_u64_u32 v[4:5], null, 0x104, v4, v[3:4]
	buffer_store_dword v2, off, s[20:23], 0 offset:120 ; 4-byte Folded Spill
	v_min_i32_e32 v2, s0, v26
	buffer_store_dword v4, off, s[20:23], 0 offset:124 ; 4-byte Folded Spill
	buffer_store_dword v5, off, s[20:23], 0 offset:128 ; 4-byte Folded Spill
	v_mul_lo_u32 v6, v2, s4
	v_min_i32_e32 v4, s0, v27
	v_add_nc_u32_e32 v5, 64, v38
	buffer_store_dword v6, off, s[20:23], 0 offset:132 ; 4-byte Folded Spill
	v_mad_u64_u32 v[6:7], null, 0x104, v2, v[3:4]
	v_mul_lo_u32 v2, v4, s4
	buffer_store_dword v6, off, s[20:23], 0 offset:136 ; 4-byte Folded Spill
	buffer_store_dword v7, off, s[20:23], 0 offset:140 ; 4-byte Folded Spill
	v_mad_u64_u32 v[6:7], null, 0x104, v4, v[3:4]
	buffer_store_dword v2, off, s[20:23], 0 offset:144 ; 4-byte Folded Spill
	v_min_i32_e32 v2, s0, v5
	buffer_store_dword v6, off, s[20:23], 0 offset:148 ; 4-byte Folded Spill
	buffer_store_dword v7, off, s[20:23], 0 offset:152 ; 4-byte Folded Spill
	v_mul_lo_u32 v6, v2, s4
	v_add_nc_u32_e32 v4, 0x50, v38
	v_add_nc_u32_e32 v5, 0x48, v38
	v_min_i32_e32 v5, s0, v5
	buffer_store_dword v6, off, s[20:23], 0 offset:156 ; 4-byte Folded Spill
	v_mad_u64_u32 v[6:7], null, 0x104, v2, v[3:4]
	buffer_store_dword v6, off, s[20:23], 0 offset:160 ; 4-byte Folded Spill
	buffer_store_dword v7, off, s[20:23], 0 offset:164 ; 4-byte Folded Spill
	v_mul_lo_u32 v6, v5, s4
	v_min_i32_e32 v2, s0, v4
	v_add_nc_u32_e32 v4, 0x58, v38
	buffer_store_dword v6, off, s[20:23], 0 offset:168 ; 4-byte Folded Spill
	v_mad_u64_u32 v[5:6], null, 0x104, v5, v[3:4]
	buffer_store_dword v5, off, s[20:23], 0 offset:172 ; 4-byte Folded Spill
	buffer_store_dword v6, off, s[20:23], 0 offset:176 ; 4-byte Folded Spill
	v_mul_lo_u32 v5, v2, s4
	v_min_i32_e32 v4, s0, v4
	v_mad_u64_u32 v[6:7], null, 0x104, v2, v[3:4]
	v_mul_lo_u32 v2, v4, s4
	buffer_store_dword v5, off, s[20:23], 0 offset:180 ; 4-byte Folded Spill
	v_add_nc_u32_e32 v5, 0x60, v38
	buffer_store_dword v6, off, s[20:23], 0 offset:184 ; 4-byte Folded Spill
	buffer_store_dword v7, off, s[20:23], 0 offset:188 ; 4-byte Folded Spill
	v_mad_u64_u32 v[7:8], null, 0x104, v4, v[3:4]
	buffer_store_dword v2, off, s[20:23], 0 offset:192 ; 4-byte Folded Spill
	v_min_i32_e32 v2, s0, v5
	v_add_nc_u32_e32 v5, v115, v0
	v_add_nc_u32_e32 v6, 0x68, v38
	buffer_store_dword v7, off, s[20:23], 0 offset:196 ; 4-byte Folded Spill
	buffer_store_dword v8, off, s[20:23], 0 offset:200 ; 4-byte Folded Spill
	v_mul_lo_u32 v4, v2, s4
	buffer_store_dword v4, off, s[20:23], 0 offset:204 ; 4-byte Folded Spill
	v_and_b32_e32 v4, 0x7f, v5
	v_min_i32_e32 v5, s0, v6
	v_add_nc_u32_e32 v6, 0x70, v38
	v_mad_u64_u32 v[7:8], null, 0x104, v2, v[3:4]
	v_min_i32_e32 v28, s0, v4
	v_mul_lo_u32 v4, v5, s4
	buffer_store_dword v7, off, s[20:23], 0 offset:208 ; 4-byte Folded Spill
	buffer_store_dword v8, off, s[20:23], 0 offset:212 ; 4-byte Folded Spill
	v_lshrrev_b32_e32 v2, 2, v0
	v_ashrrev_i32_e32 v7, 31, v28
	buffer_store_dword v4, off, s[20:23], 0 offset:216 ; 4-byte Folded Spill
	v_min_i32_e32 v4, s0, v6
	v_add_nc_u32_e32 v6, 0x78, v38
	v_lshl_add_u32 v29, v38, 3, v2
	v_mad_u64_u32 v[8:9], null, 0x104, v5, v[3:4]
	v_mul_lo_u32 v2, v4, s4
	buffer_store_dword v8, off, s[20:23], 0 offset:220 ; 4-byte Folded Spill
	buffer_store_dword v9, off, s[20:23], 0 offset:224 ; 4-byte Folded Spill
	v_lshrrev_b32_e32 v5, 27, v7
	buffer_store_dword v2, off, s[20:23], 0 offset:228 ; 4-byte Folded Spill
	v_min_i32_e32 v2, s0, v6
	v_mad_u64_u32 v[6:7], null, 0x104, v4, v[3:4]
	buffer_store_dword v6, off, s[20:23], 0 offset:232 ; 4-byte Folded Spill
	buffer_store_dword v7, off, s[20:23], 0 offset:236 ; 4-byte Folded Spill
	v_mul_lo_u32 v4, v2, s4
	v_add_nc_u32_e32 v19, v28, v5
	v_cvt_f64_u32_e32 v[6:7], v36
	v_and_b32_e32 v12, 0x7f, v29
	v_add_nc_u32_e32 v8, 8, v36
	buffer_store_dword v36, off, s[20:23], 0 offset:292 ; 4-byte Folded Spill
	v_ashrrev_i32_e32 v31, 5, v19
	v_cvt_f64_u32_e32 v[19:20], v20
	buffer_store_dword v4, off, s[20:23], 0 offset:240 ; 4-byte Folded Spill
	v_cvt_f64_i32_e32 v[4:5], s1
	v_xor_b32_e32 v21, 64, v12
	v_min_i32_e32 v30, s0, v12
	v_cvt_f64_u32_e32 v[8:9], v8
	v_cvt_f64_u32_e32 v[12:13], v13
	v_lshlrev_b32_e32 v31, 2, v31
	v_min_i32_e32 v33, s0, v21
	v_cvt_f64_u32_e32 v[21:22], v22
	v_ashrrev_i32_e32 v32, 31, v30
	s_movk_i32 s0, 0x2080
	v_ashrrev_i32_e32 v34, 31, v33
	v_mad_u32_u24 v152, 0x104, v0, s0
	v_lshrrev_b32_e32 v32, 29, v32
	s_movk_i32 s0, 0x4100
	v_lshrrev_b32_e32 v34, 29, v34
	v_mad_u32_u24 v153, 0x104, v0, s0
	v_add_nc_u32_e32 v32, v30, v32
	v_add_nc_u32_e32 v34, v33, v34
	v_mad_u64_u32 v[2:3], null, 0x104, v2, v[3:4]
	buffer_store_dword v2, off, s[20:23], 0 offset:244 ; 4-byte Folded Spill
	buffer_store_dword v3, off, s[20:23], 0 offset:248 ; 4-byte Folded Spill
	v_mul_lo_u32 v2, v28, s4
	v_min_f64 v[19:20], v[19:20], v[4:5]
	v_ashrrev_i32_e32 v32, 3, v32
	buffer_store_dword v2, off, s[20:23], 0 offset:252 ; 4-byte Folded Spill
	v_min_f64 v[2:3], v[6:7], v[4:5]
	v_min_f64 v[6:7], v[8:9], v[4:5]
	v_min_f64 v[8:9], v[10:11], v[4:5]
	v_min_f64 v[11:12], v[12:13], v[4:5]
	v_min_f64 v[13:14], v[14:15], v[4:5]
	v_min_f64 v[15:16], v[16:17], v[4:5]
	v_min_f64 v[4:5], v[21:22], v[4:5]
	v_and_b32_e32 v10, 3, v0
	v_lshlrev_b32_e32 v17, 2, v28
	v_lshlrev_b32_e32 v28, 2, v32
	v_ashrrev_i32_e32 v32, 3, v34
	v_lshlrev_b32_e32 v22, 4, v30
	v_lshlrev_b32_e32 v122, 2, v10
	v_add3_u32 v17, v31, v17, 0xae40
	v_lshlrev_b32_e32 v21, 2, v32
	buffer_store_dword v17, off, s[20:23], 0 offset:256 ; 4-byte Folded Spill
	v_mul_lo_u32 v17, v30, s4
	v_cvt_i32_f64_e32 v2, v[2:3]
	v_mul_lo_u32 v3, v33, s4
	buffer_store_dword v17, off, s[20:23], 0 offset:260 ; 4-byte Folded Spill
	v_cvt_i32_f64_e32 v4, v[4:5]
	v_add3_u32 v17, v28, v122, 0xa200
	v_or_b32_e32 v5, 0x8200, v101
	buffer_store_dword v3, off, s[20:23], 0 offset:264 ; 4-byte Folded Spill
	v_cvt_i32_f64_e32 v3, v[6:7]
	v_cvt_i32_f64_e32 v7, v[8:9]
	;; [unrolled: 1-line block ×6, first 2 shown]
	v_and_b32_e32 v6, 63, v29
	v_add3_u32 v8, v21, v122, 0xa200
	v_lshlrev_b32_e32 v14, 4, v33
	v_and_b32_e32 v16, 28, v126
	v_lshlrev_b32_e32 v28, 7, v27
	v_or_b32_e32 v12, s7, v6
	v_lshl_or_b32 v6, v6, 4, v122
	v_mul_lo_u32 v2, s11, v2
	v_mov_b32_e32 v21, v18
	v_add_co_u32 v67, s0, s2, v16
	v_min_i32_e32 v12, s1, v12
	v_add_nc_u32_e32 v255, 0xaa40, v6
	v_mul_lo_u32 v4, s11, v4
	s_movk_i32 s1, 0x6180
	v_add_nc_u32_e32 v164, v5, v28
	v_mad_u32_u24 v154, 0x104, v0, s1
	v_mul_lo_u32 v6, s11, v7
	v_mul_lo_u32 v7, s11, v9
	v_mad_u64_u32 v[19:20], null, v12, s11, v[10:11]
	v_mul_lo_u32 v9, s11, v11
	v_mul_lo_u32 v11, s11, v15
	v_mul_lo_u32 v10, s11, v13
	v_add_nc_u32_e32 v13, 64, v0
	v_lshlrev_b32_e32 v15, 2, v37
	buffer_store_dword v19, off, s[20:23], 0 offset:268 ; 4-byte Folded Spill
	buffer_store_dword v20, off, s[20:23], 0 offset:272 ; 4-byte Folded Spill
	buffer_store_dword v2, off, s[20:23], 0 ; 4-byte Folded Spill
	buffer_store_dword v38, off, s[20:23], 0 offset:284 ; 4-byte Folded Spill
	buffer_store_dword v4, off, s[20:23], 0 offset:28 ; 4-byte Folded Spill
	;; [unrolled: 1-line block ×3, first 2 shown]
	v_add_nc_u32_e32 v11, 32, v0
	v_add_nc_u32_e32 v4, 0x60, v0
	v_lshrrev_b32_e32 v138, 3, v13
	v_add3_u32 v15, v126, v15, 0xae40
	buffer_store_dword v0, off, s[20:23], 0 offset:288 ; 4-byte Folded Spill
	v_lshrrev_b32_e32 v137, 3, v11
	v_lshrrev_b32_e32 v139, 3, v4
	v_add_nc_u32_e32 v0, v17, v22
	buffer_store_dword v15, off, s[20:23], 0 offset:32 ; 4-byte Folded Spill
	v_and_b32_e32 v15, 60, v138
	v_and_b32_e32 v19, 60, v137
	v_mul_lo_u32 v3, s11, v3
	v_lshlrev_b32_e32 v2, 7, v38
	v_and_b32_e32 v20, 60, v139
	v_add3_u32 v15, v126, v15, 0xae40
	buffer_store_dword v0, off, s[20:23], 0 offset:276 ; 4-byte Folded Spill
	v_add_nc_u32_e32 v0, v8, v14
	v_add3_u32 v19, v126, v19, 0xae40
	buffer_store_dword v6, off, s[20:23], 0 offset:8 ; 4-byte Folded Spill
	buffer_store_dword v3, off, s[20:23], 0 offset:4 ; 4-byte Folded Spill
	v_lshlrev_b32_e32 v3, 7, v23
	v_lshlrev_b32_e32 v6, 7, v1
	buffer_store_dword v7, off, s[20:23], 0 offset:12 ; 4-byte Folded Spill
	v_lshlrev_b32_e32 v7, 7, v24
	buffer_store_dword v9, off, s[20:23], 0 offset:16 ; 4-byte Folded Spill
	;; [unrolled: 2-line block ×3, first 2 shown]
	v_lshlrev_b32_e32 v10, 7, v25
	v_lshlrev_b32_e32 v12, 7, v26
	;; [unrolled: 1-line block ×4, first 2 shown]
	buffer_store_dword v15, off, s[20:23], 0 offset:40 ; 4-byte Folded Spill
	v_lshlrev_b32_e32 v4, 2, v4
	v_add3_u32 v15, v126, v20, 0xae40
	buffer_store_dword v0, off, s[20:23], 0 offset:280 ; 4-byte Folded Spill
	v_add_nc_u32_e32 v0, v5, v2
	buffer_store_dword v19, off, s[20:23], 0 offset:36 ; 4-byte Folded Spill
	v_mov_b32_e32 v19, v18
	v_mov_b32_e32 v20, v18
	buffer_store_dword v15, off, s[20:23], 0 offset:44 ; 4-byte Folded Spill
	buffer_store_dword v0, off, s[20:23], 0 offset:48 ; 4-byte Folded Spill
	v_add_nc_u32_e32 v0, v5, v3
	v_add_nc_u32_e32 v159, v5, v6
	;; [unrolled: 1-line block ×6, first 2 shown]
	v_lshlrev_b32_e32 v165, 2, v11
	v_lshlrev_b32_e32 v166, 2, v13
	;; [unrolled: 1-line block ×3, first 2 shown]
	v_mov_b32_e32 v14, v18
	v_mov_b32_e32 v33, v21
	;; [unrolled: 1-line block ×7, first 2 shown]
	v_add_co_ci_u32_e64 v68, null, s3, 0, s0
	v_mov_b32_e32 v15, v19
	v_mov_b32_e32 v16, v20
	;; [unrolled: 1-line block ×21, first 2 shown]
	buffer_store_dword v37, off, s[20:23], 0 offset:56 ; 4-byte Folded Spill
	buffer_store_dword v0, off, s[20:23], 0 offset:52 ; 4-byte Folded Spill
.LBB176_5:                              ; =>This Loop Header: Depth=1
                                        ;     Child Loop BB176_6 Depth 2
                                        ;     Child Loop BB176_8 Depth 2
	buffer_load_dword v0, off, s[20:23], 0 offset:56 ; 4-byte Folded Reload
	s_mul_i32 s0, s9, 0xd2
	s_mul_hi_u32 s1, s9, 0xd2
	s_add_u32 s0, s5, s0
	s_addc_u32 s1, s8, s1
	v_mov_b32_e32 v158, v255
	s_mov_b32 s15, 0
	s_waitcnt vmcnt(0)
	v_mad_u64_u32 v[34:35], null, 0xd2, v0, s[0:1]
	buffer_load_dword v0, off, s[20:23], 0 offset:60 ; 4-byte Folded Reload
	s_waitcnt vmcnt(0)
	v_mad_i64_i32 v[36:37], null, 0xd2, v0, v[34:35]
	buffer_load_dword v0, off, s[20:23], 0 offset:72 ; 4-byte Folded Reload
	v_add_co_u32 v42, vcc_lo, v36, v101
	v_add_co_ci_u32_e64 v43, null, 0, v37, vcc_lo
	v_add_co_u32 v36, vcc_lo, v36, v102
	v_add_co_ci_u32_e64 v37, null, 0, v37, vcc_lo
	s_waitcnt vmcnt(0)
	v_mad_i64_i32 v[38:39], null, 0xd2, v0, v[34:35]
	buffer_load_dword v0, off, s[20:23], 0 offset:84 ; 4-byte Folded Reload
	v_add_co_u32 v44, vcc_lo, v38, v101
	v_add_co_ci_u32_e64 v45, null, 0, v39, vcc_lo
	v_add_co_u32 v38, vcc_lo, v38, v102
	v_add_co_ci_u32_e64 v39, null, 0, v39, vcc_lo
	;; [unrolled: 7-line block ×4, first 2 shown]
	s_waitcnt vmcnt(0)
	v_mad_i64_i32 v[50:51], null, 0xd2, v0, v[34:35]
	v_add_co_u32 v76, vcc_lo, v50, v101
	v_add_co_ci_u32_e64 v77, null, 0, v51, vcc_lo
	s_clause 0x8
	global_load_dword v72, v[42:43], off
	global_load_dword v73, v[36:37], off offset:128
	global_load_dword v70, v[44:45], off
	global_load_dword v71, v[38:39], off offset:128
	;; [unrolled: 2-line block ×4, first 2 shown]
	global_load_dword v69, v[76:77], off
	buffer_load_dword v0, off, s[20:23], 0 offset:120 ; 4-byte Folded Reload
	v_add_co_u32 v38, vcc_lo, v50, v102
	v_add_co_ci_u32_e64 v39, null, 0, v51, vcc_lo
	s_waitcnt vmcnt(6)
	v_ashrrev_i32_e32 v71, v103, v71
	s_waitcnt vmcnt(4)
	v_ashrrev_i32_e32 v49, v103, v49
	;; [unrolled: 2-line block ×3, first 2 shown]
	s_waitcnt vmcnt(0)
	v_mad_i64_i32 v[36:37], null, 0xd2, v0, v[34:35]
	buffer_load_dword v0, off, s[20:23], 0 offset:132 ; 4-byte Folded Reload
	v_add_co_u32 v42, vcc_lo, v36, v101
	v_add_co_ci_u32_e64 v43, null, 0, v37, vcc_lo
	v_add_co_u32 v36, vcc_lo, v36, v102
	v_add_co_ci_u32_e64 v37, null, 0, v37, vcc_lo
	s_waitcnt vmcnt(0)
	v_mad_i64_i32 v[40:41], null, 0xd2, v0, v[34:35]
	v_add_co_u32 v44, vcc_lo, v40, v101
	v_add_co_ci_u32_e64 v45, null, 0, v41, vcc_lo
	v_add_co_u32 v40, vcc_lo, v40, v102
	v_add_co_ci_u32_e64 v41, null, 0, v41, vcc_lo
	s_clause 0x4
	global_load_dword v0, v[38:39], off offset:128
	global_load_dword v1, v[42:43], off
	global_load_dword v54, v[36:37], off offset:128
	global_load_dword v55, v[44:45], off
	global_load_dword v56, v[40:41], off offset:128
	buffer_load_dword v36, off, s[20:23], 0 offset:144 ; 4-byte Folded Reload
	s_waitcnt vmcnt(5)
	v_ashrrev_i32_e32 v0, v103, v0
	s_waitcnt vmcnt(3)
	v_ashrrev_i32_e32 v54, v103, v54
	;; [unrolled: 2-line block ×3, first 2 shown]
	s_waitcnt vmcnt(0)
	v_mad_i64_i32 v[36:37], null, 0xd2, v36, v[34:35]
	v_add_co_u32 v38, vcc_lo, v36, v101
	v_add_co_ci_u32_e64 v39, null, 0, v37, vcc_lo
	v_add_co_u32 v40, vcc_lo, v36, v102
	buffer_load_dword v36, off, s[20:23], 0 offset:156 ; 4-byte Folded Reload
	v_add_co_ci_u32_e64 v41, null, 0, v37, vcc_lo
	s_waitcnt vmcnt(0)
	v_mad_i64_i32 v[44:45], null, 0xd2, v36, v[34:35]
	buffer_load_dword v36, off, s[20:23], 0 offset:168 ; 4-byte Folded Reload
	v_add_co_u32 v76, vcc_lo, v44, v101
	v_add_co_ci_u32_e64 v77, null, 0, v45, vcc_lo
	v_add_co_u32 v44, vcc_lo, v44, v102
	v_add_co_ci_u32_e64 v45, null, 0, v45, vcc_lo
	s_waitcnt vmcnt(0)
	v_mad_i64_i32 v[50:51], null, 0xd2, v36, v[34:35]
	s_clause 0x1
	global_load_dword v36, v[38:39], off
	global_load_dword v43, v[40:41], off offset:128
	s_clause 0x4
	buffer_load_dword v37, off, s[20:23], 0 offset:180
	buffer_load_dword v39, off, s[20:23], 0 offset:192
	;; [unrolled: 1-line block ×5, first 2 shown]
	v_add_co_u32 v78, vcc_lo, v50, v101
	v_add_co_ci_u32_e64 v79, null, 0, v51, vcc_lo
	v_add_co_u32 v50, vcc_lo, v50, v102
	v_add_co_ci_u32_e64 v51, null, 0, v51, vcc_lo
	s_waitcnt vmcnt(5)
	v_ashrrev_i32_e32 v43, v103, v43
	s_waitcnt vmcnt(4)
	v_mad_i64_i32 v[37:38], null, 0xd2, v37, v[34:35]
	s_waitcnt vmcnt(3)
	v_mad_i64_i32 v[39:40], null, 0xd2, v39, v[34:35]
	;; [unrolled: 2-line block ×4, first 2 shown]
	v_add_co_u32 v80, vcc_lo, v37, v101
	v_add_co_ci_u32_e64 v81, null, 0, v38, vcc_lo
	v_add_co_u32 v37, vcc_lo, v37, v102
	v_add_co_ci_u32_e64 v38, null, 0, v38, vcc_lo
	;; [unrolled: 2-line block ×3, first 2 shown]
	v_add_co_u32 v39, vcc_lo, v39, v102
	s_waitcnt vmcnt(0)
	v_mad_i64_i32 v[74:75], null, 0xd2, v57, v[34:35]
	v_add_co_ci_u32_e64 v40, null, 0, v40, vcc_lo
	v_add_co_u32 v84, vcc_lo, v41, v101
	v_add_co_ci_u32_e64 v85, null, 0, v42, vcc_lo
	v_add_co_u32 v86, vcc_lo, v41, v102
	;; [unrolled: 2-line block ×6, first 2 shown]
	v_add_co_ci_u32_e64 v75, null, 0, v75, vcc_lo
	s_clause 0xd
	global_load_dword v57, v[76:77], off
	global_load_dword v58, v[44:45], off offset:128
	global_load_dword v59, v[78:79], off
	global_load_dword v60, v[50:51], off offset:128
	;; [unrolled: 2-line block ×7, first 2 shown]
	s_clause 0x1
	buffer_load_dword v62, off, s[20:23], 0 offset:64
	buffer_load_dword v63, off, s[20:23], 0 offset:68
	v_lshrrev_b32_e32 v51, 4, v72
	v_ashrrev_i32_e32 v52, v103, v73
	v_and_b32_e32 v50, 0xf0f0f0f, v72
	v_and_b32_e32 v53, 0xf0f0f0f, v70
	v_lshrrev_b32_e32 v70, 4, v70
	v_and_b32_e32 v72, 0xf0f0f0f, v48
	v_lshrrev_b32_e32 v48, 4, v48
	v_and_b32_e32 v51, 0xf0f0f0f, v51
	v_lshlrev_b32_e32 v77, 4, v52
	v_and_b32_e32 v73, 0xf0f0f0f, v46
	v_and_b32_e32 v70, 0xf0f0f0f, v70
	v_lshlrev_b32_e32 v79, 4, v71
	v_and_b32_e32 v48, 0xf0f0f0f, v48
	v_lshlrev_b32_e32 v80, 4, v49
	v_lshlrev_b32_e32 v81, 4, v47
	v_and_or_b32 v50, 0x30303030, v77, v50
	v_and_or_b32 v51, 0x30303030, v52, v51
	v_lshrrev_b32_e32 v46, 4, v46
	v_and_or_b32 v52, 0x30303030, v79, v53
	v_and_or_b32 v53, 0x30303030, v71, v70
	;; [unrolled: 1-line block ×5, first 2 shown]
	v_lshrrev_b32_e32 v71, 16, v50
	v_and_b32_e32 v72, 0x3f00, v50
	v_lshlrev_b16 v50, 8, v50
	v_lshrrev_b32_e32 v73, 16, v51
	v_and_b32_e32 v74, 0xf0f0f0f, v69
	v_and_b32_e32 v46, 0xf0f0f0f, v46
	v_lshlrev_b32_e32 v82, 4, v0
	v_add_nc_u16 v50, 0xe000, v50
	v_and_b32_e32 v98, 0x3f00, v71
	v_lshlrev_b16 v71, 8, v71
	v_and_b32_e32 v99, 0x3f00, v73
	v_lshlrev_b16 v73, 8, v73
	v_and_or_b32 v46, 0x30303030, v47, v46
	v_and_or_b32 v47, 0x30303030, v82, v74
	v_and_b32_e32 v74, 0x3f00, v51
	v_lshlrev_b16 v51, 8, v51
	v_or_b32_sdwa v50, v72, v50 dst_sel:DWORD dst_unused:UNUSED_PAD src0_sel:DWORD src1_sel:BYTE_1
	v_add_nc_u16 v71, 0xe000, v71
	v_add_nc_u16 v72, 0xe000, v73
	v_lshrrev_b32_e32 v69, 4, v69
	v_add_nc_u16 v51, 0xe000, v51
	v_add_nc_u16 v50, 0xe000, v50
	v_or_b32_sdwa v71, v98, v71 dst_sel:DWORD dst_unused:UNUSED_PAD src0_sel:DWORD src1_sel:BYTE_1
	v_or_b32_sdwa v72, v99, v72 dst_sel:DWORD dst_unused:UNUSED_PAD src0_sel:DWORD src1_sel:BYTE_1
	v_and_b32_e32 v75, 0xf0f0f0f, v1
	v_or_b32_sdwa v51, v74, v51 dst_sel:DWORD dst_unused:UNUSED_PAD src0_sel:DWORD src1_sel:BYTE_1
	v_and_b32_e32 v69, 0xf0f0f0f, v69
	v_add_nc_u16 v71, 0xe000, v71
	v_add_nc_u16 v72, 0xe000, v72
	v_lshlrev_b32_e32 v83, 4, v54
	v_add_nc_u16 v51, 0xe000, v51
	v_lshrrev_b32_e32 v1, 4, v1
	v_lshlrev_b32_e32 v71, 16, v71
	v_lshlrev_b32_e32 v72, 16, v72
	v_and_or_b32 v0, 0x30303030, v0, v69
	v_and_or_b32 v69, 0x30303030, v83, v75
	v_lshrrev_b32_e32 v75, 16, v52
	v_or_b32_sdwa v50, v50, v71 dst_sel:DWORD dst_unused:UNUSED_PAD src0_sel:WORD_0 src1_sel:DWORD
	v_or_b32_sdwa v51, v51, v72 dst_sel:DWORD dst_unused:UNUSED_PAD src0_sel:WORD_0 src1_sel:DWORD
	v_lshrrev_b32_e32 v77, 16, v53
	v_and_b32_e32 v76, 0xf0f0f0f, v55
	v_and_b32_e32 v1, 0xf0f0f0f, v1
	v_lshlrev_b32_e32 v84, 4, v56
	v_and_b32_e32 v100, 0x3f00, v75
	v_lshlrev_b16 v75, 8, v75
	v_and_b32_e32 v104, 0x3f00, v77
	v_lshlrev_b16 v77, 8, v77
	v_and_or_b32 v1, 0x30303030, v54, v1
	v_and_or_b32 v54, 0x30303030, v84, v76
	v_and_b32_e32 v76, 0x3f00, v52
	v_lshlrev_b16 v52, 8, v52
	v_and_b32_e32 v79, 0x3f00, v53
	v_lshlrev_b16 v53, 8, v53
	v_add_nc_u16 v73, 0xe000, v75
	v_add_nc_u16 v74, 0xe000, v77
	v_add_nc_u16 v52, 0xe000, v52
	v_lshrrev_b32_e32 v80, 16, v70
	v_add_nc_u16 v53, 0xe000, v53
	v_or_b32_sdwa v73, v100, v73 dst_sel:DWORD dst_unused:UNUSED_PAD src0_sel:DWORD src1_sel:BYTE_1
	v_or_b32_sdwa v74, v104, v74 dst_sel:DWORD dst_unused:UNUSED_PAD src0_sel:DWORD src1_sel:BYTE_1
	v_or_b32_sdwa v52, v76, v52 dst_sel:DWORD dst_unused:UNUSED_PAD src0_sel:DWORD src1_sel:BYTE_1
	v_lshrrev_b32_e32 v82, 16, v48
	v_or_b32_sdwa v53, v79, v53 dst_sel:DWORD dst_unused:UNUSED_PAD src0_sel:DWORD src1_sel:BYTE_1
	v_add_nc_u16 v73, 0xe000, v73
	v_add_nc_u16 v74, 0xe000, v74
	v_add_nc_u16 v52, 0xe000, v52
	v_and_b32_e32 v105, 0x3f00, v80
	v_add_nc_u16 v53, 0xe000, v53
	v_lshlrev_b32_e32 v73, 16, v73
	v_lshlrev_b32_e32 v74, 16, v74
	v_lshlrev_b16 v80, 8, v80
	v_and_b32_e32 v106, 0x3f00, v82
	v_lshlrev_b16 v82, 8, v82
	v_or_b32_sdwa v52, v52, v73 dst_sel:DWORD dst_unused:UNUSED_PAD src0_sel:WORD_0 src1_sel:DWORD
	v_or_b32_sdwa v53, v53, v74 dst_sel:DWORD dst_unused:UNUSED_PAD src0_sel:WORD_0 src1_sel:DWORD
	v_and_b32_e32 v81, 0x3f00, v70
	v_lshlrev_b16 v70, 8, v70
	v_and_b32_e32 v83, 0x3f00, v48
	v_lshlrev_b16 v48, 8, v48
	v_add_nc_u16 v75, 0xe000, v80
	v_add_nc_u16 v76, 0xe000, v82
	v_add_nc_u16 v70, 0xe000, v70
	v_lshrrev_b32_e32 v84, 16, v49
	v_add_nc_u16 v48, 0xe000, v48
	v_or_b32_sdwa v75, v105, v75 dst_sel:DWORD dst_unused:UNUSED_PAD src0_sel:DWORD src1_sel:BYTE_1
	v_or_b32_sdwa v76, v106, v76 dst_sel:DWORD dst_unused:UNUSED_PAD src0_sel:DWORD src1_sel:BYTE_1
	v_or_b32_sdwa v70, v81, v70 dst_sel:DWORD dst_unused:UNUSED_PAD src0_sel:DWORD src1_sel:BYTE_1
	v_lshrrev_b32_e32 v86, 16, v46
	v_or_b32_sdwa v48, v83, v48 dst_sel:DWORD dst_unused:UNUSED_PAD src0_sel:DWORD src1_sel:BYTE_1
	v_add_nc_u16 v75, 0xe000, v75
	v_add_nc_u16 v76, 0xe000, v76
	v_add_nc_u16 v70, 0xe000, v70
	v_and_b32_e32 v107, 0x3f00, v84
	v_add_nc_u16 v48, 0xe000, v48
	v_lshlrev_b32_e32 v75, 16, v75
	v_lshlrev_b32_e32 v76, 16, v76
	v_lshlrev_b16 v84, 8, v84
	v_and_b32_e32 v108, 0x3f00, v86
	v_lshlrev_b16 v86, 8, v86
	v_or_b32_sdwa v70, v70, v75 dst_sel:DWORD dst_unused:UNUSED_PAD src0_sel:WORD_0 src1_sel:DWORD
	v_or_b32_sdwa v48, v48, v76 dst_sel:DWORD dst_unused:UNUSED_PAD src0_sel:WORD_0 src1_sel:DWORD
	;; [unrolled: 26-line block ×4, first 2 shown]
	v_and_b32_e32 v93, 0x3f00, v69
	v_lshlrev_b16 v69, 8, v69
	v_and_b32_e32 v95, 0x3f00, v1
	v_lshlrev_b16 v1, 8, v1
	v_add_nc_u16 v82, 0xe000, v92
	v_add_nc_u16 v83, 0xe000, v94
	;; [unrolled: 1-line block ×3, first 2 shown]
	v_lshrrev_b32_e32 v96, 16, v54
	v_add_nc_u16 v1, 0xe000, v1
	v_or_b32_sdwa v82, v111, v82 dst_sel:DWORD dst_unused:UNUSED_PAD src0_sel:DWORD src1_sel:BYTE_1
	v_or_b32_sdwa v83, v112, v83 dst_sel:DWORD dst_unused:UNUSED_PAD src0_sel:DWORD src1_sel:BYTE_1
	v_lshrrev_b32_e32 v55, 4, v55
	v_or_b32_sdwa v69, v93, v69 dst_sel:DWORD dst_unused:UNUSED_PAD src0_sel:DWORD src1_sel:BYTE_1
	v_or_b32_sdwa v1, v95, v1 dst_sel:DWORD dst_unused:UNUSED_PAD src0_sel:DWORD src1_sel:BYTE_1
	v_add_nc_u16 v82, 0xe000, v82
	v_add_nc_u16 v83, 0xe000, v83
	v_and_b32_e32 v113, 0x3f00, v96
	v_lshlrev_b16 v96, 8, v96
	v_add_nc_u16 v69, 0xe000, v69
	v_add_nc_u16 v1, 0xe000, v1
	v_lshlrev_b32_e32 v82, 16, v82
	v_lshlrev_b32_e32 v83, 16, v83
	v_and_b32_e32 v97, 0x3f00, v54
	v_lshlrev_b16 v54, 8, v54
	v_or_b32_sdwa v1, v1, v83 dst_sel:DWORD dst_unused:UNUSED_PAD src0_sel:WORD_0 src1_sel:DWORD
	v_add_nc_u16 v54, 0xe000, v54
	s_waitcnt vmcnt(14)
	v_ashrrev_i32_e32 v58, v103, v58
	s_waitcnt vmcnt(8)
	v_ashrrev_i32_e32 v45, v103, v45
	;; [unrolled: 2-line block ×4, first 2 shown]
	s_waitcnt vmcnt(1)
	ds_write2_b32 v62, v50, v51 offset1:16
	s_clause 0x1
	buffer_load_dword v50, off, s[20:23], 0 offset:76
	buffer_load_dword v51, off, s[20:23], 0 offset:80
	v_ashrrev_i32_e32 v38, v103, v38
	s_waitcnt vmcnt(1)
	ds_write2_b32 v50, v52, v53 offset1:16
	s_clause 0x1
	buffer_load_dword v50, off, s[20:23], 0 offset:88
	buffer_load_dword v51, off, s[20:23], 0 offset:92
	s_waitcnt vmcnt(1)
	ds_write2_b32 v50, v70, v48 offset1:16
	s_clause 0x2
	buffer_load_dword v50, off, s[20:23], 0 offset:100
	buffer_load_dword v51, off, s[20:23], 0 offset:104
	;; [unrolled: 1-line block ×3, first 2 shown]
	v_and_b32_e32 v48, 0xf0f0f0f, v55
	v_and_or_b32 v48, 0x30303030, v56, v48
	s_waitcnt vmcnt(2)
	ds_write2_b32 v50, v49, v46 offset1:16
	v_add_nc_u16 v46, 0xe000, v96
	s_waitcnt vmcnt(0)
	v_mad_i64_i32 v[34:35], null, 0xd2, v51, v[34:35]
	s_clause 0x1
	buffer_load_dword v51, off, s[20:23], 0 offset:112
	buffer_load_dword v52, off, s[20:23], 0 offset:116
	v_or_b32_sdwa v49, v69, v82 dst_sel:DWORD dst_unused:UNUSED_PAD src0_sel:WORD_0 src1_sel:DWORD
	v_or_b32_sdwa v46, v113, v46 dst_sel:DWORD dst_unused:UNUSED_PAD src0_sel:DWORD src1_sel:BYTE_1
	v_or_b32_sdwa v50, v97, v54 dst_sel:DWORD dst_unused:UNUSED_PAD src0_sel:DWORD src1_sel:BYTE_1
	s_waitcnt vmcnt(1)
	ds_write2_b32 v51, v47, v0 offset1:16
	s_clause 0x1
	buffer_load_dword v51, off, s[20:23], 0 offset:124
	buffer_load_dword v52, off, s[20:23], 0 offset:128
	v_add_nc_u16 v0, 0xe000, v50
	v_lshlrev_b16 v50, 8, v48
	v_add_nc_u16 v50, 0xe000, v50
	s_waitcnt vmcnt(1)
	ds_write2_b32 v51, v49, v1 offset1:16
	v_lshrrev_b32_e32 v49, 16, v48
	v_add_nc_u16 v1, 0xe000, v46
	v_add_co_u32 v46, vcc_lo, v34, v101
	v_add_co_ci_u32_e64 v47, null, 0, v35, vcc_lo
	v_add_co_u32 v34, vcc_lo, v34, v102
	v_lshlrev_b16 v51, 8, v49
	v_add_co_ci_u32_e64 v35, null, 0, v35, vcc_lo
	s_clause 0x1
	global_load_dword v54, v[46:47], off
	global_load_dword v55, v[34:35], off offset:128
	v_and_b32_e32 v34, 0x3f00, v49
	v_add_nc_u16 v35, 0xe000, v51
	v_and_b32_e32 v48, 0x3f00, v48
	v_and_b32_e32 v46, 0xf0f0f0f, v36
	v_lshlrev_b32_e32 v47, 4, v43
	v_lshrrev_b32_e32 v36, 4, v36
	v_or_b32_sdwa v79, v34, v35 dst_sel:DWORD dst_unused:UNUSED_PAD src0_sel:DWORD src1_sel:BYTE_1
	buffer_load_dword v34, off, s[20:23], 0 offset:260 ; 4-byte Folded Reload
	v_or_b32_sdwa v56, v48, v50 dst_sel:DWORD dst_unused:UNUSED_PAD src0_sel:DWORD src1_sel:BYTE_1
	s_clause 0x1
	buffer_load_dword v48, off, s[20:23], 0 offset:264
	buffer_load_dword v50, off, s[20:23], 0
	v_and_or_b32 v80, 0x30303030, v47, v46
	buffer_load_dword v46, off, s[20:23], 0 offset:252 ; 4-byte Folded Reload
	v_and_b32_e32 v36, 0xf0f0f0f, v36
	v_lshlrev_b32_e32 v1, 16, v1
	v_lshrrev_b32_e32 v81, 16, v80
	v_and_or_b32 v36, 0x30303030, v43, v36
	v_or_b32_sdwa v0, v0, v1 dst_sel:DWORD dst_unused:UNUSED_PAD src0_sel:WORD_0 src1_sel:DWORD
	s_waitcnt vmcnt(3)
	v_mad_i64_i32 v[34:35], null, 0xd2, v34, s[0:1]
	s_waitcnt vmcnt(2)
	v_mad_i64_i32 v[48:49], null, 0xd2, v48, s[0:1]
	s_waitcnt vmcnt(0)
	v_mad_i64_i32 v[46:47], null, 0xd2, v46, s[0:1]
	s_lshl_b32 s0, s9, 3
	v_add_co_u32 v34, vcc_lo, v34, v122
	v_add_co_ci_u32_e64 v35, null, 0, v35, vcc_lo
	v_add_co_u32 v48, vcc_lo, v48, v122
	v_add_co_ci_u32_e64 v49, null, 0, v49, vcc_lo
	s_clause 0x2
	global_load_ushort v82, v[46:47], off offset:208
	global_load_dword v83, v[34:35], off offset:192
	global_load_dword v84, v[48:49], off offset:192
	s_clause 0x1
	buffer_load_dword v34, off, s[20:23], 0 offset:268
	buffer_load_dword v35, off, s[20:23], 0 offset:272
	v_add_nc_u32_e32 v72, s0, v128
	s_mov_b32 s1, -1
	s_clause 0x3
	buffer_load_dword v47, off, s[20:23], 0 offset:8
	buffer_load_dword v49, off, s[20:23], 0 offset:12
	;; [unrolled: 1-line block ×4, first 2 shown]
	v_add_nc_u32_e32 v50, v72, v50
	s_waitcnt vmcnt(5)
	v_add_nc_u32_e32 v71, s0, v34
	buffer_load_dword v34, off, s[20:23], 0 offset:4 ; 4-byte Folded Reload
	s_waitcnt vmcnt(4)
	v_add_nc_u32_e32 v48, v72, v47
	s_waitcnt vmcnt(2)
	v_add_nc_u32_e32 v52, v72, v51
	buffer_load_dword v51, off, s[20:23], 0 offset:20 ; 4-byte Folded Reload
	s_waitcnt vmcnt(2)
	v_add_nc_u32_e32 v74, v72, v62
	buffer_load_dword v62, off, s[20:23], 0 offset:28 ; 4-byte Folded Reload
	v_mad_i64_i32 v[52:53], null, v52, 36, v[67:68]
	v_mad_i64_i32 v[74:75], null, v74, 36, v[67:68]
	s_waitcnt vmcnt(2)
	v_add_nc_u32_e32 v46, v72, v34
	v_mad_i64_i32 v[34:35], null, v50, 36, v[67:68]
	v_add_nc_u32_e32 v50, v72, v49
	v_mad_i64_i32 v[48:49], null, v48, 36, v[67:68]
	v_mad_i64_i32 v[46:47], null, v46, 36, v[67:68]
	s_waitcnt vmcnt(1)
	v_add_nc_u32_e32 v69, v72, v51
	v_mad_i64_i32 v[50:51], null, v50, 36, v[67:68]
	s_waitcnt vmcnt(0)
	v_add_nc_u32_e32 v76, v72, v62
	v_mad_u64_u32 v[72:73], null, v71, 36, s[2:3]
	v_mad_i64_i32 v[69:70], null, v69, 36, v[67:68]
	v_mad_i64_i32 v[76:77], null, v76, 36, v[67:68]
	s_clause 0x8
	global_load_dword v34, v[34:35], off offset:4
	global_load_dword v35, v[46:47], off offset:4
	;; [unrolled: 1-line block ×4, first 2 shown]
	global_load_dword v48, v[72:73], off
	global_load_dword v49, v[52:53], off offset:4
	global_load_dword v50, v[69:70], off offset:4
	;; [unrolled: 1-line block ×4, first 2 shown]
	s_clause 0x1
	buffer_load_dword v62, off, s[20:23], 0 offset:136
	buffer_load_dword v63, off, s[20:23], 0 offset:140
	v_add_nc_u16 v69, 0xe000, v79
	v_add_nc_u16 v53, 0xe000, v56
	v_lshlrev_b16 v56, 8, v80
	v_lshlrev_b16 v70, 8, v81
	v_and_b32_e32 v72, 0x3f00, v80
	v_and_b32_e32 v73, 0x3f00, v81
	v_lshlrev_b32_e32 v43, 16, v69
	v_add_nc_u16 v56, 0xe000, v56
	v_add_nc_u16 v70, 0xe000, v70
	v_lshrrev_b32_e32 v69, 16, v36
	v_or_b32_sdwa v43, v53, v43 dst_sel:DWORD dst_unused:UNUSED_PAD src0_sel:WORD_0 src1_sel:DWORD
	v_or_b32_sdwa v56, v72, v56 dst_sel:DWORD dst_unused:UNUSED_PAD src0_sel:DWORD src1_sel:BYTE_1
	v_or_b32_sdwa v1, v73, v70 dst_sel:DWORD dst_unused:UNUSED_PAD src0_sel:DWORD src1_sel:BYTE_1
	v_lshlrev_b16 v70, 8, v69
	v_and_b32_e32 v69, 0x3f00, v69
	v_and_b32_e32 v72, 0xf0f0f0f, v57
	v_lshlrev_b32_e32 v73, 4, v58
	v_add_nc_u16 v53, 0xe000, v56
	v_lshlrev_b16 v56, 8, v36
	v_add_nc_u16 v1, 0xe000, v1
	v_add_nc_u16 v70, 0xe000, v70
	v_and_b32_e32 v36, 0x3f00, v36
	v_add_nc_u16 v56, 0xe000, v56
	v_lshlrev_b32_e32 v1, 16, v1
	v_or_b32_sdwa v36, v36, v56 dst_sel:DWORD dst_unused:UNUSED_PAD src0_sel:DWORD src1_sel:BYTE_1
	v_or_b32_sdwa v1, v53, v1 dst_sel:DWORD dst_unused:UNUSED_PAD src0_sel:WORD_0 src1_sel:DWORD
	v_lshrrev_b32_e32 v53, 4, v57
	v_add_nc_u16 v36, 0xe000, v36
	v_and_b32_e32 v53, 0xf0f0f0f, v53
	v_and_or_b32 v53, 0x30303030, v58, v53
	s_waitcnt vmcnt(1)
	ds_write2_b32 v62, v0, v43 offset1:16
	v_or_b32_sdwa v0, v69, v70 dst_sel:DWORD dst_unused:UNUSED_PAD src0_sel:DWORD src1_sel:BYTE_1
	v_and_or_b32 v43, 0x30303030, v73, v72
	s_clause 0x1
	buffer_load_dword v62, off, s[20:23], 0 offset:148
	buffer_load_dword v63, off, s[20:23], 0 offset:152
	v_add_nc_u16 v0, 0xe000, v0
	v_lshrrev_b32_e32 v56, 16, v43
	v_lshlrev_b16 v57, 8, v43
	v_and_b32_e32 v43, 0x3f00, v43
	v_lshlrev_b32_e32 v0, 16, v0
	v_lshlrev_b16 v69, 8, v56
	v_add_nc_u16 v57, 0xe000, v57
	v_or_b32_sdwa v0, v36, v0 dst_sel:DWORD dst_unused:UNUSED_PAD src0_sel:WORD_0 src1_sel:DWORD
	v_and_b32_e32 v36, 0x3f00, v56
	v_add_nc_u16 v56, 0xe000, v69
	v_or_b32_sdwa v43, v43, v57 dst_sel:DWORD dst_unused:UNUSED_PAD src0_sel:DWORD src1_sel:BYTE_1
	v_lshrrev_b32_e32 v57, 16, v53
	s_waitcnt vmcnt(1)
	ds_write2_b32 v62, v1, v0 offset1:16
	v_ashrrev_i32_e32 v0, v103, v60
	v_or_b32_sdwa v1, v36, v56 dst_sel:DWORD dst_unused:UNUSED_PAD src0_sel:DWORD src1_sel:BYTE_1
	v_add_nc_u16 v36, 0xe000, v43
	v_lshlrev_b16 v43, 8, v57
	v_and_b32_e32 v56, 0xf0f0f0f, v59
	v_lshlrev_b16 v60, 8, v53
	v_and_b32_e32 v57, 0x3f00, v57
	v_and_b32_e32 v53, 0x3f00, v53
	v_lshrrev_b32_e32 v59, 4, v59
	v_lshlrev_b32_e32 v58, 4, v0
	v_add_nc_u16 v43, 0xe000, v43
	v_add_nc_u16 v1, 0xe000, v1
	v_and_b32_e32 v59, 0xf0f0f0f, v59
	v_and_or_b32 v56, 0x30303030, v58, v56
	v_add_nc_u16 v58, 0xe000, v60
	v_or_b32_sdwa v43, v57, v43 dst_sel:DWORD dst_unused:UNUSED_PAD src0_sel:DWORD src1_sel:BYTE_1
	v_lshlrev_b32_e32 v1, 16, v1
	v_and_or_b32 v0, 0x30303030, v0, v59
	v_ashrrev_i32_e32 v59, v103, v78
	v_lshrrev_b32_e32 v57, 16, v56
	v_or_b32_sdwa v53, v53, v58 dst_sel:DWORD dst_unused:UNUSED_PAD src0_sel:DWORD src1_sel:BYTE_1
	v_lshlrev_b16 v58, 8, v56
	v_add_nc_u16 v43, 0xe000, v43
	v_and_b32_e32 v56, 0x3f00, v56
	v_or_b32_sdwa v1, v36, v1 dst_sel:DWORD dst_unused:UNUSED_PAD src0_sel:WORD_0 src1_sel:DWORD
	v_lshlrev_b32_e32 v69, 4, v59
	v_lshlrev_b16 v60, 8, v57
	v_add_nc_u16 v58, 0xe000, v58
	v_and_b32_e32 v57, 0x3f00, v57
	v_add_nc_u16 v53, 0xe000, v53
	v_lshlrev_b32_e32 v43, 16, v43
	v_add_nc_u16 v60, 0xe000, v60
	v_or_b32_sdwa v56, v56, v58 dst_sel:DWORD dst_unused:UNUSED_PAD src0_sel:DWORD src1_sel:BYTE_1
	v_lshrrev_b32_e32 v58, 16, v0
	v_or_b32_sdwa v36, v53, v43 dst_sel:DWORD dst_unused:UNUSED_PAD src0_sel:WORD_0 src1_sel:DWORD
	v_or_b32_sdwa v57, v57, v60 dst_sel:DWORD dst_unused:UNUSED_PAD src0_sel:DWORD src1_sel:BYTE_1
	v_add_nc_u16 v43, 0xe000, v56
	v_lshlrev_b16 v56, 8, v58
	v_and_b32_e32 v58, 0x3f00, v58
	v_and_b32_e32 v60, 0xf0f0f0f, v61
	v_add_nc_u16 v53, 0xe000, v57
	v_lshlrev_b16 v57, 8, v0
	v_add_nc_u16 v56, 0xe000, v56
	v_and_b32_e32 v0, 0x3f00, v0
	v_lshlrev_b32_e32 v53, 16, v53
	v_add_nc_u16 v57, 0xe000, v57
	v_or_b32_sdwa v56, v58, v56 dst_sel:DWORD dst_unused:UNUSED_PAD src0_sel:DWORD src1_sel:BYTE_1
	v_and_or_b32 v58, 0x30303030, v69, v60
	v_or_b32_sdwa v43, v43, v53 dst_sel:DWORD dst_unused:UNUSED_PAD src0_sel:WORD_0 src1_sel:DWORD
	v_or_b32_sdwa v0, v0, v57 dst_sel:DWORD dst_unused:UNUSED_PAD src0_sel:DWORD src1_sel:BYTE_1
	v_lshrrev_b32_e32 v57, 4, v61
	v_lshlrev_b16 v60, 8, v58
	v_add_nc_u16 v53, 0xe000, v56
	v_add_nc_u16 v0, 0xe000, v0
	v_and_b32_e32 v56, 0xf0f0f0f, v57
	v_lshrrev_b32_e32 v57, 16, v58
	v_and_b32_e32 v58, 0x3f00, v58
	v_add_nc_u16 v60, 0xe000, v60
	v_lshlrev_b32_e32 v53, 16, v53
	v_and_or_b32 v56, 0x30303030, v59, v56
	v_lshlrev_b16 v59, 8, v57
	v_or_b32_sdwa v58, v58, v60 dst_sel:DWORD dst_unused:UNUSED_PAD src0_sel:DWORD src1_sel:BYTE_1
	s_clause 0x1
	buffer_load_dword v60, off, s[20:23], 0 offset:160
	buffer_load_dword v61, off, s[20:23], 0 offset:164
	v_or_b32_sdwa v0, v0, v53 dst_sel:DWORD dst_unused:UNUSED_PAD src0_sel:WORD_0 src1_sel:DWORD
	v_and_b32_e32 v53, 0x3f00, v57
	v_lshrrev_b32_e32 v57, 16, v56
	v_add_nc_u16 v59, 0xe000, v59
	s_waitcnt vmcnt(1)
	ds_write2_b32 v60, v1, v36 offset1:16
	v_or_b32_sdwa v1, v53, v59 dst_sel:DWORD dst_unused:UNUSED_PAD src0_sel:DWORD src1_sel:BYTE_1
	v_and_b32_e32 v53, 0x3f00, v57
	v_add_nc_u16 v36, 0xe000, v58
	s_clause 0x1
	buffer_load_dword v60, off, s[20:23], 0 offset:172
	buffer_load_dword v61, off, s[20:23], 0 offset:176
	v_add_nc_u16 v1, 0xe000, v1
	v_lshlrev_b32_e32 v1, 16, v1
	v_or_b32_sdwa v1, v36, v1 dst_sel:DWORD dst_unused:UNUSED_PAD src0_sel:WORD_0 src1_sel:DWORD
	s_waitcnt vmcnt(1)
	ds_write2_b32 v60, v43, v0 offset1:16
	v_lshlrev_b16 v0, 8, v57
	v_lshlrev_b32_e32 v57, 4, v45
	v_lshlrev_b16 v43, 8, v56
	v_and_b32_e32 v56, 0x3f00, v56
	v_add_nc_u16 v0, 0xe000, v0
	v_add_nc_u16 v43, 0xe000, v43
	v_or_b32_sdwa v0, v53, v0 dst_sel:DWORD dst_unused:UNUSED_PAD src0_sel:DWORD src1_sel:BYTE_1
	v_and_b32_e32 v53, 0xf0f0f0f, v44
	v_lshrrev_b32_e32 v44, 4, v44
	v_or_b32_sdwa v43, v56, v43 dst_sel:DWORD dst_unused:UNUSED_PAD src0_sel:DWORD src1_sel:BYTE_1
	v_add_nc_u16 v0, 0xe000, v0
	v_and_or_b32 v53, 0x30303030, v57, v53
	s_clause 0x1
	buffer_load_dword v57, off, s[20:23], 0 offset:184
	buffer_load_dword v58, off, s[20:23], 0 offset:188
	v_and_b32_e32 v44, 0xf0f0f0f, v44
	v_add_nc_u16 v43, 0xe000, v43
	v_lshlrev_b32_e32 v0, 16, v0
	v_and_or_b32 v36, 0x30303030, v45, v44
	v_lshrrev_b32_e32 v44, 16, v53
	v_lshlrev_b16 v45, 8, v53
	v_or_b32_sdwa v0, v43, v0 dst_sel:DWORD dst_unused:UNUSED_PAD src0_sel:WORD_0 src1_sel:DWORD
	v_and_b32_e32 v43, 0x3f00, v53
	v_lshrrev_b32_e32 v53, 16, v36
	v_lshlrev_b16 v56, 8, v44
	v_add_nc_u16 v45, 0xe000, v45
	v_or_b32_sdwa v43, v43, v45 dst_sel:DWORD dst_unused:UNUSED_PAD src0_sel:DWORD src1_sel:BYTE_1
	v_lshlrev_b16 v45, 8, v36
	v_and_b32_e32 v36, 0x3f00, v36
	v_add_nc_u16 v43, 0xe000, v43
	s_waitcnt vmcnt(1)
	ds_write2_b32 v57, v1, v0 offset1:16
	v_and_b32_e32 v0, 0x3f00, v44
	v_add_nc_u16 v44, 0xe000, v56
	v_lshlrev_b16 v1, 8, v53
	v_and_b32_e32 v53, 0x3f00, v53
	s_clause 0x1
	buffer_load_dword v56, off, s[20:23], 0 offset:196
	buffer_load_dword v57, off, s[20:23], 0 offset:200
	v_or_b32_sdwa v0, v0, v44 dst_sel:DWORD dst_unused:UNUSED_PAD src0_sel:DWORD src1_sel:BYTE_1
	v_add_nc_u16 v1, 0xe000, v1
	v_add_nc_u16 v44, 0xe000, v45
	v_and_b32_e32 v45, 0xf0f0f0f, v41
	v_lshrrev_b32_e32 v41, 4, v41
	v_add_nc_u16 v0, 0xe000, v0
	v_or_b32_sdwa v1, v53, v1 dst_sel:DWORD dst_unused:UNUSED_PAD src0_sel:DWORD src1_sel:BYTE_1
	v_lshlrev_b32_e32 v53, 4, v42
	v_or_b32_sdwa v36, v36, v44 dst_sel:DWORD dst_unused:UNUSED_PAD src0_sel:DWORD src1_sel:BYTE_1
	v_and_b32_e32 v41, 0xf0f0f0f, v41
	v_lshlrev_b32_e32 v0, 16, v0
	v_add_nc_u16 v1, 0xe000, v1
	v_and_or_b32 v44, 0x30303030, v53, v45
	v_add_nc_u16 v36, 0xe000, v36
	v_and_or_b32 v41, 0x30303030, v42, v41
	v_and_b32_e32 v53, 0xf0f0f0f, v54
	v_lshlrev_b32_e32 v1, 16, v1
	v_lshrrev_b32_e32 v45, 16, v44
	v_or_b32_sdwa v0, v43, v0 dst_sel:DWORD dst_unused:UNUSED_PAD src0_sel:WORD_0 src1_sel:DWORD
	v_lshlrev_b16 v43, 8, v44
	v_and_b32_e32 v44, 0x3f00, v44
	v_or_b32_sdwa v1, v36, v1 dst_sel:DWORD dst_unused:UNUSED_PAD src0_sel:WORD_0 src1_sel:DWORD
	v_lshlrev_b16 v36, 8, v45
	v_add_nc_u16 v42, 0xe000, v43
	v_and_b32_e32 v43, 0x3f00, v45
	v_lshlrev_b32_e32 v45, 4, v40
	v_add_nc_u16 v36, 0xe000, v36
	v_or_b32_sdwa v36, v43, v36 dst_sel:DWORD dst_unused:UNUSED_PAD src0_sel:DWORD src1_sel:BYTE_1
	v_add_nc_u16 v36, 0xe000, v36
	v_lshlrev_b32_e32 v36, 16, v36
	s_waitcnt vmcnt(1)
	ds_write2_b32 v56, v0, v1 offset1:16
	v_lshrrev_b32_e32 v0, 16, v41
	v_or_b32_sdwa v1, v44, v42 dst_sel:DWORD dst_unused:UNUSED_PAD src0_sel:DWORD src1_sel:BYTE_1
	v_lshlrev_b16 v42, 8, v41
	v_and_b32_e32 v44, 0xf0f0f0f, v39
	v_and_b32_e32 v41, 0x3f00, v41
	v_lshrrev_b32_e32 v39, 4, v39
	v_lshlrev_b16 v43, 8, v0
	v_add_nc_u16 v42, 0xe000, v42
	v_and_b32_e32 v0, 0x3f00, v0
	v_and_or_b32 v44, 0x30303030, v45, v44
	v_add_nc_u16 v1, 0xe000, v1
	v_and_b32_e32 v39, 0xf0f0f0f, v39
	v_add_nc_u16 v43, 0xe000, v43
	v_or_b32_sdwa v41, v41, v42 dst_sel:DWORD dst_unused:UNUSED_PAD src0_sel:DWORD src1_sel:BYTE_1
	v_lshrrev_b32_e32 v42, 16, v44
	v_lshlrev_b16 v45, 8, v44
	v_or_b32_sdwa v1, v1, v36 dst_sel:DWORD dst_unused:UNUSED_PAD src0_sel:WORD_0 src1_sel:DWORD
	v_and_or_b32 v36, 0x30303030, v40, v39
	v_and_b32_e32 v44, 0x3f00, v44
	v_or_b32_sdwa v0, v0, v43 dst_sel:DWORD dst_unused:UNUSED_PAD src0_sel:DWORD src1_sel:BYTE_1
	v_lshlrev_b16 v43, 8, v42
	v_add_nc_u16 v41, 0xe000, v41
	v_and_b32_e32 v42, 0x3f00, v42
	v_add_nc_u16 v45, 0xe000, v45
	v_add_nc_u16 v0, 0xe000, v0
	;; [unrolled: 1-line block ×3, first 2 shown]
	v_or_b32_sdwa v40, v44, v45 dst_sel:DWORD dst_unused:UNUSED_PAD src0_sel:DWORD src1_sel:BYTE_1
	v_lshlrev_b16 v45, 8, v36
	v_lshlrev_b32_e32 v0, 16, v0
	v_or_b32_sdwa v39, v42, v43 dst_sel:DWORD dst_unused:UNUSED_PAD src0_sel:DWORD src1_sel:BYTE_1
	v_and_b32_e32 v42, 0xf0f0f0f, v37
	v_lshlrev_b32_e32 v43, 4, v38
	v_add_nc_u16 v40, 0xe000, v40
	v_lshrrev_b32_e32 v37, 4, v37
	v_or_b32_sdwa v0, v41, v0 dst_sel:DWORD dst_unused:UNUSED_PAD src0_sel:WORD_0 src1_sel:DWORD
	v_lshrrev_b32_e32 v41, 16, v36
	v_add_nc_u16 v39, 0xe000, v39
	v_and_or_b32 v42, 0x30303030, v43, v42
	v_and_b32_e32 v36, 0x3f00, v36
	v_and_b32_e32 v37, 0xf0f0f0f, v37
	v_lshlrev_b16 v44, 8, v41
	v_lshlrev_b32_e32 v39, 16, v39
	v_and_b32_e32 v41, 0x3f00, v41
	v_and_or_b32 v37, 0x30303030, v38, v37
	v_add_nc_u16 v43, 0xe000, v44
	v_or_b32_sdwa v39, v40, v39 dst_sel:DWORD dst_unused:UNUSED_PAD src0_sel:WORD_0 src1_sel:DWORD
	v_add_nc_u16 v40, 0xe000, v45
	v_lshlrev_b16 v44, 8, v42
	v_lshrrev_b32_e32 v45, 4, v54
	v_or_b32_sdwa v41, v41, v43 dst_sel:DWORD dst_unused:UNUSED_PAD src0_sel:DWORD src1_sel:BYTE_1
	v_lshrrev_b32_e32 v43, 16, v42
	v_or_b32_sdwa v36, v36, v40 dst_sel:DWORD dst_unused:UNUSED_PAD src0_sel:DWORD src1_sel:BYTE_1
	v_and_b32_e32 v42, 0x3f00, v42
	v_add_nc_u16 v44, 0xe000, v44
	v_and_b32_e32 v45, 0xf0f0f0f, v45
	v_lshlrev_b16 v40, 8, v43
	v_and_b32_e32 v43, 0x3f00, v43
	v_add_nc_u16 v41, 0xe000, v41
	v_or_b32_sdwa v42, v42, v44 dst_sel:DWORD dst_unused:UNUSED_PAD src0_sel:DWORD src1_sel:BYTE_1
	v_lshlrev_b16 v44, 8, v37
	v_add_nc_u16 v36, 0xe000, v36
	v_add_nc_u16 v40, 0xe000, v40
	v_lshlrev_b32_e32 v38, 16, v41
	v_add_nc_u16 v41, 0xe000, v42
	v_lshrrev_b32_e32 v42, 16, v37
	v_and_b32_e32 v37, 0x3f00, v37
	v_add_nc_u16 v44, 0xe000, v44
	v_or_b32_sdwa v40, v43, v40 dst_sel:DWORD dst_unused:UNUSED_PAD src0_sel:DWORD src1_sel:BYTE_1
	v_ashrrev_i32_e32 v43, v103, v55
	v_lshlrev_b16 v55, 8, v42
	v_and_b32_e32 v42, 0x3f00, v42
	v_or_b32_sdwa v37, v37, v44 dst_sel:DWORD dst_unused:UNUSED_PAD src0_sel:DWORD src1_sel:BYTE_1
	v_or_b32_sdwa v36, v36, v38 dst_sel:DWORD dst_unused:UNUSED_PAD src0_sel:WORD_0 src1_sel:DWORD
	v_lshlrev_b32_e32 v54, 4, v43
	v_and_or_b32 v43, 0x30303030, v43, v45
	v_add_nc_u16 v44, 0xe000, v55
	v_add_nc_u16 v40, 0xe000, v40
	;; [unrolled: 1-line block ×3, first 2 shown]
	v_and_or_b32 v53, 0x30303030, v54, v53
	v_lshrrev_b32_e32 v54, 16, v43
	v_or_b32_sdwa v42, v42, v44 dst_sel:DWORD dst_unused:UNUSED_PAD src0_sel:DWORD src1_sel:BYTE_1
	s_waitcnt vmcnt(0)
	v_lshlrev_b16 v57, 8, v43
	v_and_b32_e32 v43, 0x3f00, v43
	v_lshlrev_b32_e32 v40, 16, v40
	v_lshrrev_b32_e32 v45, 16, v53
	v_lshlrev_b16 v56, 8, v54
	v_and_b32_e32 v55, 0x3f00, v53
	v_lshlrev_b16 v53, 8, v53
	v_and_b32_e32 v54, 0x3f00, v54
	v_or_b32_sdwa v38, v41, v40 dst_sel:DWORD dst_unused:UNUSED_PAD src0_sel:WORD_0 src1_sel:DWORD
	v_add_nc_u16 v42, 0xe000, v42
	v_lshlrev_b16 v44, 8, v45
	v_and_b32_e32 v45, 0x3f00, v45
	v_add_nc_u16 v56, 0xe000, v56
	v_add_nc_u16 v53, 0xe000, v53
	v_lshlrev_b32_e32 v42, 16, v42
	v_add_nc_u16 v44, 0xe000, v44
	v_or_b32_sdwa v54, v54, v56 dst_sel:DWORD dst_unused:UNUSED_PAD src0_sel:DWORD src1_sel:BYTE_1
	v_or_b32_sdwa v53, v55, v53 dst_sel:DWORD dst_unused:UNUSED_PAD src0_sel:DWORD src1_sel:BYTE_1
	v_or_b32_sdwa v37, v37, v42 dst_sel:DWORD dst_unused:UNUSED_PAD src0_sel:WORD_0 src1_sel:DWORD
	v_cvt_f32_f16_e32 v42, v82
	v_or_b32_sdwa v44, v45, v44 dst_sel:DWORD dst_unused:UNUSED_PAD src0_sel:DWORD src1_sel:BYTE_1
	v_add_nc_u16 v45, 0xe000, v57
	v_add_nc_u16 v53, 0xe000, v53
	;; [unrolled: 1-line block ×3, first 2 shown]
	v_or_b32_sdwa v43, v43, v45 dst_sel:DWORD dst_unused:UNUSED_PAD src0_sel:DWORD src1_sel:BYTE_1
	v_add_nc_u16 v45, 0xe000, v54
	v_lshlrev_b32_e32 v44, 16, v44
	v_add_nc_u16 v43, 0xe000, v43
	v_lshlrev_b32_e32 v45, 16, v45
	v_or_b32_sdwa v40, v53, v44 dst_sel:DWORD dst_unused:UNUSED_PAD src0_sel:WORD_0 src1_sel:DWORD
	v_or_b32_sdwa v41, v43, v45 dst_sel:DWORD dst_unused:UNUSED_PAD src0_sel:WORD_0 src1_sel:DWORD
	s_clause 0x1
	buffer_load_dword v43, off, s[20:23], 0 offset:208
	buffer_load_dword v44, off, s[20:23], 0 offset:212
	s_waitcnt vmcnt(1)
	ds_write2_b32 v43, v1, v0 offset1:16
	s_clause 0x1
	buffer_load_dword v0, off, s[20:23], 0 offset:220
	buffer_load_dword v1, off, s[20:23], 0 offset:224
	s_waitcnt vmcnt(1)
	ds_write2_b32 v0, v39, v36 offset1:16
	;; [unrolled: 5-line block ×4, first 2 shown]
	buffer_load_dword v0, off, s[20:23], 0 offset:256 ; 4-byte Folded Reload
	s_waitcnt vmcnt(0)
	ds_write_b32 v0, v42
	buffer_load_dword v0, off, s[20:23], 0 offset:276 ; 4-byte Folded Reload
	s_waitcnt vmcnt(0)
	ds_write_b32 v0, v83
	;; [unrolled: 3-line block ×5, first 2 shown]
	ds_write_b32 v159, v46
	ds_write_b32 v160, v47
	v_cvt_f32_f16_e32 v0, v48
	ds_write_b32 v161, v49
	ds_write_b32 v162, v50
	;; [unrolled: 1-line block ×5, first 2 shown]
	s_waitcnt lgkmcnt(0)
	s_waitcnt_vscnt null, 0x0
	s_barrier
	buffer_gl0_inv
	buffer_load_dword v0, off, s[20:23], 0 offset:32 ; 4-byte Folded Reload
	s_waitcnt vmcnt(0)
	ds_read_b32 v72, v0
	buffer_load_dword v0, off, s[20:23], 0 offset:36 ; 4-byte Folded Reload
	s_waitcnt lgkmcnt(0)
	v_mov_b32_e32 v76, v72
	v_mov_b32_e32 v77, v72
	v_mov_b32_e32 v78, v72
	s_waitcnt vmcnt(0)
	ds_read_b32 v73, v0 offset:128
	buffer_load_dword v0, off, s[20:23], 0 offset:40 ; 4-byte Folded Reload
	s_waitcnt lgkmcnt(0)
	v_mov_b32_e32 v79, v73
	v_mov_b32_e32 v80, v73
	v_mov_b32_e32 v81, v73
	s_waitcnt vmcnt(0)
	ds_read_b32 v74, v0 offset:256
	;; [unrolled: 7-line block ×3, first 2 shown]
	s_waitcnt lgkmcnt(0)
	v_mov_b32_e32 v85, v75
	v_mov_b32_e32 v86, v75
	;; [unrolled: 1-line block ×3, first 2 shown]
.LBB176_6:                              ;   Parent Loop BB176_5 Depth=1
                                        ; =>  This Inner Loop Header: Depth=2
	v_lshlrev_b32_e32 v168, 2, v138
	s_lshl_b32 s11, s15, 1
	s_lshl_b32 s16, s15, 3
	s_lshr_b32 s15, s15, 1
	v_lshlrev_b32_e32 v169, 2, v137
	s_add_i32 s15, s15, 0xa200
	v_or_b32_e32 v98, s11, v115
	v_add3_u32 v0, s15, v168, v166
	v_add_nc_u32_e32 v194, s16, v152
	v_add_nc_u32_e32 v195, s16, v153
	;; [unrolled: 1-line block ×3, first 2 shown]
	v_add3_u32 v1, s15, v169, v165
	v_add_nc_u32_e32 v193, s16, v151
	v_lshlrev_b32_e32 v170, 2, v98
	ds_read_b32 v96, v0
	ds_read_b32 v97, v1
	ds_read2_b32 v[50:51], v193 offset0:12 offset1:13
	ds_read2_b32 v[52:53], v193 offset0:14 offset1:15
	ds_read_b128 v[36:39], v170 offset:33328
	ds_read_b128 v[204:207], v170 offset:33312
	ds_read2_b32 v[104:105], v194 offset0:12 offset1:13
	ds_read2_b32 v[106:107], v194 offset0:14 offset1:15
	;; [unrolled: 1-line block ×8, first 2 shown]
	v_mov_b32_e32 v88, 0
	v_mov_b32_e32 v89, 0
	;; [unrolled: 1-line block ×4, first 2 shown]
	v_or_b32_e32 v0, s11, v144
	v_mov_b32_e32 v180, 0
	v_mov_b32_e32 v179, 0
	;; [unrolled: 1-line block ×4, first 2 shown]
	v_lshlrev_b32_e32 v58, 2, v0
	v_lshrrev_b32_e32 v0, 1, v0
	v_or_b32_e32 v201, s11, v145
	v_mov_b32_e32 v93, 0
	v_mov_b32_e32 v95, 0
	;; [unrolled: 1-line block ×3, first 2 shown]
	s_waitcnt lgkmcnt(9)
	v_dot4c_i32_i8 v88, v50, v36
	s_waitcnt lgkmcnt(7)
	v_dot4c_i32_i8 v89, v104, v36
	;; [unrolled: 2-line block ×4, first 2 shown]
	v_lshlrev_b32_e32 v171, 2, v201
	v_dot4c_i32_i8 v88, v51, v37
	v_dot4c_i32_i8 v89, v105, v37
	;; [unrolled: 1-line block ×4, first 2 shown]
	ds_read2_b32 v[223:224], v196 offset0:14 offset1:15
	ds_read_b128 v[34:37], v58 offset:33280
	v_dot4c_i32_i8 v88, v52, v38
	v_dot4c_i32_i8 v89, v106, v38
	;; [unrolled: 1-line block ×3, first 2 shown]
	v_mov_b32_e32 v92, 0
	v_mov_b32_e32 v186, 0
	v_dot4c_i32_i8 v88, v53, v39
	v_dot4c_i32_i8 v89, v107, v39
	;; [unrolled: 1-line block ×3, first 2 shown]
	v_mov_b32_e32 v187, 0
	v_mov_b32_e32 v183, 0
	;; [unrolled: 1-line block ×3, first 2 shown]
	v_or_b32_e32 v202, s11, v147
	v_mov_b32_e32 v174, 0
	v_mov_b32_e32 v176, 0
	;; [unrolled: 1-line block ×4, first 2 shown]
	v_lshlrev_b32_e32 v172, 2, v202
	v_mov_b32_e32 v191, 0
	s_waitcnt lgkmcnt(1)
	v_dot4c_i32_i8 v91, v223, v38
	v_mov_b32_e32 v192, 0
	v_mov_b32_e32 v190, 0
	;; [unrolled: 1-line block ×3, first 2 shown]
	v_or_b32_e32 v210, s11, v149
	v_dot4c_i32_i8 v91, v224, v39
	ds_read_b64 v[38:39], v0 offset:43584
	ds_read_b128 v[40:43], v58 offset:33328
	v_or_b32_e32 v0, s11, v146
	v_mov_b32_e32 v184, 0
	v_lshlrev_b32_e32 v60, 2, v210
	v_mov_b32_e32 v188, 0
	v_mov_b32_e32 v185, 0
	v_lshrrev_b32_e32 v1, 1, v0
	v_lshlrev_b32_e32 v203, 2, v0
	v_or_b32_e32 v0, s11, v148
	v_mov_b32_e32 v182, 0
	v_mov_b32_e32 v238, 0
	;; [unrolled: 1-line block ×4, first 2 shown]
	v_lshlrev_b32_e32 v225, 2, v0
	v_mov_b32_e32 v235, 0
	v_mov_b32_e32 v232, 0
	;; [unrolled: 1-line block ×6, first 2 shown]
	s_waitcnt lgkmcnt(0)
	v_dot4c_i32_i8 v180, v50, v40
	v_dot4c_i32_i8 v179, v104, v40
	v_dot4c_i32_i8 v178, v208, v40
	v_dot4c_i32_i8 v177, v221, v40
	v_mov_b32_e32 v255, 0
	v_dot4c_i32_i8 v180, v51, v41
	v_dot4c_i32_i8 v179, v105, v41
	v_dot4c_i32_i8 v178, v209, v41
	v_dot4c_i32_i8 v177, v222, v41
	v_mov_b32_e32 v114, 0
	;; [unrolled: 5-line block ×3, first 2 shown]
	v_dot4c_i32_i8 v180, v53, v43
	v_dot4c_i32_i8 v179, v107, v43
	;; [unrolled: 1-line block ×4, first 2 shown]
	ds_read_b128 v[40:43], v171 offset:33328
	ds_read_b128 v[217:220], v171 offset:33312
	v_mov_b32_e32 v117, 0
	v_mov_b32_e32 v62, 0
	;; [unrolled: 1-line block ×18, first 2 shown]
	s_waitcnt lgkmcnt(1)
	v_dot4c_i32_i8 v93, v50, v40
	v_dot4c_i32_i8 v95, v104, v40
	v_dot4c_i32_i8 v94, v208, v40
	v_dot4c_i32_i8 v92, v221, v40
	v_mov_b32_e32 v131, 0
	v_dot4c_i32_i8 v93, v51, v41
	v_dot4c_i32_i8 v95, v105, v41
	v_dot4c_i32_i8 v94, v209, v41
	v_dot4c_i32_i8 v92, v222, v41
	v_mov_b32_e32 v132, 0
	;; [unrolled: 5-line block ×3, first 2 shown]
	v_dot4c_i32_i8 v93, v53, v43
	v_dot4c_i32_i8 v95, v107, v43
	;; [unrolled: 1-line block ×4, first 2 shown]
	ds_read_b64 v[40:41], v1 offset:43584
	ds_read_b128 v[42:45], v203 offset:33328
	v_lshrrev_b32_e32 v1, 1, v0
	v_or_b32_e32 v0, s11, v150
	v_mov_b32_e32 v136, 0
	v_mov_b32_e32 v134, 0
	;; [unrolled: 1-line block ×4, first 2 shown]
	v_lshlrev_b32_e32 v234, 2, v0
	v_mov_b32_e32 v141, 0
	v_mov_b32_e32 v142, 0
	;; [unrolled: 1-line block ×4, first 2 shown]
	s_and_b32 vcc_lo, exec_lo, s1
	s_mov_b32 s1, 0
	s_waitcnt lgkmcnt(0)
	v_dot4c_i32_i8 v186, v50, v42
	v_dot4c_i32_i8 v187, v104, v42
	;; [unrolled: 1-line block ×16, first 2 shown]
	ds_read_b128 v[42:45], v172 offset:33328
	ds_read_b128 v[226:229], v172 offset:33312
	s_waitcnt lgkmcnt(1)
	v_dot4c_i32_i8 v174, v50, v42
	v_dot4c_i32_i8 v176, v104, v42
	;; [unrolled: 1-line block ×8, first 2 shown]
	ds_read_b64 v[42:43], v1 offset:43584
	ds_read_b128 v[197:200], v225 offset:33328
	v_dot4c_i32_i8 v174, v52, v44
	v_dot4c_i32_i8 v176, v106, v44
	;; [unrolled: 1-line block ×4, first 2 shown]
	v_lshrrev_b32_e32 v1, 1, v0
	v_dot4c_i32_i8 v174, v53, v45
	v_dot4c_i32_i8 v176, v107, v45
	;; [unrolled: 1-line block ×4, first 2 shown]
	s_waitcnt lgkmcnt(0)
	v_dot4c_i32_i8 v191, v50, v197
	v_dot4c_i32_i8 v192, v104, v197
	;; [unrolled: 1-line block ×16, first 2 shown]
	ds_read_b128 v[197:200], v60 offset:33328
	ds_read_b128 v[239:242], v60 offset:33312
	ds_read_b64 v[44:45], v1 offset:43584
	ds_read_b128 v[211:214], v234 offset:33328
	s_waitcnt lgkmcnt(3)
	v_dot4c_i32_i8 v184, v50, v197
	v_dot4c_i32_i8 v188, v104, v197
	;; [unrolled: 1-line block ×4, first 2 shown]
	v_mov_b32_e32 v197, 0
	v_dot4c_i32_i8 v184, v51, v198
	v_dot4c_i32_i8 v188, v105, v198
	;; [unrolled: 1-line block ×4, first 2 shown]
	v_mov_b32_e32 v198, 0
	v_dot4c_i32_i8 v184, v52, v199
	s_waitcnt lgkmcnt(0)
	v_dot4c_i32_i8 v197, v221, v211
	v_mov_b32_e32 v221, 0
	v_dot4c_i32_i8 v182, v223, v199
	v_dot4c_i32_i8 v198, v50, v211
	v_dot4c_i32_i8 v184, v53, v200
	v_dot4c_i32_i8 v197, v222, v212
	v_mov_b32_e32 v222, 0
	v_dot4c_i32_i8 v182, v224, v200
	v_dot4c_i32_i8 v198, v51, v212
	v_dot4c_i32_i8 v188, v106, v199
	;; [unrolled: 5-line block ×3, first 2 shown]
	v_dot4c_i32_i8 v197, v224, v214
	v_mov_b32_e32 v224, 0
	v_dot4c_i32_i8 v185, v216, v200
	v_dot4c_i32_i8 v198, v53, v214
	ds_read2_b32 v[50:51], v193 offset0:8 offset1:9
	ds_read2_b32 v[52:53], v193 offset0:10 offset1:11
	;; [unrolled: 1-line block ×8, first 2 shown]
	v_mov_b32_e32 v200, 0
	v_mov_b32_e32 v199, 0
	v_dot4c_i32_i8 v200, v104, v211
	v_dot4c_i32_i8 v199, v208, v211
	v_mov_b32_e32 v211, 0
	v_mov_b32_e32 v208, 0
	v_dot4c_i32_i8 v200, v105, v212
	v_dot4c_i32_i8 v199, v209, v212
	v_mov_b32_e32 v212, 0
	v_mov_b32_e32 v209, 0
	s_waitcnt lgkmcnt(7)
	v_dot4c_i32_i8 v221, v50, v204
	v_dot4c_i32_i8 v200, v106, v213
	s_waitcnt lgkmcnt(4)
	v_dot4c_i32_i8 v223, v99, v204
	v_dot4c_i32_i8 v212, v50, v226
	s_waitcnt lgkmcnt(2)
	v_dot4c_i32_i8 v224, v54, v204
	s_waitcnt lgkmcnt(1)
	v_dot4c_i32_i8 v222, v110, v204
	v_dot4c_i32_i8 v221, v51, v205
	;; [unrolled: 1-line block ×16, first 2 shown]
	ds_read_b128 v[204:207], v58 offset:33312
	ds_read_b128 v[243:246], v58 offset:33296
	v_dot4c_i32_i8 v212, v51, v227
	v_dot4c_i32_i8 v211, v100, v227
	v_dot4c_i32_i8 v209, v55, v227
	v_dot4c_i32_i8 v208, v111, v227
	v_mov_b32_e32 v227, 0
	v_dot4c_i32_i8 v212, v52, v228
	v_dot4c_i32_i8 v211, v46, v228
	v_dot4c_i32_i8 v209, v48, v228
	v_dot4c_i32_i8 v208, v69, v228
	v_mov_b32_e32 v228, 0
	;; [unrolled: 5-line block ×3, first 2 shown]
	v_mov_b32_e32 v226, 0
	v_dot4c_i32_i8 v199, v215, v213
	v_dot4c_i32_i8 v200, v107, v214
	s_waitcnt lgkmcnt(1)
	v_dot4c_i32_i8 v238, v50, v204
	v_dot4c_i32_i8 v237, v99, v204
	;; [unrolled: 1-line block ×9, first 2 shown]
	v_mov_b32_e32 v216, 0
	v_dot4c_i32_i8 v238, v52, v206
	v_dot4c_i32_i8 v237, v46, v206
	v_dot4c_i32_i8 v236, v48, v206
	v_dot4c_i32_i8 v235, v69, v206
	v_mov_b32_e32 v215, 0
	v_dot4c_i32_i8 v238, v53, v207
	v_dot4c_i32_i8 v237, v47, v207
	;; [unrolled: 1-line block ×4, first 2 shown]
	ds_read_b128 v[204:207], v203 offset:33312
	ds_read_b128 v[247:250], v203 offset:33296
	v_mov_b32_e32 v214, 0
	v_mov_b32_e32 v213, 0
	v_dot4c_i32_i8 v216, v50, v217
	v_dot4c_i32_i8 v215, v99, v217
	;; [unrolled: 1-line block ×6, first 2 shown]
	v_mov_b32_e32 v217, 0
	v_dot4c_i32_i8 v214, v55, v218
	v_dot4c_i32_i8 v213, v111, v218
	;; [unrolled: 1-line block ×4, first 2 shown]
	v_mov_b32_e32 v218, 0
	v_dot4c_i32_i8 v214, v48, v219
	v_dot4c_i32_i8 v213, v69, v219
	;; [unrolled: 1-line block ×3, first 2 shown]
	s_waitcnt lgkmcnt(1)
	v_dot4c_i32_i8 v232, v50, v204
	v_dot4c_i32_i8 v233, v99, v204
	;; [unrolled: 1-line block ×19, first 2 shown]
	ds_read_b128 v[204:207], v225 offset:33312
	ds_read_b128 v[251:254], v225 offset:33296
	v_mov_b32_e32 v220, 0
	v_mov_b32_e32 v219, 0
	s_waitcnt lgkmcnt(1)
	v_dot4c_i32_i8 v228, v50, v204
	v_dot4c_i32_i8 v229, v99, v204
	v_dot4c_i32_i8 v227, v54, v204
	v_dot4c_i32_i8 v226, v110, v204
	v_mov_b32_e32 v204, 0
	v_dot4c_i32_i8 v228, v51, v205
	v_dot4c_i32_i8 v229, v100, v205
	v_dot4c_i32_i8 v227, v55, v205
	v_dot4c_i32_i8 v226, v111, v205
	v_mov_b32_e32 v205, 0
	;; [unrolled: 5-line block ×4, first 2 shown]
	v_dot4c_i32_i8 v206, v99, v239
	v_dot4c_i32_i8 v205, v54, v239
	;; [unrolled: 1-line block ×16, first 2 shown]
	ds_read_b128 v[239:242], v234 offset:33312
	ds_read_b128 v[104:107], v234 offset:33296
	s_waitcnt lgkmcnt(1)
	v_dot4c_i32_i8 v218, v50, v239
	v_dot4c_i32_i8 v220, v99, v239
	;; [unrolled: 1-line block ×16, first 2 shown]
	ds_read2_b32 v[50:51], v193 offset0:4 offset1:5
	ds_read_b128 v[46:49], v170 offset:33296
	ds_read_b128 v[239:242], v170 offset:33280
	ds_read2_b32 v[52:53], v194 offset0:4 offset1:5
	ds_read2_b32 v[54:55], v194 offset0:2 offset1:3
	;; [unrolled: 1-line block ×7, first 2 shown]
	v_lshlrev_b32_e32 v170, 2, v128
	s_waitcnt lgkmcnt(9)
	v_dot4c_i32_i8 v117, v50, v243
	s_waitcnt lgkmcnt(8)
	v_dot4c_i32_i8 v61, v50, v46
	;; [unrolled: 2-line block ×5, first 2 shown]
	v_dot4c_i32_i8 v62, v52, v243
	v_dot4c_i32_i8 v118, v69, v243
	v_dot4c_i32_i8 v63, v112, v243
	v_dot4c_i32_i8 v61, v51, v47
	v_dot4c_i32_i8 v255, v53, v47
	v_dot4c_i32_i8 v114, v70, v47
	v_dot4c_i32_i8 v116, v113, v47
	v_dot4c_i32_i8 v117, v51, v244
	v_dot4c_i32_i8 v62, v53, v244
	v_dot4c_i32_i8 v118, v70, v244
	v_dot4c_i32_i8 v63, v113, v244
	v_dot4c_i32_i8 v61, v0, v48
	v_dot4c_i32_i8 v255, v108, v48
	v_dot4c_i32_i8 v114, v99, v48
	v_dot4c_i32_i8 v116, v56, v48
	v_dot4c_i32_i8 v117, v0, v245
	v_dot4c_i32_i8 v62, v108, v245
	v_dot4c_i32_i8 v118, v99, v245
	v_dot4c_i32_i8 v63, v56, v245
	v_dot4c_i32_i8 v61, v1, v49
	v_dot4c_i32_i8 v255, v109, v49
	v_dot4c_i32_i8 v114, v100, v49
	v_dot4c_i32_i8 v116, v57, v49
	v_dot4c_i32_i8 v117, v1, v246
	v_dot4c_i32_i8 v62, v109, v246
	v_dot4c_i32_i8 v118, v100, v246
	v_dot4c_i32_i8 v63, v57, v246
	ds_read_b128 v[46:49], v171 offset:33296
	ds_read_b128 v[243:246], v171 offset:33280
	v_dot4c_i32_i8 v121, v50, v247
	v_dot4c_i32_i8 v123, v52, v247
	;; [unrolled: 1-line block ×18, first 2 shown]
	s_waitcnt lgkmcnt(1)
	v_dot4c_i32_i8 v119, v50, v46
	v_dot4c_i32_i8 v64, v52, v46
	;; [unrolled: 1-line block ×19, first 2 shown]
	ds_read_b128 v[46:49], v172 offset:33296
	ds_read_b128 v[247:250], v172 offset:33280
	v_dot4c_i32_i8 v130, v53, v252
	v_dot4c_i32_i8 v131, v70, v252
	v_dot4c_i32_i8 v132, v113, v252
	v_dot4c_i32_i8 v129, v0, v253
	v_dot4c_i32_i8 v136, v50, v104
	v_dot4c_i32_i8 v130, v108, v253
	v_dot4c_i32_i8 v131, v99, v253
	v_dot4c_i32_i8 v132, v56, v253
	v_dot4c_i32_i8 v129, v1, v254
	v_dot4c_i32_i8 v136, v51, v105
	v_dot4c_i32_i8 v130, v109, v254
	v_dot4c_i32_i8 v131, v100, v254
	v_dot4c_i32_i8 v132, v57, v254
	v_lshlrev_b32_e32 v171, 2, v126
	v_dot4c_i32_i8 v136, v0, v106
	v_lshlrev_b32_e32 v172, 2, v139
	v_dot4c_i32_i8 v140, v52, v104
	v_dot4c_i32_i8 v141, v69, v104
	s_waitcnt lgkmcnt(1)
	v_dot4c_i32_i8 v66, v50, v46
	v_dot4c_i32_i8 v155, v52, v46
	;; [unrolled: 1-line block ×19, first 2 shown]
	ds_read_b128 v[46:49], v60 offset:33296
	ds_read_b128 v[251:254], v60 offset:33280
	v_mov_b32_e32 v60, 0
	v_dot4c_i32_i8 v141, v70, v105
	v_dot4c_i32_i8 v142, v113, v105
	;; [unrolled: 1-line block ×6, first 2 shown]
	v_mov_b32_e32 v106, 0
	v_dot4c_i32_i8 v141, v100, v107
	v_dot4c_i32_i8 v142, v57, v107
	v_mov_b32_e32 v107, 0
	s_waitcnt lgkmcnt(1)
	v_dot4c_i32_i8 v133, v50, v46
	v_dot4c_i32_i8 v60, v52, v46
	;; [unrolled: 1-line block ×4, first 2 shown]
	v_add3_u32 v46, s15, v170, v171
	v_dot4c_i32_i8 v133, v51, v47
	v_dot4c_i32_i8 v60, v53, v47
	;; [unrolled: 1-line block ×4, first 2 shown]
	v_mov_b32_e32 v112, 0
	v_dot4c_i32_i8 v133, v0, v48
	v_dot4c_i32_i8 v60, v108, v48
	v_dot4c_i32_i8 v134, v99, v48
	v_dot4c_i32_i8 v135, v56, v48
	v_mov_b32_e32 v113, 0
	v_dot4c_i32_i8 v133, v1, v49
	ds_read2_b32 v[0:1], v193 offset0:2 offset1:3
	ds_read_b32 v104, v46
	v_add3_u32 v46, s15, v172, v167
	v_dot4c_i32_i8 v60, v109, v49
	v_dot4c_i32_i8 v134, v100, v49
	;; [unrolled: 1-line block ×3, first 2 shown]
	ds_read2_b32 v[48:49], v194 offset1:1
	ds_read_b32 v105, v46
	ds_read2_b32 v[52:53], v196 offset1:1
	ds_read2_b32 v[46:47], v193 offset1:1
	;; [unrolled: 1-line block ×3, first 2 shown]
	v_mov_b32_e32 v193, 0
	v_mov_b32_e32 v194, 0
	;; [unrolled: 1-line block ×6, first 2 shown]
	s_mov_b32 s15, 8
	s_waitcnt lgkmcnt(4)
	v_dot4c_i32_i8 v113, v48, v34
	v_dot4c_i32_i8 v107, v48, v239
	s_waitcnt lgkmcnt(2)
	v_dot4c_i32_i8 v194, v52, v34
	s_waitcnt lgkmcnt(1)
	;; [unrolled: 2-line block ×3, first 2 shown]
	v_dot4c_i32_i8 v193, v50, v34
	v_dot4c_i32_i8 v113, v49, v35
	v_lshrrev_b32_e32 v34, 1, v201
	v_dot4c_i32_i8 v194, v53, v35
	v_dot4c_i32_i8 v112, v47, v35
	;; [unrolled: 1-line block ×14, first 2 shown]
	ds_read_b64 v[56:57], v34 offset:43584
	ds_read_b128 v[34:37], v203 offset:33280
	v_dot4c_i32_i8 v106, v47, v240
	v_dot4c_i32_i8 v107, v49, v240
	v_dot4c_i32_i8 v108, v51, v240
	v_dot4c_i32_i8 v109, v53, v240
	v_mov_b32_e32 v201, 0
	v_dot4c_i32_i8 v106, v0, v241
	v_dot4c_i32_i8 v107, v54, v241
	v_dot4c_i32_i8 v108, v110, v241
	v_dot4c_i32_i8 v109, v58, v241
	v_mov_b32_e32 v203, 0
	;; [unrolled: 5-line block ×3, first 2 shown]
	v_mov_b32_e32 v242, 0
	v_mov_b32_e32 v239, 0
	;; [unrolled: 1-line block ×3, first 2 shown]
	v_dot4c_i32_i8 v195, v46, v243
	s_waitcnt lgkmcnt(0)
	v_dot4c_i32_i8 v201, v46, v34
	v_dot4c_i32_i8 v203, v48, v34
	;; [unrolled: 1-line block ×19, first 2 shown]
	v_lshrrev_b32_e32 v34, 1, v202
	v_dot4c_i32_i8 v195, v0, v245
	v_dot4c_i32_i8 v196, v54, v245
	;; [unrolled: 1-line block ×8, first 2 shown]
	ds_read_b64 v[69:70], v34 offset:43584
	ds_read_b128 v[34:37], v225 offset:33280
	v_dot4c_i32_i8 v195, v1, v246
	v_dot4c_i32_i8 v196, v55, v246
	;; [unrolled: 1-line block ×4, first 2 shown]
	v_mov_b32_e32 v243, 0
	v_mov_b32_e32 v244, 0
	;; [unrolled: 1-line block ×5, first 2 shown]
	v_dot4c_i32_i8 v243, v46, v247
	v_dot4c_i32_i8 v244, v48, v247
	;; [unrolled: 1-line block ×4, first 2 shown]
	v_mov_b32_e32 v225, 0
	v_dot4c_i32_i8 v243, v47, v248
	v_dot4c_i32_i8 v244, v49, v248
	v_dot4c_i32_i8 v245, v51, v248
	v_dot4c_i32_i8 v246, v53, v248
	v_mov_b32_e32 v247, 0
	v_mov_b32_e32 v248, 0
	s_waitcnt lgkmcnt(0)
	v_dot4c_i32_i8 v202, v46, v34
	v_dot4c_i32_i8 v225, v48, v34
	;; [unrolled: 1-line block ×7, first 2 shown]
	v_lshrrev_b32_e32 v34, 1, v210
	v_dot4c_i32_i8 v247, v51, v35
	v_dot4c_i32_i8 v248, v53, v35
	;; [unrolled: 1-line block ×12, first 2 shown]
	ds_read_b64 v[99:100], v34 offset:43584
	ds_read_b128 v[34:37], v234 offset:33280
	v_dot4c_i32_i8 v246, v58, v249
	v_dot4c_i32_i8 v243, v1, v250
	v_dot4c_i32_i8 v244, v55, v250
	v_dot4c_i32_i8 v245, v111, v250
	v_mov_b32_e32 v249, 0
	v_dot4c_i32_i8 v246, v59, v250
	v_mov_b32_e32 v250, 0
	v_dot4c_i32_i8 v143, v50, v251
	v_dot4c_i32_i8 v157, v52, v251
	;; [unrolled: 1-line block ×3, first 2 shown]
	v_mov_b32_e32 v234, 0
	v_dot4c_i32_i8 v250, v48, v251
	v_dot4c_i32_i8 v143, v51, v252
	;; [unrolled: 1-line block ×4, first 2 shown]
	v_mov_b32_e32 v210, 0
	v_dot4c_i32_i8 v250, v49, v252
	v_mov_b32_e32 v252, 0
	v_mov_b32_e32 v251, 0
	s_waitcnt lgkmcnt(0)
	v_dot4c_i32_i8 v234, v48, v34
	v_dot4c_i32_i8 v210, v46, v34
	;; [unrolled: 1-line block ×4, first 2 shown]
	v_bfe_i32 v52, v104, 8, 8
	v_dot4c_i32_i8 v234, v49, v35
	v_dot4c_i32_i8 v251, v50, v34
	;; [unrolled: 1-line block ×4, first 2 shown]
	v_mul_lo_u32 v34, v117, v52
	v_bfe_i32 v53, v104, 0, 8
	v_dot4c_i32_i8 v234, v54, v36
	v_ashrrev_i32_e32 v54, 24, v104
	v_dot4c_i32_i8 v251, v51, v35
	v_dot4c_i32_i8 v250, v55, v254
	;; [unrolled: 1-line block ×4, first 2 shown]
	v_mad_u64_u32 v[34:35], null, v112, v53, v[34:35]
	v_mul_lo_u32 v35, v180, v54
	v_bfe_i32 v55, v104, 16, 8
	v_dot4c_i32_i8 v252, v58, v36
	v_bfe_i32 v58, v97, 8, 8
	v_dot4c_i32_i8 v210, v0, v36
	v_dot4c_i32_i8 v251, v110, v36
	;; [unrolled: 1-line block ×4, first 2 shown]
	v_mad_u64_u32 v[35:36], null, v238, v55, v[35:36]
	v_mul_lo_u32 v36, v62, v58
	v_bfe_i32 v59, v97, 0, 8
	v_ashrrev_i32_e32 v62, 24, v97
	v_dot4c_i32_i8 v210, v1, v37
	v_dot4c_i32_i8 v251, v111, v37
	;; [unrolled: 1-line block ×3, first 2 shown]
	v_lshrrev_b32_e32 v0, 1, v98
	v_bfe_i32 v97, v97, 16, 8
	v_mad_u64_u32 v[36:37], null, v113, v59, v[36:37]
	v_mul_lo_u32 v37, v179, v62
	v_bfe_i32 v98, v96, 8, 8
	v_dot4c_i32_i8 v143, v110, v253
	v_bfe_i32 v104, v96, 0, 8
	v_ashrrev_i32_e32 v110, 24, v96
	v_bfe_i32 v96, v96, 16, 8
	v_bfe_i32 v112, v105, 0, 8
	v_dot4c_i32_i8 v143, v111, v254
	v_mad_u64_u32 v[46:47], null, v237, v97, v[37:38]
	v_mul_lo_u32 v37, v118, v98
	v_bfe_i32 v111, v105, 8, 8
	v_cvt_f32_i32_e32 v34, v34
	v_cvt_f32_i32_e32 v35, v35
	;; [unrolled: 1-line block ×3, first 2 shown]
	v_dot4c_i32_i8 v249, v1, v254
	ds_read_b64 v[0:1], v0 offset:43584
	v_mad_u64_u32 v[47:48], null, v193, v104, v[37:38]
	v_mul_lo_u32 v37, v178, v110
	v_mad_u64_u32 v[48:49], null, v236, v96, v[37:38]
	v_mul_lo_u32 v37, v63, v111
	v_ashrrev_i32_e32 v63, 24, v105
	v_bfe_i32 v105, v105, 16, 8
	v_mad_u64_u32 v[49:50], null, v194, v112, v[37:38]
	v_mul_lo_u32 v37, v177, v63
	v_mad_u64_u32 v[50:51], null, v235, v105, v[37:38]
	v_cvt_f32_i32_e32 v37, v46
	v_cvt_f32_i32_e32 v46, v47
	v_cvt_f32_i32_e32 v47, v48
	v_cvt_f32_i32_e32 v48, v49
	v_fma_f32 v51, v38, v36, 0
	v_cvt_f32_i32_e32 v49, v50
	v_fma_f32 v50, v38, v34, 0
	v_mul_lo_u32 v34, v106, v53
	v_fmac_f32_e32 v51, v39, v37
	v_fma_f32 v113, v38, v46, 0
	v_fma_f32 v117, v38, v48, 0
	v_fmac_f32_e32 v50, v39, v35
	v_fmac_f32_e32 v30, v73, v51
	;; [unrolled: 1-line block ×3, first 2 shown]
	v_mad_u64_u32 v[34:35], null, v61, v52, v[34:35]
	v_mul_lo_u32 v35, v221, v55
	v_fmac_f32_e32 v117, v39, v49
	v_fmac_f32_e32 v18, v72, v50
	;; [unrolled: 1-line block ×3, first 2 shown]
	v_cvt_f32_i32_e32 v34, v34
	v_fmac_f32_e32 v22, v75, v117
	v_mad_u64_u32 v[35:36], null, v88, v54, v[35:36]
	v_mul_lo_u32 v36, v107, v59
	v_cvt_f32_i32_e32 v35, v35
	v_mad_u64_u32 v[36:37], null, v255, v58, v[36:37]
	v_mul_lo_u32 v37, v223, v97
	v_cvt_f32_i32_e32 v36, v36
	v_mad_u64_u32 v[37:38], null, v89, v62, v[37:38]
	v_mul_lo_u32 v38, v108, v104
	s_waitcnt lgkmcnt(0)
	v_fma_f32 v61, v0, v36, 0
	v_cvt_f32_i32_e32 v37, v37
	v_mad_u64_u32 v[38:39], null, v114, v98, v[38:39]
	v_mul_lo_u32 v39, v224, v96
	v_fmac_f32_e32 v61, v1, v37
	v_cvt_f32_i32_e32 v38, v38
	v_fma_f32 v31, v79, v61, v31
	v_mad_u64_u32 v[46:47], null, v90, v110, v[39:40]
	v_mul_lo_u32 v39, v109, v112
	v_fma_f32 v88, v0, v38, 0
	v_mad_u64_u32 v[47:48], null, v116, v111, v[39:40]
	v_mul_lo_u32 v39, v222, v105
	v_mad_u64_u32 v[48:49], null, v91, v63, v[39:40]
	v_cvt_f32_i32_e32 v39, v46
	v_cvt_f32_i32_e32 v46, v47
	v_fma_f32 v49, v0, v34, 0
	v_fmac_f32_e32 v88, v1, v39
	v_fma_f32 v89, v0, v46, 0
	v_mul_lo_u32 v0, v121, v52
	v_cvt_f32_i32_e32 v47, v48
	v_fmac_f32_e32 v49, v1, v35
	v_fma_f32 v27, v82, v88, v27
	v_fmac_f32_e32 v89, v1, v47
	v_fma_f32 v19, v76, v49, v19
	v_mad_u64_u32 v[0:1], null, v201, v53, v[0:1]
	v_mul_lo_u32 v1, v186, v54
	v_fma_f32 v23, v85, v89, v23
	v_cvt_f32_i32_e32 v0, v0
	v_mad_u64_u32 v[34:35], null, v232, v55, v[1:2]
	v_mul_lo_u32 v1, v123, v58
	v_mad_u64_u32 v[35:36], null, v203, v59, v[1:2]
	v_mul_lo_u32 v1, v187, v62
	;; [unrolled: 2-line block ×6, first 2 shown]
	v_mad_u64_u32 v[47:48], null, v230, v105, v[1:2]
	v_cvt_f32_i32_e32 v1, v34
	v_cvt_f32_i32_e32 v34, v35
	;; [unrolled: 1-line block ×6, first 2 shown]
	v_fma_f32 v46, v40, v0, 0
	v_mul_lo_u32 v0, v195, v53
	v_cvt_f32_i32_e32 v39, v47
	v_fma_f32 v47, v40, v34, 0
	v_fma_f32 v48, v40, v36, 0
	v_fmac_f32_e32 v46, v41, v1
	v_fma_f32 v90, v40, v38, 0
	v_fmac_f32_e32 v47, v41, v35
	v_mad_u64_u32 v[0:1], null, v119, v52, v[0:1]
	v_mul_lo_u32 v1, v216, v55
	v_fmac_f32_e32 v48, v41, v37
	v_fmac_f32_e32 v90, v41, v39
	v_fma_f32 v20, v77, v46, v20
	v_fma_f32 v32, v80, v47, v32
	v_cvt_f32_i32_e32 v0, v0
	v_fma_f32 v28, v83, v48, v28
	v_mad_u64_u32 v[34:35], null, v93, v54, v[1:2]
	v_mul_lo_u32 v1, v196, v59
	v_fma_f32 v24, v86, v90, v24
	v_mad_u64_u32 v[35:36], null, v64, v58, v[1:2]
	v_mul_lo_u32 v1, v215, v97
	v_fma_f32 v64, v56, v0, 0
	v_mul_lo_u32 v0, v129, v52
	v_mad_u64_u32 v[36:37], null, v95, v62, v[1:2]
	v_mul_lo_u32 v1, v239, v104
	v_mad_u64_u32 v[37:38], null, v120, v98, v[1:2]
	;; [unrolled: 2-line block ×5, first 2 shown]
	v_cvt_f32_i32_e32 v1, v34
	v_cvt_f32_i32_e32 v34, v35
	;; [unrolled: 1-line block ×5, first 2 shown]
	v_fmac_f32_e32 v64, v57, v1
	v_mad_u64_u32 v[0:1], null, v202, v53, v[0:1]
	v_mul_lo_u32 v1, v191, v54
	v_fma_f32 v65, v56, v34, 0
	v_fma_f32 v91, v56, v36, 0
	v_cvt_f32_i32_e32 v38, v39
	v_cvt_f32_i32_e32 v39, v40
	v_fma_f32 v21, v78, v64, v21
	v_fmac_f32_e32 v65, v57, v35
	v_fmac_f32_e32 v91, v57, v37
	v_mad_u64_u32 v[34:35], null, v228, v55, v[1:2]
	v_mul_lo_u32 v1, v130, v58
	v_fma_f32 v56, v56, v38, 0
	v_cvt_f32_i32_e32 v0, v0
	v_fma_f32 v33, v81, v65, v33
	v_fma_f32 v29, v84, v91, v29
	v_fmac_f32_e32 v56, v57, v39
	v_fma_f32 v57, v42, v0, 0
	v_mad_u64_u32 v[35:36], null, v225, v59, v[1:2]
	v_mul_lo_u32 v1, v192, v62
	v_mul_lo_u32 v0, v243, v53
	v_fma_f32 v25, v87, v56, v25
	v_mad_u64_u32 v[36:37], null, v229, v97, v[1:2]
	v_mul_lo_u32 v1, v131, v98
	v_mad_u64_u32 v[37:38], null, v247, v104, v[1:2]
	v_mul_lo_u32 v1, v190, v110
	;; [unrolled: 2-line block ×4, first 2 shown]
	v_mad_u64_u32 v[40:41], null, v226, v105, v[1:2]
	v_cvt_f32_i32_e32 v1, v34
	v_cvt_f32_i32_e32 v34, v35
	;; [unrolled: 1-line block ×5, first 2 shown]
	v_fmac_f32_e32 v57, v43, v1
	v_mad_u64_u32 v[0:1], null, v66, v52, v[0:1]
	v_mul_lo_u32 v1, v212, v55
	v_fma_f32 v92, v42, v34, 0
	v_fma_f32 v93, v42, v36, 0
	v_cvt_f32_i32_e32 v38, v39
	v_cvt_f32_i32_e32 v39, v40
	v_fmac_f32_e32 v14, v72, v57
	v_fmac_f32_e32 v92, v43, v35
	v_fmac_f32_e32 v93, v43, v37
	v_mad_u64_u32 v[34:35], null, v174, v54, v[1:2]
	v_mul_lo_u32 v1, v244, v59
	v_fma_f32 v42, v42, v38, 0
	v_cvt_f32_i32_e32 v0, v0
	v_fmac_f32_e32 v10, v73, v92
	v_fmac_f32_e32 v6, v74, v93
	;; [unrolled: 1-line block ×3, first 2 shown]
	v_fma_f32 v43, v69, v0, 0
	v_mad_u64_u32 v[35:36], null, v155, v58, v[1:2]
	v_mul_lo_u32 v1, v211, v97
	v_mul_lo_u32 v0, v136, v52
	v_mad_u64_u32 v[36:37], null, v176, v62, v[1:2]
	v_mul_lo_u32 v1, v245, v104
	v_mad_u64_u32 v[37:38], null, v156, v98, v[1:2]
	;; [unrolled: 2-line block ×5, first 2 shown]
	v_cvt_f32_i32_e32 v1, v34
	v_cvt_f32_i32_e32 v34, v35
	;; [unrolled: 1-line block ×5, first 2 shown]
	v_fmac_f32_e32 v43, v70, v1
	v_mad_u64_u32 v[0:1], null, v210, v53, v[0:1]
	v_mul_lo_u32 v1, v198, v54
	v_fma_f32 v66, v69, v34, 0
	v_fma_f32 v94, v69, v36, 0
	v_cvt_f32_i32_e32 v38, v39
	v_cvt_f32_i32_e32 v39, v40
	v_fma_f32 v15, v76, v43, v15
	v_fmac_f32_e32 v66, v70, v35
	v_fmac_f32_e32 v94, v70, v37
	v_mad_u64_u32 v[34:35], null, v218, v55, v[1:2]
	v_mul_lo_u32 v1, v140, v58
	v_fma_f32 v69, v69, v38, 0
	v_cvt_f32_i32_e32 v0, v0
	v_fma_f32 v11, v79, v66, v11
	v_fma_f32 v7, v82, v94, v7
	v_fmac_f32_e32 v69, v70, v39
	v_fma_f32 v70, v44, v0, 0
	v_mad_u64_u32 v[35:36], null, v234, v59, v[1:2]
	v_mul_lo_u32 v1, v200, v62
	v_mul_lo_u32 v0, v249, v53
	v_fma_f32 v3, v85, v69, v3
	v_mad_u64_u32 v[36:37], null, v220, v97, v[1:2]
	v_mul_lo_u32 v1, v141, v98
	v_mad_u64_u32 v[37:38], null, v251, v104, v[1:2]
	v_mul_lo_u32 v1, v199, v110
	;; [unrolled: 2-line block ×4, first 2 shown]
	v_mad_u64_u32 v[40:41], null, v217, v105, v[1:2]
	v_cvt_f32_i32_e32 v1, v34
	v_cvt_f32_i32_e32 v34, v35
	;; [unrolled: 1-line block ×5, first 2 shown]
	v_fmac_f32_e32 v70, v45, v1
	v_mad_u64_u32 v[0:1], null, v133, v52, v[0:1]
	v_mul_lo_u32 v1, v207, v55
	v_fma_f32 v95, v44, v34, 0
	v_fma_f32 v106, v44, v36, 0
	v_cvt_f32_i32_e32 v38, v39
	v_cvt_f32_i32_e32 v39, v40
	v_fma_f32 v16, v77, v70, v16
	v_fmac_f32_e32 v95, v45, v35
	v_fmac_f32_e32 v106, v45, v37
	v_mad_u64_u32 v[34:35], null, v184, v54, v[1:2]
	v_mul_lo_u32 v1, v250, v59
	v_fma_f32 v44, v44, v38, 0
	v_cvt_f32_i32_e32 v0, v0
	v_fma_f32 v12, v80, v95, v12
	v_fma_f32 v8, v83, v106, v8
	v_fmac_f32_e32 v44, v45, v39
	v_fma_f32 v0, v99, v0, 0
	v_mad_u64_u32 v[35:36], null, v60, v58, v[1:2]
	v_mul_lo_u32 v1, v206, v97
	v_fma_f32 v4, v86, v44, v4
	v_mad_u64_u32 v[36:37], null, v188, v62, v[1:2]
	v_mul_lo_u32 v1, v143, v104
	v_mad_u64_u32 v[37:38], null, v134, v98, v[1:2]
	v_mul_lo_u32 v1, v205, v96
	;; [unrolled: 2-line block ×4, first 2 shown]
	v_mad_u64_u32 v[40:41], null, v182, v63, v[1:2]
	v_cvt_f32_i32_e32 v1, v34
	v_cvt_f32_i32_e32 v34, v35
	;; [unrolled: 1-line block ×6, first 2 shown]
	v_fmac_f32_e32 v0, v100, v1
	v_fma_f32 v1, v99, v34, 0
	v_cvt_f32_i32_e32 v39, v40
	v_fma_f32 v34, v99, v36, 0
	v_fmac_f32_e32 v2, v75, v42
	v_fma_f32 v17, v78, v0, v17
	v_fmac_f32_e32 v1, v100, v35
	;; [unrolled: 2-line block ×4, first 2 shown]
	v_fma_f32 v9, v84, v34, v9
	v_fma_f32 v5, v87, v35, v5
	s_cbranch_vccnz .LBB176_6
; %bb.7:                                ;   in Loop: Header=BB176_5 Depth=1
	s_barrier
	buffer_load_dword v0, off, s[20:23], 0  ; 4-byte Folded Reload
	s_waitcnt vmcnt(0)
	buffer_gl0_inv
	s_clause 0x3
	buffer_load_dword v1, off, s[20:23], 0 offset:4
	buffer_load_dword v37, off, s[20:23], 0 offset:12
	;; [unrolled: 1-line block ×4, first 2 shown]
	v_add_nc_u32_e32 v44, s0, v137
	v_add_nc_u32_e32 v42, 4, v71
	v_mov_b32_e32 v255, v158
	s_mov_b32 s0, 16
	buffer_load_dword v39, off, s[20:23], 0 offset:16 ; 4-byte Folded Reload
	v_add_nc_u32_e32 v0, v44, v0
	s_waitcnt vmcnt(4)
	v_add_nc_u32_e32 v34, v44, v1
	buffer_load_dword v1, off, s[20:23], 0 offset:8 ; 4-byte Folded Reload
	s_waitcnt vmcnt(3)
	v_add_nc_u32_e32 v45, v44, v43
	buffer_load_dword v43, off, s[20:23], 0 offset:24 ; 4-byte Folded Reload
	v_add_nc_u32_e32 v38, v44, v37
	v_mad_i64_i32 v[34:35], null, v34, 36, v[67:68]
	s_waitcnt vmcnt(3)
	v_add_nc_u32_e32 v48, v44, v47
	s_waitcnt vmcnt(2)
	v_add_nc_u32_e32 v40, v44, v39
	v_mad_i64_i32 v[38:39], null, v38, 36, v[67:68]
	v_mad_i64_i32 v[48:49], null, v48, 36, v[67:68]
	;; [unrolled: 1-line block ×3, first 2 shown]
	s_waitcnt vmcnt(1)
	v_add_nc_u32_e32 v36, v44, v1
	v_mad_i64_i32 v[0:1], null, v0, 36, v[67:68]
	s_waitcnt vmcnt(0)
	v_add_nc_u32_e32 v46, v44, v43
	v_mad_u64_u32 v[42:43], null, v42, 36, s[2:3]
	v_mad_i64_i32 v[36:37], null, v36, 36, v[67:68]
	v_mad_i64_i32 v[44:45], null, v45, 36, v[67:68]
	v_mad_i64_i32 v[46:47], null, v46, 36, v[67:68]
	s_clause 0x8
	global_load_dword v42, v[42:43], off
	global_load_dword v0, v[0:1], off offset:4
	global_load_dword v1, v[34:35], off offset:4
	;; [unrolled: 1-line block ×8, first 2 shown]
	buffer_load_dword v41, off, s[20:23], 0 offset:48 ; 4-byte Folded Reload
	s_waitcnt vmcnt(9)
	v_cvt_f32_f16_e32 v40, v42
	s_waitcnt vmcnt(0)
	ds_write_b32 v41, v0
	buffer_load_dword v0, off, s[20:23], 0 offset:52 ; 4-byte Folded Reload
	s_waitcnt vmcnt(0)
	ds_write_b32 v0, v1
	ds_write_b32 v159, v34
	;; [unrolled: 1-line block ×8, first 2 shown]
	s_waitcnt lgkmcnt(0)
	s_barrier
	buffer_gl0_inv
	buffer_load_dword v0, off, s[20:23], 0 offset:32 ; 4-byte Folded Reload
	s_waitcnt vmcnt(0)
	ds_read_b32 v173, v0
	buffer_load_dword v0, off, s[20:23], 0 offset:36 ; 4-byte Folded Reload
	s_waitcnt lgkmcnt(0)
	v_mov_b32_e32 v177, v173
	v_mov_b32_e32 v178, v173
	v_mov_b32_e32 v179, v173
	s_waitcnt vmcnt(0)
	ds_read_b32 v174, v0 offset:128
	buffer_load_dword v0, off, s[20:23], 0 offset:40 ; 4-byte Folded Reload
	s_waitcnt lgkmcnt(0)
	v_mov_b32_e32 v180, v174
	v_mov_b32_e32 v181, v174
	v_mov_b32_e32 v182, v174
	s_waitcnt vmcnt(0)
	ds_read_b32 v175, v0 offset:256
	;; [unrolled: 7-line block ×3, first 2 shown]
	s_waitcnt lgkmcnt(0)
	v_mov_b32_e32 v186, v176
	v_mov_b32_e32 v187, v176
	;; [unrolled: 1-line block ×3, first 2 shown]
.LBB176_8:                              ;   Parent Loop BB176_5 Depth=1
                                        ; =>  This Inner Loop Header: Depth=2
	s_lshl_b32 s11, s0, 1
	s_lshr_b32 s16, s0, 1
	s_and_b32 s15, s11, 16
	s_lshl_b32 s1, s0, 3
	s_add_i32 s11, s16, 0xa200
	v_or_b32_e32 v197, s15, v115
	v_add_nc_u32_e32 v212, s1, v151
	v_add3_u32 v0, s11, v168, v166
	v_add_nc_u32_e32 v213, s1, v152
	v_add_nc_u32_e32 v214, s1, v153
	;; [unrolled: 1-line block ×3, first 2 shown]
	v_add3_u32 v1, s11, v169, v165
	v_lshlrev_b32_e32 v227, 2, v197
	ds_read2_b32 v[87:88], v212 offset0:12 offset1:13
	ds_read_b32 v198, v0
	ds_read_b32 v199, v1
	ds_read2_b32 v[83:84], v212 offset0:14 offset1:15
	ds_read_b128 v[42:45], v227 offset:33328
	ds_read_b128 v[38:41], v227 offset:33312
	ds_read2_b32 v[91:92], v213 offset0:12 offset1:13
	ds_read2_b32 v[85:86], v213 offset0:14 offset1:15
	;; [unrolled: 1-line block ×8, first 2 shown]
	v_or_b32_e32 v0, s15, v144
	v_mov_b32_e32 v189, 0
	v_mov_b32_e32 v190, 0
	v_mov_b32_e32 v191, 0
	v_mov_b32_e32 v192, 0
	v_lshlrev_b32_e32 v233, 2, v0
	ds_read2_b32 v[97:98], v215 offset0:14 offset1:15
	ds_read_b128 v[34:37], v233 offset:33280
	v_lshrrev_b32_e32 v0, 1, v0
	v_mov_b32_e32 v207, 0
	v_mov_b32_e32 v206, 0
	;; [unrolled: 1-line block ×4, first 2 shown]
	s_waitcnt lgkmcnt(11)
	v_dot4c_i32_i8 v189, v87, v42
	s_waitcnt lgkmcnt(9)
	v_dot4c_i32_i8 v190, v91, v42
	s_waitcnt lgkmcnt(6)
	v_dot4c_i32_i8 v191, v93, v42
	s_waitcnt lgkmcnt(3)
	v_dot4c_i32_i8 v192, v95, v42
	v_or_b32_e32 v216, s15, v145
	v_dot4c_i32_i8 v189, v88, v43
	v_dot4c_i32_i8 v190, v92, v43
	;; [unrolled: 1-line block ×4, first 2 shown]
	v_lshlrev_b32_e32 v228, 2, v216
	v_dot4c_i32_i8 v189, v83, v44
	v_dot4c_i32_i8 v190, v85, v44
	;; [unrolled: 1-line block ×3, first 2 shown]
	s_waitcnt lgkmcnt(1)
	v_dot4c_i32_i8 v192, v97, v44
	v_mov_b32_e32 v194, 0
	v_dot4c_i32_i8 v189, v84, v45
	v_dot4c_i32_i8 v190, v86, v45
	v_dot4c_i32_i8 v191, v90, v45
	v_dot4c_i32_i8 v192, v98, v45
	ds_read_b64 v[69:70], v0 offset:43584
	ds_read_b128 v[42:45], v233 offset:33328
	v_mov_b32_e32 v196, 0
	v_mov_b32_e32 v195, 0
	;; [unrolled: 1-line block ×3, first 2 shown]
	v_or_b32_e32 v0, s15, v146
	v_mov_b32_e32 v210, 0
	v_mov_b32_e32 v211, 0
	;; [unrolled: 1-line block ×4, first 2 shown]
	v_lshrrev_b32_e32 v1, 1, v0
	v_lshlrev_b32_e32 v222, 2, v0
	v_or_b32_e32 v221, s15, v147
	v_mov_b32_e32 v201, 0
	v_mov_b32_e32 v203, 0
	;; [unrolled: 1-line block ×4, first 2 shown]
	v_lshlrev_b32_e32 v231, 2, v221
	v_or_b32_e32 v0, s15, v148
	v_mov_b32_e32 v225, 0
	v_mov_b32_e32 v226, 0
	s_waitcnt lgkmcnt(0)
	v_dot4c_i32_i8 v207, v87, v42
	v_dot4c_i32_i8 v206, v91, v42
	;; [unrolled: 1-line block ×4, first 2 shown]
	v_lshlrev_b32_e32 v234, 2, v0
	v_dot4c_i32_i8 v207, v88, v43
	v_dot4c_i32_i8 v206, v92, v43
	;; [unrolled: 1-line block ×4, first 2 shown]
	v_mov_b32_e32 v224, 0
	v_dot4c_i32_i8 v207, v83, v44
	v_dot4c_i32_i8 v206, v85, v44
	v_dot4c_i32_i8 v205, v89, v44
	v_dot4c_i32_i8 v204, v97, v44
	v_mov_b32_e32 v223, 0
	v_dot4c_i32_i8 v207, v84, v45
	v_dot4c_i32_i8 v206, v86, v45
	;; [unrolled: 1-line block ×4, first 2 shown]
	ds_read_b128 v[46:49], v228 offset:33328
	ds_read_b128 v[42:45], v228 offset:33312
	v_or_b32_e32 v232, s15, v149
	v_mov_b32_e32 v218, 0
	v_mov_b32_e32 v220, 0
	;; [unrolled: 1-line block ×4, first 2 shown]
	v_lshlrev_b32_e32 v62, 2, v232
	v_mov_b32_e32 v229, 0
	v_mov_b32_e32 v230, 0
	;; [unrolled: 1-line block ×12, first 2 shown]
	s_waitcnt lgkmcnt(1)
	v_dot4c_i32_i8 v194, v87, v46
	v_dot4c_i32_i8 v196, v91, v46
	v_dot4c_i32_i8 v195, v93, v46
	v_dot4c_i32_i8 v193, v95, v46
	v_mov_b32_e32 v116, 0
	v_dot4c_i32_i8 v194, v88, v47
	v_dot4c_i32_i8 v196, v92, v47
	v_dot4c_i32_i8 v195, v94, v47
	v_dot4c_i32_i8 v193, v96, v47
	v_mov_b32_e32 v117, 0
	;; [unrolled: 5-line block ×3, first 2 shown]
	v_dot4c_i32_i8 v194, v84, v49
	v_dot4c_i32_i8 v196, v86, v49
	;; [unrolled: 1-line block ×4, first 2 shown]
	ds_read_b64 v[71:72], v1 offset:43584
	ds_read_b128 v[46:49], v222 offset:33328
	v_lshrrev_b32_e32 v1, 1, v0
	v_or_b32_e32 v0, s15, v150
	v_mov_b32_e32 v119, 0
	v_mov_b32_e32 v120, 0
	;; [unrolled: 1-line block ×4, first 2 shown]
	v_lshlrev_b32_e32 v236, 2, v0
	v_mov_b32_e32 v124, 0
	v_mov_b32_e32 v125, 0
	;; [unrolled: 1-line block ×12, first 2 shown]
	s_waitcnt lgkmcnt(0)
	v_dot4c_i32_i8 v210, v87, v46
	v_dot4c_i32_i8 v211, v91, v46
	v_dot4c_i32_i8 v209, v93, v46
	v_dot4c_i32_i8 v208, v95, v46
	v_mov_b32_e32 v141, 0
	v_dot4c_i32_i8 v210, v88, v47
	v_dot4c_i32_i8 v211, v92, v47
	v_dot4c_i32_i8 v209, v94, v47
	v_dot4c_i32_i8 v208, v96, v47
	v_mov_b32_e32 v155, 0
	v_dot4c_i32_i8 v210, v83, v48
	v_dot4c_i32_i8 v211, v85, v48
	v_dot4c_i32_i8 v209, v89, v48
	v_dot4c_i32_i8 v208, v97, v48
	v_mov_b32_e32 v156, 0
	v_dot4c_i32_i8 v210, v84, v49
	v_dot4c_i32_i8 v211, v86, v49
	;; [unrolled: 1-line block ×4, first 2 shown]
	ds_read_b128 v[104:107], v231 offset:33328
	ds_read_b128 v[46:49], v231 offset:33312
	v_mov_b32_e32 v157, 0
	v_mov_b32_e32 v142, 0
	v_mov_b32_e32 v143, 0
	s_add_i32 s1, s0, 8
	s_cmp_lt_u32 s0, 24
	s_mov_b32 s0, s1
	s_waitcnt lgkmcnt(1)
	v_dot4c_i32_i8 v201, v87, v104
	v_dot4c_i32_i8 v203, v91, v104
	;; [unrolled: 1-line block ×16, first 2 shown]
	ds_read_b64 v[73:74], v1 offset:43584
	ds_read_b128 v[104:107], v234 offset:33328
	v_lshrrev_b32_e32 v1, 1, v0
	s_waitcnt lgkmcnt(0)
	v_dot4c_i32_i8 v225, v87, v104
	v_dot4c_i32_i8 v226, v91, v104
	;; [unrolled: 1-line block ×16, first 2 shown]
	ds_read_b128 v[104:107], v62 offset:33328
	ds_read_b128 v[241:244], v62 offset:33312
	s_waitcnt lgkmcnt(1)
	v_dot4c_i32_i8 v218, v87, v104
	v_dot4c_i32_i8 v220, v91, v104
	;; [unrolled: 1-line block ×16, first 2 shown]
	ds_read_b64 v[81:82], v1 offset:43584
	ds_read_b128 v[104:107], v236 offset:33328
	ds_read2_b32 v[0:1], v212 offset0:8 offset1:9
	ds_read2_b32 v[54:55], v212 offset0:10 offset1:11
	;; [unrolled: 1-line block ×8, first 2 shown]
	s_waitcnt lgkmcnt(8)
	v_dot4c_i32_i8 v229, v87, v104
	v_dot4c_i32_i8 v230, v91, v104
	v_mov_b32_e32 v87, 0
	v_mov_b32_e32 v91, 0
	v_dot4c_i32_i8 v229, v88, v105
	v_mov_b32_e32 v88, 0
	v_dot4c_i32_i8 v230, v92, v105
	;; [unrolled: 2-line block ×3, first 2 shown]
	s_waitcnt lgkmcnt(4)
	v_dot4c_i32_i8 v91, v58, v38
	v_dot4c_i32_i8 v88, v93, v104
	;; [unrolled: 1-line block ×3, first 2 shown]
	s_waitcnt lgkmcnt(2)
	v_dot4c_i32_i8 v92, v108, v38
	v_dot4c_i32_i8 v87, v96, v105
	;; [unrolled: 1-line block ×9, first 2 shown]
	v_mov_b32_e32 v89, 0
	v_dot4c_i32_i8 v92, v77, v40
	v_dot4c_i32_i8 v229, v84, v107
	;; [unrolled: 1-line block ×4, first 2 shown]
	v_mov_b32_e32 v90, 0
	v_dot4c_i32_i8 v89, v0, v38
	v_dot4c_i32_i8 v87, v98, v107
	;; [unrolled: 1-line block ×4, first 2 shown]
	s_waitcnt lgkmcnt(1)
	v_dot4c_i32_i8 v90, v110, v38
	v_dot4c_i32_i8 v89, v1, v39
	v_mov_b32_e32 v98, 0
	v_mov_b32_e32 v97, 0
	v_mov_b32_e32 v95, 0
	v_dot4c_i32_i8 v90, v111, v39
	v_dot4c_i32_i8 v89, v54, v40
	v_mov_b32_e32 v96, 0
	v_mov_b32_e32 v94, 0
	v_mov_b32_e32 v93, 0
	;; [unrolled: 5-line block ×3, first 2 shown]
	v_dot4c_i32_i8 v90, v80, v41
	ds_read_b128 v[38:41], v233 offset:33312
	ds_read_b128 v[104:107], v233 offset:33296
	v_mov_b32_e32 v233, 0
	v_mov_b32_e32 v83, 0
	v_dot4c_i32_i8 v86, v0, v42
	v_dot4c_i32_i8 v85, v58, v42
	v_dot4c_i32_i8 v84, v108, v42
	v_dot4c_i32_i8 v83, v110, v42
	v_dot4c_i32_i8 v86, v1, v43
	v_dot4c_i32_i8 v85, v59, v43
	v_dot4c_i32_i8 v84, v109, v43
	v_mov_b32_e32 v42, 0
	v_dot4c_i32_i8 v83, v111, v43
	v_dot4c_i32_i8 v86, v54, v44
	;; [unrolled: 1-line block ×4, first 2 shown]
	v_mov_b32_e32 v43, 0
	v_dot4c_i32_i8 v83, v79, v44
	v_dot4c_i32_i8 v86, v55, v45
	s_waitcnt lgkmcnt(1)
	v_dot4c_i32_i8 v240, v0, v38
	v_dot4c_i32_i8 v239, v58, v38
	;; [unrolled: 1-line block ×19, first 2 shown]
	ds_read_b128 v[38:41], v222 offset:33312
	ds_read_b128 v[245:248], v222 offset:33296
	v_mov_b32_e32 v45, 0
	v_mov_b32_e32 v44, 0
	v_dot4c_i32_i8 v43, v108, v46
	v_dot4c_i32_i8 v42, v110, v46
	;; [unrolled: 1-line block ×6, first 2 shown]
	v_mov_b32_e32 v46, 0
	v_dot4c_i32_i8 v45, v1, v47
	v_dot4c_i32_i8 v44, v59, v47
	;; [unrolled: 1-line block ×4, first 2 shown]
	v_mov_b32_e32 v47, 0
	v_dot4c_i32_i8 v45, v54, v48
	v_dot4c_i32_i8 v44, v75, v48
	;; [unrolled: 1-line block ×3, first 2 shown]
	s_waitcnt lgkmcnt(1)
	v_dot4c_i32_i8 v233, v0, v38
	v_dot4c_i32_i8 v235, v58, v38
	;; [unrolled: 1-line block ×19, first 2 shown]
	ds_read_b128 v[38:41], v234 offset:33312
	ds_read_b128 v[249:252], v234 offset:33296
	v_mov_b32_e32 v49, 0
	v_mov_b32_e32 v48, 0
	s_waitcnt lgkmcnt(1)
	v_dot4c_i32_i8 v95, v0, v38
	v_dot4c_i32_i8 v96, v58, v38
	v_dot4c_i32_i8 v94, v108, v38
	v_dot4c_i32_i8 v93, v110, v38
	v_mov_b32_e32 v38, 0
	v_dot4c_i32_i8 v95, v1, v39
	v_dot4c_i32_i8 v96, v59, v39
	v_dot4c_i32_i8 v94, v109, v39
	v_dot4c_i32_i8 v93, v111, v39
	v_mov_b32_e32 v39, 0
	;; [unrolled: 5-line block ×4, first 2 shown]
	v_dot4c_i32_i8 v40, v58, v241
	v_dot4c_i32_i8 v39, v108, v241
	;; [unrolled: 1-line block ×16, first 2 shown]
	ds_read_b128 v[241:244], v236 offset:33312
	ds_read_b128 v[50:53], v236 offset:33296
	s_waitcnt lgkmcnt(1)
	v_dot4c_i32_i8 v47, v0, v241
	v_dot4c_i32_i8 v49, v58, v241
	;; [unrolled: 1-line block ×16, first 2 shown]
	ds_read2_b32 v[0:1], v212 offset0:4 offset1:5
	ds_read_b128 v[75:78], v227 offset:33296
	ds_read_b128 v[241:244], v227 offset:33280
	ds_read2_b32 v[54:55], v213 offset0:4 offset1:5
	ds_read2_b32 v[58:59], v213 offset0:2 offset1:3
	;; [unrolled: 1-line block ×7, first 2 shown]
	v_mov_b32_e32 v227, 0
	s_waitcnt lgkmcnt(9)
	v_dot4c_i32_i8 v114, v0, v104
	s_waitcnt lgkmcnt(8)
	v_dot4c_i32_i8 v63, v0, v75
	;; [unrolled: 2-line block ×5, first 2 shown]
	v_dot4c_i32_i8 v116, v54, v104
	v_dot4c_i32_i8 v117, v79, v104
	;; [unrolled: 1-line block ×27, first 2 shown]
	ds_read_b128 v[75:78], v228 offset:33296
	ds_read_b128 v[104:107], v228 offset:33280
	v_dot4c_i32_i8 v124, v0, v245
	v_dot4c_i32_i8 v125, v54, v245
	;; [unrolled: 1-line block ×18, first 2 shown]
	s_waitcnt lgkmcnt(1)
	v_dot4c_i32_i8 v119, v0, v75
	v_dot4c_i32_i8 v120, v54, v75
	;; [unrolled: 1-line block ×19, first 2 shown]
	ds_read_b128 v[75:78], v231 offset:33296
	ds_read_b128 v[245:248], v231 offset:33280
	v_dot4c_i32_i8 v135, v55, v250
	v_dot4c_i32_i8 v136, v80, v250
	v_dot4c_i32_i8 v140, v254, v250
	v_dot4c_i32_i8 v134, v56, v251
	v_dot4c_i32_i8 v155, v0, v50
	v_dot4c_i32_i8 v135, v99, v251
	v_dot4c_i32_i8 v136, v108, v251
	v_dot4c_i32_i8 v140, v112, v251
	v_dot4c_i32_i8 v134, v57, v252
	v_dot4c_i32_i8 v156, v54, v50
	v_dot4c_i32_i8 v135, v100, v252
	v_dot4c_i32_i8 v136, v109, v252
	v_dot4c_i32_i8 v140, v113, v252
	v_dot4c_i32_i8 v157, v79, v50
	v_dot4c_i32_i8 v227, v253, v50
	v_dot4c_i32_i8 v155, v1, v51
	v_dot4c_i32_i8 v156, v55, v51
	v_add3_u32 v50, s11, v170, v171
	s_waitcnt lgkmcnt(1)
	v_dot4c_i32_i8 v130, v0, v75
	v_dot4c_i32_i8 v131, v54, v75
	;; [unrolled: 1-line block ×19, first 2 shown]
	ds_read_b128 v[75:78], v62 offset:33296
	ds_read_b128 v[249:252], v62 offset:33280
	v_mov_b32_e32 v62, 0
	v_dot4c_i32_i8 v156, v99, v52
	v_dot4c_i32_i8 v157, v108, v52
	;; [unrolled: 1-line block ×4, first 2 shown]
	v_mov_b32_e32 v228, 0
	v_dot4c_i32_i8 v156, v100, v53
	v_dot4c_i32_i8 v157, v109, v53
	;; [unrolled: 1-line block ×3, first 2 shown]
	v_mov_b32_e32 v231, 0
	s_waitcnt lgkmcnt(1)
	v_dot4c_i32_i8 v141, v0, v75
	v_dot4c_i32_i8 v62, v54, v75
	;; [unrolled: 1-line block ×4, first 2 shown]
	v_mov_b32_e32 v253, 0
	v_dot4c_i32_i8 v141, v1, v76
	v_dot4c_i32_i8 v62, v55, v76
	;; [unrolled: 1-line block ×4, first 2 shown]
	v_mov_b32_e32 v254, 0
	v_dot4c_i32_i8 v141, v56, v77
	v_dot4c_i32_i8 v62, v99, v77
	ds_read2_b32 v[0:1], v212 offset0:2 offset1:3
	ds_read_b32 v99, v50
	v_add3_u32 v50, s11, v172, v167
	ds_read2_b32 v[52:53], v213 offset1:1
	v_dot4c_i32_i8 v141, v57, v78
	v_dot4c_i32_i8 v62, v100, v78
	ds_read2_b32 v[54:55], v214 offset1:1
	ds_read_b32 v100, v50
	ds_read2_b32 v[56:57], v215 offset1:1
	ds_read2_b32 v[50:51], v212 offset1:1
	v_dot4c_i32_i8 v142, v108, v77
	v_dot4c_i32_i8 v143, v112, v77
	v_mov_b32_e32 v212, 0
	v_mov_b32_e32 v213, 0
	;; [unrolled: 1-line block ×4, first 2 shown]
	v_dot4c_i32_i8 v142, v109, v78
	v_dot4c_i32_i8 v143, v113, v78
	v_mov_b32_e32 v108, 0
	v_mov_b32_e32 v109, 0
	v_mov_b32_e32 v112, 0
	v_mov_b32_e32 v113, 0
	s_waitcnt lgkmcnt(4)
	v_dot4c_i32_i8 v213, v52, v34
	v_dot4c_i32_i8 v109, v52, v241
	;; [unrolled: 1-line block ×3, first 2 shown]
	s_waitcnt lgkmcnt(3)
	v_dot4c_i32_i8 v214, v54, v34
	v_dot4c_i32_i8 v112, v54, v241
	s_waitcnt lgkmcnt(1)
	v_dot4c_i32_i8 v215, v56, v34
	s_waitcnt lgkmcnt(0)
	v_dot4c_i32_i8 v212, v50, v34
	v_dot4c_i32_i8 v108, v50, v241
	v_dot4c_i32_i8 v113, v56, v241
	v_dot4c_i32_i8 v213, v53, v35
	v_dot4c_i32_i8 v214, v55, v35
	v_dot4c_i32_i8 v212, v51, v35
	v_dot4c_i32_i8 v215, v57, v35
	v_dot4c_i32_i8 v108, v51, v242
	v_dot4c_i32_i8 v109, v53, v242
	v_dot4c_i32_i8 v112, v55, v242
	v_dot4c_i32_i8 v113, v57, v242
	v_dot4c_i32_i8 v212, v0, v36
	v_dot4c_i32_i8 v213, v58, v36
	v_dot4c_i32_i8 v214, v110, v36
	v_dot4c_i32_i8 v215, v60, v36
	v_mov_b32_e32 v241, 0
	v_mov_b32_e32 v242, 0
	v_lshrrev_b32_e32 v34, 1, v216
	v_dot4c_i32_i8 v212, v1, v37
	v_dot4c_i32_i8 v213, v59, v37
	;; [unrolled: 1-line block ×7, first 2 shown]
	ds_read_b64 v[75:76], v34 offset:43584
	ds_read_b128 v[34:37], v222 offset:33280
	v_dot4c_i32_i8 v231, v53, v105
	v_dot4c_i32_i8 v228, v51, v105
	v_dot4c_i32_i8 v241, v55, v105
	v_dot4c_i32_i8 v242, v57, v105
	v_mov_b32_e32 v104, 0
	v_dot4c_i32_i8 v231, v58, v106
	v_dot4c_i32_i8 v228, v0, v106
	v_dot4c_i32_i8 v241, v110, v106
	v_dot4c_i32_i8 v242, v60, v106
	v_mov_b32_e32 v105, 0
	;; [unrolled: 5-line block ×3, first 2 shown]
	v_mov_b32_e32 v107, 0
	v_dot4c_i32_i8 v108, v0, v243
	v_dot4c_i32_i8 v109, v58, v243
	;; [unrolled: 1-line block ×3, first 2 shown]
	s_waitcnt lgkmcnt(0)
	v_dot4c_i32_i8 v104, v50, v34
	v_dot4c_i32_i8 v105, v52, v34
	v_dot4c_i32_i8 v106, v54, v34
	v_dot4c_i32_i8 v107, v56, v34
	v_lshrrev_b32_e32 v34, 1, v221
	v_dot4c_i32_i8 v104, v51, v35
	v_dot4c_i32_i8 v105, v53, v35
	v_dot4c_i32_i8 v106, v55, v35
	v_dot4c_i32_i8 v107, v57, v35
	v_dot4c_i32_i8 v113, v60, v243
	v_dot4c_i32_i8 v104, v0, v36
	v_dot4c_i32_i8 v105, v58, v36
	v_dot4c_i32_i8 v106, v110, v36
	v_dot4c_i32_i8 v107, v60, v36
	v_dot4c_i32_i8 v108, v1, v244
	v_dot4c_i32_i8 v104, v1, v37
	v_dot4c_i32_i8 v105, v59, v37
	v_dot4c_i32_i8 v106, v111, v37
	v_dot4c_i32_i8 v107, v61, v37
	ds_read_b64 v[77:78], v34 offset:43584
	ds_read_b128 v[34:37], v234 offset:33280
	v_dot4c_i32_i8 v109, v59, v244
	v_dot4c_i32_i8 v112, v111, v244
	;; [unrolled: 1-line block ×3, first 2 shown]
	v_mov_b32_e32 v216, 0
	v_mov_b32_e32 v222, 0
	;; [unrolled: 1-line block ×5, first 2 shown]
	v_dot4c_i32_i8 v216, v50, v245
	v_dot4c_i32_i8 v222, v52, v245
	;; [unrolled: 1-line block ×4, first 2 shown]
	v_mov_b32_e32 v234, 0
	v_dot4c_i32_i8 v216, v51, v246
	v_dot4c_i32_i8 v222, v53, v246
	;; [unrolled: 1-line block ×4, first 2 shown]
	v_mov_b32_e32 v245, 0
	v_mov_b32_e32 v246, 0
	s_waitcnt lgkmcnt(0)
	v_dot4c_i32_i8 v221, v50, v34
	v_dot4c_i32_i8 v234, v52, v34
	;; [unrolled: 1-line block ×7, first 2 shown]
	v_lshrrev_b32_e32 v34, 1, v232
	v_dot4c_i32_i8 v245, v55, v35
	v_dot4c_i32_i8 v246, v57, v35
	;; [unrolled: 1-line block ×12, first 2 shown]
	ds_read_b64 v[79:80], v34 offset:43584
	ds_read_b128 v[34:37], v236 offset:33280
	v_dot4c_i32_i8 v244, v60, v247
	v_dot4c_i32_i8 v216, v1, v248
	;; [unrolled: 1-line block ×4, first 2 shown]
	v_mov_b32_e32 v247, 0
	v_dot4c_i32_i8 v244, v61, v248
	v_mov_b32_e32 v248, 0
	v_dot4c_i32_i8 v253, v54, v249
	v_dot4c_i32_i8 v254, v56, v249
	;; [unrolled: 1-line block ×3, first 2 shown]
	v_mov_b32_e32 v236, 0
	v_dot4c_i32_i8 v248, v52, v249
	v_dot4c_i32_i8 v253, v55, v250
	;; [unrolled: 1-line block ×4, first 2 shown]
	v_mov_b32_e32 v232, 0
	v_dot4c_i32_i8 v248, v53, v250
	v_mov_b32_e32 v250, 0
	v_mov_b32_e32 v249, 0
	s_waitcnt lgkmcnt(0)
	v_dot4c_i32_i8 v236, v52, v34
	v_dot4c_i32_i8 v232, v50, v34
	;; [unrolled: 1-line block ×4, first 2 shown]
	v_bfe_i32 v56, v99, 8, 8
	v_dot4c_i32_i8 v236, v53, v35
	v_dot4c_i32_i8 v249, v54, v34
	;; [unrolled: 1-line block ×4, first 2 shown]
	v_mul_lo_u32 v34, v114, v56
	v_bfe_i32 v57, v99, 0, 8
	v_dot4c_i32_i8 v236, v58, v36
	v_ashrrev_i32_e32 v58, 24, v99
	v_dot4c_i32_i8 v249, v55, v35
	v_dot4c_i32_i8 v248, v59, v252
	;; [unrolled: 1-line block ×4, first 2 shown]
	v_mad_u64_u32 v[34:35], null, v212, v57, v[34:35]
	v_mul_lo_u32 v35, v207, v58
	v_bfe_i32 v59, v99, 16, 8
	v_dot4c_i32_i8 v250, v60, v36
	v_bfe_i32 v60, v199, 8, 8
	v_dot4c_i32_i8 v232, v0, v36
	v_dot4c_i32_i8 v249, v110, v36
	;; [unrolled: 1-line block ×4, first 2 shown]
	v_mad_u64_u32 v[35:36], null, v240, v59, v[35:36]
	v_mul_lo_u32 v36, v116, v60
	v_bfe_i32 v61, v199, 0, 8
	v_ashrrev_i32_e32 v99, 24, v199
	v_dot4c_i32_i8 v253, v110, v251
	v_dot4c_i32_i8 v232, v1, v37
	;; [unrolled: 1-line block ×3, first 2 shown]
	v_bfe_i32 v110, v199, 16, 8
	v_bfe_i32 v114, v198, 0, 8
	v_mad_u64_u32 v[36:37], null, v213, v61, v[36:37]
	v_mul_lo_u32 v37, v206, v99
	v_dot4c_i32_i8 v253, v111, v252
	v_bfe_i32 v111, v198, 8, 8
	v_ashrrev_i32_e32 v116, 24, v198
	v_cvt_f32_i32_e32 v34, v34
	v_dot4c_i32_i8 v247, v0, v251
	v_lshrrev_b32_e32 v0, 1, v197
	v_bfe_i32 v197, v100, 8, 8
	v_mad_u64_u32 v[50:51], null, v239, v110, v[37:38]
	v_mul_lo_u32 v37, v117, v111
	v_bfe_i32 v117, v198, 16, 8
	v_fma_f32 v199, v69, v34, 0
	v_mul_lo_u32 v34, v108, v57
	v_cvt_f32_i32_e32 v35, v35
	v_bfe_i32 v198, v100, 0, 8
	v_cvt_f32_i32_e32 v36, v36
	v_dot4c_i32_i8 v247, v1, v252
	v_mad_u64_u32 v[51:52], null, v214, v114, v[37:38]
	v_mul_lo_u32 v37, v205, v116
	v_fmac_f32_e32 v199, v70, v35
	v_mad_u64_u32 v[34:35], null, v63, v56, v[34:35]
	v_mul_lo_u32 v35, v89, v59
	ds_read_b64 v[0:1], v0 offset:43584
	v_fmac_f32_e32 v18, v173, v199
	v_mad_u64_u32 v[52:53], null, v238, v117, v[37:38]
	v_mul_lo_u32 v37, v118, v197
	v_ashrrev_i32_e32 v118, 24, v100
	v_bfe_i32 v100, v100, 16, 8
	v_cvt_f32_i32_e32 v34, v34
	v_mad_u64_u32 v[53:54], null, v215, v198, v[37:38]
	v_mul_lo_u32 v37, v204, v118
	v_fma_f32 v204, v69, v36, 0
	v_mad_u64_u32 v[35:36], null, v189, v58, v[35:36]
	v_mul_lo_u32 v36, v109, v61
	v_mad_u64_u32 v[54:55], null, v237, v100, v[37:38]
	v_cvt_f32_i32_e32 v37, v50
	v_cvt_f32_i32_e32 v50, v51
	;; [unrolled: 1-line block ×5, first 2 shown]
	v_fmac_f32_e32 v204, v70, v37
	v_mad_u64_u32 v[36:37], null, v64, v60, v[36:37]
	v_mul_lo_u32 v37, v91, v110
	v_fma_f32 v205, v69, v50, 0
	v_fma_f32 v69, v69, v52, 0
	v_cvt_f32_i32_e32 v53, v54
	v_fmac_f32_e32 v30, v174, v204
	v_fmac_f32_e32 v205, v70, v51
	v_cvt_f32_i32_e32 v36, v36
	v_mad_u64_u32 v[50:51], null, v190, v99, v[37:38]
	v_mul_lo_u32 v37, v112, v114
	v_fmac_f32_e32 v69, v70, v53
	s_waitcnt lgkmcnt(0)
	v_fma_f32 v63, v0, v36, 0
	v_fmac_f32_e32 v26, v175, v205
	v_fmac_f32_e32 v22, v176, v69
	v_mad_u64_u32 v[51:52], null, v65, v111, v[37:38]
	v_mul_lo_u32 v37, v92, v117
	v_mad_u64_u32 v[52:53], null, v191, v116, v[37:38]
	v_mul_lo_u32 v37, v113, v198
	;; [unrolled: 2-line block ×3, first 2 shown]
	v_mad_u64_u32 v[54:55], null, v192, v118, v[37:38]
	v_cvt_f32_i32_e32 v37, v50
	v_cvt_f32_i32_e32 v50, v51
	;; [unrolled: 1-line block ×4, first 2 shown]
	v_fma_f32 v55, v0, v34, 0
	v_fmac_f32_e32 v63, v1, v37
	v_fma_f32 v64, v0, v50, 0
	v_cvt_f32_i32_e32 v53, v54
	v_fma_f32 v65, v0, v52, 0
	v_mul_lo_u32 v0, v124, v56
	v_fmac_f32_e32 v55, v1, v35
	v_fmac_f32_e32 v64, v1, v51
	v_fma_f32 v31, v180, v63, v31
	v_fmac_f32_e32 v65, v1, v53
	v_fma_f32 v19, v177, v55, v19
	v_fma_f32 v27, v183, v64, v27
	v_mad_u64_u32 v[0:1], null, v104, v57, v[0:1]
	v_mul_lo_u32 v1, v210, v58
	v_fma_f32 v23, v186, v65, v23
	v_cvt_f32_i32_e32 v0, v0
	v_mad_u64_u32 v[34:35], null, v233, v59, v[1:2]
	v_mul_lo_u32 v1, v125, v60
	v_fma_f32 v66, v71, v0, 0
	v_mul_lo_u32 v0, v228, v57
	v_mad_u64_u32 v[35:36], null, v105, v61, v[1:2]
	v_mul_lo_u32 v1, v211, v99
	v_mad_u64_u32 v[36:37], null, v235, v110, v[1:2]
	;; [unrolled: 2-line block ×4, first 2 shown]
	v_mul_lo_u32 v1, v129, v197
	v_cvt_f32_i32_e32 v37, v51
	v_mad_u64_u32 v[52:53], null, v107, v198, v[1:2]
	v_mul_lo_u32 v1, v208, v118
	v_mad_u64_u32 v[53:54], null, v97, v100, v[1:2]
	v_cvt_f32_i32_e32 v1, v34
	v_cvt_f32_i32_e32 v34, v35
	;; [unrolled: 1-line block ×5, first 2 shown]
	v_fmac_f32_e32 v66, v72, v1
	v_mad_u64_u32 v[0:1], null, v119, v56, v[0:1]
	v_mul_lo_u32 v1, v86, v59
	v_fma_f32 v70, v71, v34, 0
	v_fma_f32 v89, v71, v36, 0
	v_cvt_f32_i32_e32 v51, v53
	v_fma_f32 v71, v71, v50, 0
	v_fma_f32 v20, v178, v66, v20
	v_fmac_f32_e32 v70, v72, v35
	v_fmac_f32_e32 v89, v72, v37
	v_mad_u64_u32 v[34:35], null, v194, v58, v[1:2]
	v_mul_lo_u32 v1, v231, v61
	v_fmac_f32_e32 v71, v72, v51
	v_cvt_f32_i32_e32 v0, v0
	v_fma_f32 v32, v181, v70, v32
	v_fma_f32 v28, v184, v89, v28
	;; [unrolled: 1-line block ×4, first 2 shown]
	v_mad_u64_u32 v[35:36], null, v120, v60, v[1:2]
	v_mul_lo_u32 v1, v85, v110
	v_mul_lo_u32 v0, v134, v56
	v_mad_u64_u32 v[36:37], null, v196, v99, v[1:2]
	v_mul_lo_u32 v1, v241, v114
	v_mad_u64_u32 v[50:51], null, v121, v111, v[1:2]
	;; [unrolled: 2-line block ×3, first 2 shown]
	v_mul_lo_u32 v1, v242, v198
	v_cvt_f32_i32_e32 v37, v51
	v_mad_u64_u32 v[52:53], null, v123, v197, v[1:2]
	v_mul_lo_u32 v1, v83, v100
	v_mad_u64_u32 v[53:54], null, v193, v118, v[1:2]
	v_cvt_f32_i32_e32 v1, v34
	v_cvt_f32_i32_e32 v34, v35
	;; [unrolled: 1-line block ×5, first 2 shown]
	v_fmac_f32_e32 v72, v76, v1
	v_mad_u64_u32 v[0:1], null, v221, v57, v[0:1]
	v_mul_lo_u32 v1, v225, v58
	v_fma_f32 v83, v75, v34, 0
	v_fma_f32 v84, v75, v36, 0
	v_cvt_f32_i32_e32 v51, v53
	v_fma_f32 v75, v75, v50, 0
	v_fma_f32 v21, v179, v72, v21
	v_fmac_f32_e32 v83, v76, v35
	v_fmac_f32_e32 v84, v76, v37
	v_mad_u64_u32 v[34:35], null, v95, v59, v[1:2]
	v_mul_lo_u32 v1, v135, v60
	v_fmac_f32_e32 v75, v76, v51
	v_cvt_f32_i32_e32 v0, v0
	v_fma_f32 v33, v182, v83, v33
	v_fma_f32 v29, v185, v84, v29
	v_fma_f32 v25, v188, v75, v25
	v_mad_u64_u32 v[35:36], null, v234, v61, v[1:2]
	v_mul_lo_u32 v1, v226, v99
	v_mad_u64_u32 v[36:37], null, v96, v110, v[1:2]
	v_mul_lo_u32 v1, v136, v111
	;; [unrolled: 2-line block ×4, first 2 shown]
	v_cvt_f32_i32_e32 v37, v51
	v_mad_u64_u32 v[52:53], null, v246, v198, v[1:2]
	v_mul_lo_u32 v1, v223, v118
	v_mad_u64_u32 v[53:54], null, v93, v100, v[1:2]
	v_cvt_f32_i32_e32 v1, v34
	v_cvt_f32_i32_e32 v34, v35
	;; [unrolled: 1-line block ×6, first 2 shown]
	v_fma_f32 v53, v73, v0, 0
	v_mul_lo_u32 v0, v216, v57
	v_fma_f32 v54, v73, v34, 0
	v_fma_f32 v76, v73, v36, 0
	;; [unrolled: 1-line block ×3, first 2 shown]
	v_fmac_f32_e32 v53, v74, v1
	v_fmac_f32_e32 v54, v74, v35
	v_fmac_f32_e32 v76, v74, v37
	v_mad_u64_u32 v[0:1], null, v130, v56, v[0:1]
	v_mul_lo_u32 v1, v45, v59
	v_fmac_f32_e32 v73, v74, v51
	v_fmac_f32_e32 v14, v173, v53
	;; [unrolled: 1-line block ×4, first 2 shown]
	v_cvt_f32_i32_e32 v0, v0
	v_mad_u64_u32 v[34:35], null, v201, v58, v[1:2]
	v_mul_lo_u32 v1, v222, v61
	v_mad_u64_u32 v[35:36], null, v131, v60, v[1:2]
	v_mul_lo_u32 v1, v44, v110
	;; [unrolled: 2-line block ×5, first 2 shown]
	v_cvt_f32_i32_e32 v37, v50
	v_fma_f32 v50, v77, v0, 0
	v_mad_u64_u32 v[51:52], null, v133, v197, v[1:2]
	v_mul_lo_u32 v1, v42, v100
	v_mul_lo_u32 v0, v155, v56
	v_mad_u64_u32 v[42:43], null, v200, v118, v[1:2]
	v_cvt_f32_i32_e32 v1, v34
	v_cvt_f32_i32_e32 v34, v35
	;; [unrolled: 1-line block ×5, first 2 shown]
	v_fmac_f32_e32 v50, v78, v1
	v_mad_u64_u32 v[0:1], null, v232, v57, v[0:1]
	v_mul_lo_u32 v1, v229, v58
	v_fma_f32 v51, v77, v34, 0
	v_fma_f32 v52, v77, v36, 0
	v_cvt_f32_i32_e32 v42, v42
	v_fma_f32 v74, v77, v43, 0
	v_fma_f32 v15, v177, v50, v15
	v_fmac_f32_e32 v51, v78, v35
	v_fmac_f32_e32 v52, v78, v37
	v_mad_u64_u32 v[34:35], null, v47, v59, v[1:2]
	v_mul_lo_u32 v1, v156, v60
	v_fmac_f32_e32 v74, v78, v42
	v_cvt_f32_i32_e32 v0, v0
	v_fma_f32 v11, v180, v51, v11
	v_fma_f32 v7, v183, v52, v7
	;; [unrolled: 1-line block ×3, first 2 shown]
	v_mad_u64_u32 v[35:36], null, v236, v61, v[1:2]
	v_mul_lo_u32 v1, v230, v99
	v_mad_u64_u32 v[36:37], null, v49, v110, v[1:2]
	v_mul_lo_u32 v1, v157, v111
	v_mad_u64_u32 v[42:43], null, v249, v114, v[1:2]
	v_mul_lo_u32 v1, v88, v116
	v_mad_u64_u32 v[43:44], null, v48, v117, v[1:2]
	v_mul_lo_u32 v1, v227, v197
	v_cvt_f32_i32_e32 v37, v43
	v_mad_u64_u32 v[44:45], null, v250, v198, v[1:2]
	v_mul_lo_u32 v1, v87, v118
	v_mad_u64_u32 v[45:46], null, v46, v100, v[1:2]
	v_cvt_f32_i32_e32 v1, v34
	v_cvt_f32_i32_e32 v34, v35
	v_cvt_f32_i32_e32 v35, v36
	v_cvt_f32_i32_e32 v36, v42
	v_cvt_f32_i32_e32 v42, v44
	v_fma_f32 v44, v81, v0, 0
	v_mul_lo_u32 v0, v247, v57
	v_cvt_f32_i32_e32 v43, v45
	v_fma_f32 v45, v81, v34, 0
	v_fma_f32 v46, v81, v36, 0
	v_fmac_f32_e32 v44, v82, v1
	v_fma_f32 v47, v81, v42, 0
	v_fmac_f32_e32 v45, v82, v35
	v_mad_u64_u32 v[0:1], null, v141, v56, v[0:1]
	v_mul_lo_u32 v1, v41, v59
	v_fmac_f32_e32 v46, v82, v37
	v_fmac_f32_e32 v47, v82, v43
	v_fma_f32 v16, v178, v44, v16
	v_fma_f32 v12, v181, v45, v12
	v_cvt_f32_i32_e32 v0, v0
	v_fma_f32 v8, v184, v46, v8
	v_mad_u64_u32 v[34:35], null, v218, v58, v[1:2]
	v_mul_lo_u32 v1, v248, v61
	v_fma_f32 v0, v79, v0, 0
	v_fma_f32 v4, v187, v47, v4
	v_mad_u64_u32 v[35:36], null, v62, v60, v[1:2]
	v_mul_lo_u32 v1, v40, v110
	v_mad_u64_u32 v[36:37], null, v220, v99, v[1:2]
	v_mul_lo_u32 v1, v253, v114
	;; [unrolled: 2-line block ×5, first 2 shown]
	v_cvt_f32_i32_e32 v39, v42
	v_mad_u64_u32 v[37:38], null, v217, v118, v[1:2]
	v_cvt_f32_i32_e32 v1, v34
	v_cvt_f32_i32_e32 v34, v35
	;; [unrolled: 1-line block ×5, first 2 shown]
	v_fmac_f32_e32 v0, v80, v1
	v_fma_f32 v1, v79, v34, 0
	v_cvt_f32_i32_e32 v37, v37
	v_fma_f32 v34, v79, v36, 0
	v_fmac_f32_e32 v2, v176, v73
	v_fma_f32 v17, v179, v0, v17
	v_fmac_f32_e32 v1, v80, v35
	v_fma_f32 v35, v79, v39, 0
	v_fmac_f32_e32 v34, v80, v38
	v_fma_f32 v13, v182, v1, v13
	v_fmac_f32_e32 v35, v80, v37
	v_fma_f32 v9, v185, v34, v9
	v_fma_f32 v5, v188, v35, v5
	s_cbranch_scc1 .LBB176_8
; %bb.9:                                ;   in Loop: Header=BB176_5 Depth=1
	s_add_i32 s9, s9, 1
	s_cmp_eq_u32 s9, s4
	s_barrier
	buffer_gl0_inv
	s_cbranch_scc0 .LBB176_5
; %bb.10:
	s_clause 0x2
	buffer_load_dword v34, off, s[20:23], 0 offset:292
	buffer_load_dword v38, off, s[20:23], 0 offset:284
	;; [unrolled: 1-line block ×3, first 2 shown]
.LBB176_11:
	s_mov_b32 s0, exec_lo
	s_waitcnt vmcnt(2)
	v_cmpx_gt_u32_e64 s10, v34
	s_cbranch_execz .LBB176_62
; %bb.12:
	s_waitcnt vmcnt(0)
	v_add_nc_u32_e32 v0, s6, v0
	v_mul_lo_u32 v34, v34, s14
	v_cmp_gt_u32_e64 s0, s14, v0
	s_and_saveexec_b32 s1, s0
	s_cbranch_execz .LBB176_14
; %bb.13:
	v_add_nc_u32_e32 v35, v0, v34
	v_mov_b32_e32 v36, 0
	v_bfe_u32 v1, v19, 16, 1
	v_cmp_o_f32_e32 vcc_lo, v19, v19
	v_mov_b32_e32 v37, 0x7fc0
	v_lshlrev_b64 v[35:36], 1, v[35:36]
	v_add3_u32 v1, v19, v1, 0x7fff
	v_cndmask_b32_sdwa v1, v37, v1, vcc_lo dst_sel:DWORD dst_unused:UNUSED_PAD src0_sel:DWORD src1_sel:WORD_1
	s_waitcnt lgkmcnt(0)
	v_add_co_u32 v35, vcc_lo, s12, v35
	v_add_co_ci_u32_e64 v36, null, s13, v36, vcc_lo
	global_store_short v[35:36], v1, off
.LBB176_14:
	s_or_b32 exec_lo, exec_lo, s1
	v_add_nc_u32_e32 v19, 32, v0
	v_cmp_gt_u32_e64 s1, s14, v19
	s_and_saveexec_b32 s2, s1
	s_cbranch_execz .LBB176_16
; %bb.15:
	v_add_nc_u32_e32 v35, v19, v34
	v_mov_b32_e32 v36, 0
	v_bfe_u32 v1, v31, 16, 1
	v_cmp_o_f32_e32 vcc_lo, v31, v31
	v_mov_b32_e32 v37, 0x7fc0
	v_lshlrev_b64 v[35:36], 1, v[35:36]
	v_add3_u32 v1, v31, v1, 0x7fff
	v_cndmask_b32_sdwa v1, v37, v1, vcc_lo dst_sel:DWORD dst_unused:UNUSED_PAD src0_sel:DWORD src1_sel:WORD_1
	s_waitcnt lgkmcnt(0)
	v_add_co_u32 v35, vcc_lo, s12, v35
	v_add_co_ci_u32_e64 v36, null, s13, v36, vcc_lo
	global_store_short v[35:36], v1, off
.LBB176_16:
	s_or_b32 exec_lo, exec_lo, s2
	v_add_nc_u32_e32 v31, 64, v0
	;; [unrolled: 19-line block ×3, first 2 shown]
	v_cmp_gt_u32_e64 s3, s14, v27
	s_and_saveexec_b32 s4, s3
	s_cbranch_execz .LBB176_20
; %bb.19:
	v_add_nc_u32_e32 v34, v27, v34
	v_mov_b32_e32 v35, 0
	v_bfe_u32 v1, v23, 16, 1
	v_cmp_o_f32_e32 vcc_lo, v23, v23
	v_mov_b32_e32 v36, 0x7fc0
	v_lshlrev_b64 v[34:35], 1, v[34:35]
	v_add3_u32 v1, v23, v1, 0x7fff
	v_cndmask_b32_sdwa v1, v36, v1, vcc_lo dst_sel:DWORD dst_unused:UNUSED_PAD src0_sel:DWORD src1_sel:WORD_1
	s_waitcnt lgkmcnt(0)
	v_add_co_u32 v34, vcc_lo, s12, v34
	v_add_co_ci_u32_e64 v35, null, s13, v35, vcc_lo
	global_store_short v[34:35], v1, off
.LBB176_20:
	s_or_b32 exec_lo, exec_lo, s4
	v_add3_u32 v23, v38, s7, 8
	v_cmp_gt_u32_e32 vcc_lo, s10, v23
	s_and_b32 exec_lo, exec_lo, vcc_lo
	s_cbranch_execz .LBB176_62
; %bb.21:
	v_mul_lo_u32 v23, v23, s14
	s_and_saveexec_b32 s4, s0
	s_cbranch_execnz .LBB176_63
; %bb.22:
	s_or_b32 exec_lo, exec_lo, s4
	s_and_saveexec_b32 s4, s1
	s_cbranch_execnz .LBB176_64
.LBB176_23:
	s_or_b32 exec_lo, exec_lo, s4
	s_and_saveexec_b32 s4, s2
	s_cbranch_execnz .LBB176_65
.LBB176_24:
	s_or_b32 exec_lo, exec_lo, s4
	s_and_saveexec_b32 s4, s3
	s_cbranch_execz .LBB176_26
.LBB176_25:
	v_bfe_u32 v1, v22, 16, 1
	v_add_nc_u32_e32 v34, v23, v27
	v_mov_b32_e32 v35, 0
	v_cmp_o_f32_e32 vcc_lo, v22, v22
	v_mov_b32_e32 v18, 0x7fc0
	v_add3_u32 v1, v22, v1, 0x7fff
	v_lshlrev_b64 v[22:23], 1, v[34:35]
	v_cndmask_b32_sdwa v1, v18, v1, vcc_lo dst_sel:DWORD dst_unused:UNUSED_PAD src0_sel:DWORD src1_sel:WORD_1
	s_waitcnt lgkmcnt(0)
	v_add_co_u32 v22, vcc_lo, s12, v22
	v_add_co_ci_u32_e64 v23, null, s13, v23, vcc_lo
	global_store_short v[22:23], v1, off
.LBB176_26:
	s_or_b32 exec_lo, exec_lo, s4
	v_add3_u32 v18, v38, s7, 16
	v_cmp_gt_u32_e32 vcc_lo, s10, v18
	s_and_b32 exec_lo, exec_lo, vcc_lo
	s_cbranch_execz .LBB176_62
; %bb.27:
	v_mul_lo_u32 v18, v18, s14
	s_and_saveexec_b32 s4, s0
	s_cbranch_execnz .LBB176_66
; %bb.28:
	s_or_b32 exec_lo, exec_lo, s4
	s_and_saveexec_b32 s4, s1
	s_cbranch_execnz .LBB176_67
.LBB176_29:
	s_or_b32 exec_lo, exec_lo, s4
	s_and_saveexec_b32 s4, s2
	s_cbranch_execnz .LBB176_68
.LBB176_30:
	s_or_b32 exec_lo, exec_lo, s4
	s_and_saveexec_b32 s4, s3
	s_cbranch_execz .LBB176_32
.LBB176_31:
	v_add_nc_u32_e32 v21, v18, v27
	v_mov_b32_e32 v22, 0
	v_bfe_u32 v1, v25, 16, 1
	v_cmp_o_f32_e32 vcc_lo, v25, v25
	v_mov_b32_e32 v18, 0x7fc0
	v_lshlrev_b64 v[21:22], 1, v[21:22]
	v_add3_u32 v1, v25, v1, 0x7fff
	v_cndmask_b32_sdwa v1, v18, v1, vcc_lo dst_sel:DWORD dst_unused:UNUSED_PAD src0_sel:DWORD src1_sel:WORD_1
	s_waitcnt lgkmcnt(0)
	v_add_co_u32 v21, vcc_lo, s12, v21
	v_add_co_ci_u32_e64 v22, null, s13, v22, vcc_lo
	global_store_short v[21:22], v1, off
.LBB176_32:
	s_or_b32 exec_lo, exec_lo, s4
	v_add3_u32 v18, v38, s7, 24
	v_cmp_gt_u32_e32 vcc_lo, s10, v18
	s_and_b32 exec_lo, exec_lo, vcc_lo
	s_cbranch_execz .LBB176_62
; %bb.33:
	v_mul_lo_u32 v18, v18, s14
	s_and_saveexec_b32 s4, s0
	s_cbranch_execnz .LBB176_69
; %bb.34:
	s_or_b32 exec_lo, exec_lo, s4
	s_and_saveexec_b32 s4, s1
	s_cbranch_execnz .LBB176_70
.LBB176_35:
	s_or_b32 exec_lo, exec_lo, s4
	s_and_saveexec_b32 s4, s2
	s_cbranch_execnz .LBB176_71
.LBB176_36:
	s_or_b32 exec_lo, exec_lo, s4
	s_and_saveexec_b32 s4, s3
	s_cbranch_execz .LBB176_38
.LBB176_37:
	v_add_nc_u32_e32 v20, v18, v27
	v_mov_b32_e32 v21, 0
	v_bfe_u32 v1, v24, 16, 1
	v_cmp_o_f32_e32 vcc_lo, v24, v24
	v_mov_b32_e32 v18, 0x7fc0
	v_lshlrev_b64 v[20:21], 1, v[20:21]
	v_add3_u32 v1, v24, v1, 0x7fff
	v_cndmask_b32_sdwa v1, v18, v1, vcc_lo dst_sel:DWORD dst_unused:UNUSED_PAD src0_sel:DWORD src1_sel:WORD_1
	s_waitcnt lgkmcnt(0)
	v_add_co_u32 v20, vcc_lo, s12, v20
	v_add_co_ci_u32_e64 v21, null, s13, v21, vcc_lo
	global_store_short v[20:21], v1, off
.LBB176_38:
	s_or_b32 exec_lo, exec_lo, s4
	v_add3_u32 v18, v38, s7, 32
	v_cmp_gt_u32_e32 vcc_lo, s10, v18
	s_and_b32 exec_lo, exec_lo, vcc_lo
	s_cbranch_execz .LBB176_62
; %bb.39:
	v_mul_lo_u32 v18, v18, s14
	s_and_saveexec_b32 s4, s0
	s_cbranch_execnz .LBB176_72
; %bb.40:
	s_or_b32 exec_lo, exec_lo, s4
	s_and_saveexec_b32 s4, s1
	s_cbranch_execnz .LBB176_73
.LBB176_41:
	s_or_b32 exec_lo, exec_lo, s4
	s_and_saveexec_b32 s4, s2
	s_cbranch_execnz .LBB176_74
.LBB176_42:
	s_or_b32 exec_lo, exec_lo, s4
	s_and_saveexec_b32 s4, s3
	s_cbranch_execz .LBB176_44
.LBB176_43:
	v_add_nc_u32_e32 v20, v18, v27
	v_mov_b32_e32 v21, 0
	v_bfe_u32 v1, v3, 16, 1
	v_cmp_o_f32_e32 vcc_lo, v3, v3
	v_mov_b32_e32 v7, 0x7fc0
	v_lshlrev_b64 v[20:21], 1, v[20:21]
	v_add3_u32 v1, v3, v1, 0x7fff
	v_cndmask_b32_sdwa v1, v7, v1, vcc_lo dst_sel:DWORD dst_unused:UNUSED_PAD src0_sel:DWORD src1_sel:WORD_1
	s_waitcnt lgkmcnt(0)
	v_add_co_u32 v20, vcc_lo, s12, v20
	v_add_co_ci_u32_e64 v21, null, s13, v21, vcc_lo
	global_store_short v[20:21], v1, off
.LBB176_44:
	s_or_b32 exec_lo, exec_lo, s4
	v_add3_u32 v3, v38, s7, 40
	v_cmp_gt_u32_e32 vcc_lo, s10, v3
	s_and_b32 exec_lo, exec_lo, vcc_lo
	s_cbranch_execz .LBB176_62
; %bb.45:
	v_mul_lo_u32 v3, v3, s14
	s_and_saveexec_b32 s4, s0
	s_cbranch_execnz .LBB176_75
; %bb.46:
	s_or_b32 exec_lo, exec_lo, s4
	s_and_saveexec_b32 s4, s1
	s_cbranch_execnz .LBB176_76
.LBB176_47:
	s_or_b32 exec_lo, exec_lo, s4
	s_and_saveexec_b32 s4, s2
	s_cbranch_execnz .LBB176_77
.LBB176_48:
	s_or_b32 exec_lo, exec_lo, s4
	s_and_saveexec_b32 s4, s3
	s_cbranch_execz .LBB176_50
.LBB176_49:
	v_bfe_u32 v1, v2, 16, 1
	v_add_nc_u32_e32 v6, v3, v27
	v_mov_b32_e32 v7, 0
	v_cmp_o_f32_e32 vcc_lo, v2, v2
	v_mov_b32_e32 v3, 0x7fc0
	v_add3_u32 v10, v2, v1, 0x7fff
	v_lshlrev_b64 v[1:2], 1, v[6:7]
	v_cndmask_b32_sdwa v3, v3, v10, vcc_lo dst_sel:DWORD dst_unused:UNUSED_PAD src0_sel:DWORD src1_sel:WORD_1
	s_waitcnt lgkmcnt(0)
	v_add_co_u32 v1, vcc_lo, s12, v1
	v_add_co_ci_u32_e64 v2, null, s13, v2, vcc_lo
	global_store_short v[1:2], v3, off
.LBB176_50:
	s_or_b32 exec_lo, exec_lo, s4
	v_add3_u32 v2, v38, s7, 48
	v_cmp_gt_u32_e32 vcc_lo, s10, v2
	s_and_b32 exec_lo, exec_lo, vcc_lo
	s_cbranch_execz .LBB176_62
; %bb.51:
	v_mul_lo_u32 v2, v2, s14
	s_and_saveexec_b32 s4, s0
	s_cbranch_execnz .LBB176_78
; %bb.52:
	s_or_b32 exec_lo, exec_lo, s4
	s_and_saveexec_b32 s4, s1
	s_cbranch_execnz .LBB176_79
.LBB176_53:
	s_or_b32 exec_lo, exec_lo, s4
	s_and_saveexec_b32 s4, s2
	s_cbranch_execnz .LBB176_80
.LBB176_54:
	s_or_b32 exec_lo, exec_lo, s4
	s_and_saveexec_b32 s4, s3
	s_cbranch_execz .LBB176_56
.LBB176_55:
	v_add_nc_u32_e32 v1, v2, v27
	v_mov_b32_e32 v2, 0
	v_bfe_u32 v3, v5, 16, 1
	v_cmp_o_f32_e32 vcc_lo, v5, v5
	v_mov_b32_e32 v6, 0x7fc0
	v_lshlrev_b64 v[1:2], 1, v[1:2]
	v_add3_u32 v3, v5, v3, 0x7fff
	v_cndmask_b32_sdwa v3, v6, v3, vcc_lo dst_sel:DWORD dst_unused:UNUSED_PAD src0_sel:DWORD src1_sel:WORD_1
	s_waitcnt lgkmcnt(0)
	v_add_co_u32 v1, vcc_lo, s12, v1
	v_add_co_ci_u32_e64 v2, null, s13, v2, vcc_lo
	global_store_short v[1:2], v3, off
.LBB176_56:
	s_or_b32 exec_lo, exec_lo, s4
	v_add3_u32 v1, v38, s7, 56
	v_cmp_gt_u32_e32 vcc_lo, s10, v1
	s_and_b32 exec_lo, exec_lo, vcc_lo
	s_cbranch_execz .LBB176_62
; %bb.57:
	v_mul_lo_u32 v1, v1, s14
	s_and_saveexec_b32 s4, s0
	s_cbranch_execnz .LBB176_81
; %bb.58:
	s_or_b32 exec_lo, exec_lo, s4
	s_and_saveexec_b32 s0, s1
	s_cbranch_execnz .LBB176_82
.LBB176_59:
	s_or_b32 exec_lo, exec_lo, s0
	s_and_saveexec_b32 s0, s2
	s_cbranch_execnz .LBB176_83
.LBB176_60:
	s_or_b32 exec_lo, exec_lo, s0
	s_and_b32 exec_lo, exec_lo, s3
	s_cbranch_execz .LBB176_62
.LBB176_61:
	v_add_nc_u32_e32 v0, v1, v27
	v_mov_b32_e32 v1, 0
	v_bfe_u32 v2, v4, 16, 1
	v_cmp_o_f32_e32 vcc_lo, v4, v4
	v_mov_b32_e32 v3, 0x7fc0
	v_lshlrev_b64 v[0:1], 1, v[0:1]
	v_add3_u32 v2, v4, v2, 0x7fff
	v_cndmask_b32_sdwa v2, v3, v2, vcc_lo dst_sel:DWORD dst_unused:UNUSED_PAD src0_sel:DWORD src1_sel:WORD_1
	s_waitcnt lgkmcnt(0)
	v_add_co_u32 v0, vcc_lo, s12, v0
	v_add_co_ci_u32_e64 v1, null, s13, v1, vcc_lo
	global_store_short v[0:1], v2, off
.LBB176_62:
	s_endpgm
.LBB176_63:
	v_add_nc_u32_e32 v34, v23, v0
	v_mov_b32_e32 v35, 0
	v_bfe_u32 v1, v18, 16, 1
	v_cmp_o_f32_e32 vcc_lo, v18, v18
	v_mov_b32_e32 v36, 0x7fc0
	v_lshlrev_b64 v[34:35], 1, v[34:35]
	v_add3_u32 v1, v18, v1, 0x7fff
	v_cndmask_b32_sdwa v1, v36, v1, vcc_lo dst_sel:DWORD dst_unused:UNUSED_PAD src0_sel:DWORD src1_sel:WORD_1
	s_waitcnt lgkmcnt(0)
	v_add_co_u32 v34, vcc_lo, s12, v34
	v_add_co_ci_u32_e64 v35, null, s13, v35, vcc_lo
	global_store_short v[34:35], v1, off
	s_or_b32 exec_lo, exec_lo, s4
	s_and_saveexec_b32 s4, s1
	s_cbranch_execz .LBB176_23
.LBB176_64:
	v_add_nc_u32_e32 v34, v23, v19
	v_mov_b32_e32 v35, 0
	v_bfe_u32 v1, v30, 16, 1
	v_cmp_o_f32_e32 vcc_lo, v30, v30
	v_mov_b32_e32 v18, 0x7fc0
	v_lshlrev_b64 v[34:35], 1, v[34:35]
	v_add3_u32 v1, v30, v1, 0x7fff
	v_cndmask_b32_sdwa v1, v18, v1, vcc_lo dst_sel:DWORD dst_unused:UNUSED_PAD src0_sel:DWORD src1_sel:WORD_1
	s_waitcnt lgkmcnt(0)
	v_add_co_u32 v34, vcc_lo, s12, v34
	v_add_co_ci_u32_e64 v35, null, s13, v35, vcc_lo
	global_store_short v[34:35], v1, off
	s_or_b32 exec_lo, exec_lo, s4
	s_and_saveexec_b32 s4, s2
	s_cbranch_execz .LBB176_24
.LBB176_65:
	v_add_nc_u32_e32 v34, v23, v31
	v_mov_b32_e32 v35, 0
	v_bfe_u32 v1, v26, 16, 1
	v_cmp_o_f32_e32 vcc_lo, v26, v26
	v_mov_b32_e32 v18, 0x7fc0
	v_lshlrev_b64 v[34:35], 1, v[34:35]
	v_add3_u32 v1, v26, v1, 0x7fff
	v_cndmask_b32_sdwa v1, v18, v1, vcc_lo dst_sel:DWORD dst_unused:UNUSED_PAD src0_sel:DWORD src1_sel:WORD_1
	s_waitcnt lgkmcnt(0)
	v_add_co_u32 v34, vcc_lo, s12, v34
	v_add_co_ci_u32_e64 v35, null, s13, v35, vcc_lo
	global_store_short v[34:35], v1, off
	s_or_b32 exec_lo, exec_lo, s4
	s_and_saveexec_b32 s4, s3
	s_cbranch_execnz .LBB176_25
	s_branch .LBB176_26
.LBB176_66:
	v_bfe_u32 v1, v21, 16, 1
	v_add_nc_u32_e32 v22, v18, v0
	v_mov_b32_e32 v23, 0
	v_cmp_o_f32_e32 vcc_lo, v21, v21
	v_mov_b32_e32 v26, 0x7fc0
	v_add3_u32 v1, v21, v1, 0x7fff
	v_lshlrev_b64 v[21:22], 1, v[22:23]
	v_cndmask_b32_sdwa v1, v26, v1, vcc_lo dst_sel:DWORD dst_unused:UNUSED_PAD src0_sel:DWORD src1_sel:WORD_1
	s_waitcnt lgkmcnt(0)
	v_add_co_u32 v21, vcc_lo, s12, v21
	v_add_co_ci_u32_e64 v22, null, s13, v22, vcc_lo
	global_store_short v[21:22], v1, off
	s_or_b32 exec_lo, exec_lo, s4
	s_and_saveexec_b32 s4, s1
	s_cbranch_execz .LBB176_29
.LBB176_67:
	v_add_nc_u32_e32 v21, v18, v19
	v_mov_b32_e32 v22, 0
	v_bfe_u32 v1, v33, 16, 1
	v_cmp_o_f32_e32 vcc_lo, v33, v33
	v_mov_b32_e32 v23, 0x7fc0
	v_lshlrev_b64 v[21:22], 1, v[21:22]
	v_add3_u32 v1, v33, v1, 0x7fff
	v_cndmask_b32_sdwa v1, v23, v1, vcc_lo dst_sel:DWORD dst_unused:UNUSED_PAD src0_sel:DWORD src1_sel:WORD_1
	s_waitcnt lgkmcnt(0)
	v_add_co_u32 v21, vcc_lo, s12, v21
	v_add_co_ci_u32_e64 v22, null, s13, v22, vcc_lo
	global_store_short v[21:22], v1, off
	s_or_b32 exec_lo, exec_lo, s4
	s_and_saveexec_b32 s4, s2
	s_cbranch_execz .LBB176_30
.LBB176_68:
	v_add_nc_u32_e32 v21, v18, v31
	v_mov_b32_e32 v22, 0
	v_bfe_u32 v1, v29, 16, 1
	v_cmp_o_f32_e32 vcc_lo, v29, v29
	v_mov_b32_e32 v23, 0x7fc0
	v_lshlrev_b64 v[21:22], 1, v[21:22]
	v_add3_u32 v1, v29, v1, 0x7fff
	v_cndmask_b32_sdwa v1, v23, v1, vcc_lo dst_sel:DWORD dst_unused:UNUSED_PAD src0_sel:DWORD src1_sel:WORD_1
	s_waitcnt lgkmcnt(0)
	v_add_co_u32 v21, vcc_lo, s12, v21
	v_add_co_ci_u32_e64 v22, null, s13, v22, vcc_lo
	global_store_short v[21:22], v1, off
	s_or_b32 exec_lo, exec_lo, s4
	s_and_saveexec_b32 s4, s3
	s_cbranch_execnz .LBB176_31
	s_branch .LBB176_32
.LBB176_69:
	v_bfe_u32 v1, v20, 16, 1
	v_add_nc_u32_e32 v21, v18, v0
	v_mov_b32_e32 v22, 0
	v_cmp_o_f32_e32 vcc_lo, v20, v20
	v_mov_b32_e32 v23, 0x7fc0
	v_add3_u32 v1, v20, v1, 0x7fff
	v_lshlrev_b64 v[20:21], 1, v[21:22]
	v_cndmask_b32_sdwa v1, v23, v1, vcc_lo dst_sel:DWORD dst_unused:UNUSED_PAD src0_sel:DWORD src1_sel:WORD_1
	s_waitcnt lgkmcnt(0)
	v_add_co_u32 v20, vcc_lo, s12, v20
	v_add_co_ci_u32_e64 v21, null, s13, v21, vcc_lo
	global_store_short v[20:21], v1, off
	s_or_b32 exec_lo, exec_lo, s4
	s_and_saveexec_b32 s4, s1
	s_cbranch_execz .LBB176_35
.LBB176_70:
	v_add_nc_u32_e32 v20, v18, v19
	v_mov_b32_e32 v21, 0
	v_bfe_u32 v1, v32, 16, 1
	v_cmp_o_f32_e32 vcc_lo, v32, v32
	v_mov_b32_e32 v22, 0x7fc0
	v_lshlrev_b64 v[20:21], 1, v[20:21]
	v_add3_u32 v1, v32, v1, 0x7fff
	v_cndmask_b32_sdwa v1, v22, v1, vcc_lo dst_sel:DWORD dst_unused:UNUSED_PAD src0_sel:DWORD src1_sel:WORD_1
	s_waitcnt lgkmcnt(0)
	v_add_co_u32 v20, vcc_lo, s12, v20
	v_add_co_ci_u32_e64 v21, null, s13, v21, vcc_lo
	global_store_short v[20:21], v1, off
	s_or_b32 exec_lo, exec_lo, s4
	s_and_saveexec_b32 s4, s2
	s_cbranch_execz .LBB176_36
.LBB176_71:
	v_add_nc_u32_e32 v20, v18, v31
	v_mov_b32_e32 v21, 0
	v_bfe_u32 v1, v28, 16, 1
	v_cmp_o_f32_e32 vcc_lo, v28, v28
	v_mov_b32_e32 v22, 0x7fc0
	v_lshlrev_b64 v[20:21], 1, v[20:21]
	v_add3_u32 v1, v28, v1, 0x7fff
	v_cndmask_b32_sdwa v1, v22, v1, vcc_lo dst_sel:DWORD dst_unused:UNUSED_PAD src0_sel:DWORD src1_sel:WORD_1
	s_waitcnt lgkmcnt(0)
	v_add_co_u32 v20, vcc_lo, s12, v20
	v_add_co_ci_u32_e64 v21, null, s13, v21, vcc_lo
	global_store_short v[20:21], v1, off
	s_or_b32 exec_lo, exec_lo, s4
	s_and_saveexec_b32 s4, s3
	s_cbranch_execnz .LBB176_37
	s_branch .LBB176_38
.LBB176_72:
	v_add_nc_u32_e32 v20, v18, v0
	v_mov_b32_e32 v21, 0
	v_bfe_u32 v1, v15, 16, 1
	v_cmp_o_f32_e32 vcc_lo, v15, v15
	v_mov_b32_e32 v22, 0x7fc0
	v_lshlrev_b64 v[20:21], 1, v[20:21]
	v_add3_u32 v1, v15, v1, 0x7fff
	v_cndmask_b32_sdwa v1, v22, v1, vcc_lo dst_sel:DWORD dst_unused:UNUSED_PAD src0_sel:DWORD src1_sel:WORD_1
	s_waitcnt lgkmcnt(0)
	v_add_co_u32 v20, vcc_lo, s12, v20
	v_add_co_ci_u32_e64 v21, null, s13, v21, vcc_lo
	global_store_short v[20:21], v1, off
	s_or_b32 exec_lo, exec_lo, s4
	s_and_saveexec_b32 s4, s1
	s_cbranch_execz .LBB176_41
.LBB176_73:
	v_add_nc_u32_e32 v20, v18, v19
	v_mov_b32_e32 v21, 0
	v_bfe_u32 v1, v11, 16, 1
	v_cmp_o_f32_e32 vcc_lo, v11, v11
	v_mov_b32_e32 v15, 0x7fc0
	v_lshlrev_b64 v[20:21], 1, v[20:21]
	v_add3_u32 v1, v11, v1, 0x7fff
	v_cndmask_b32_sdwa v1, v15, v1, vcc_lo dst_sel:DWORD dst_unused:UNUSED_PAD src0_sel:DWORD src1_sel:WORD_1
	s_waitcnt lgkmcnt(0)
	v_add_co_u32 v20, vcc_lo, s12, v20
	v_add_co_ci_u32_e64 v21, null, s13, v21, vcc_lo
	global_store_short v[20:21], v1, off
	s_or_b32 exec_lo, exec_lo, s4
	s_and_saveexec_b32 s4, s2
	s_cbranch_execz .LBB176_42
.LBB176_74:
	v_add_nc_u32_e32 v20, v18, v31
	v_mov_b32_e32 v21, 0
	v_bfe_u32 v1, v7, 16, 1
	v_cmp_o_f32_e32 vcc_lo, v7, v7
	v_mov_b32_e32 v11, 0x7fc0
	v_lshlrev_b64 v[20:21], 1, v[20:21]
	v_add3_u32 v1, v7, v1, 0x7fff
	v_cndmask_b32_sdwa v1, v11, v1, vcc_lo dst_sel:DWORD dst_unused:UNUSED_PAD src0_sel:DWORD src1_sel:WORD_1
	s_waitcnt lgkmcnt(0)
	v_add_co_u32 v20, vcc_lo, s12, v20
	v_add_co_ci_u32_e64 v21, null, s13, v21, vcc_lo
	global_store_short v[20:21], v1, off
	s_or_b32 exec_lo, exec_lo, s4
	s_and_saveexec_b32 s4, s3
	s_cbranch_execnz .LBB176_43
	s_branch .LBB176_44
.LBB176_75:
	v_bfe_u32 v1, v14, 16, 1
	v_add_nc_u32_e32 v20, v3, v0
	v_mov_b32_e32 v21, 0
	v_cmp_o_f32_e32 vcc_lo, v14, v14
	v_mov_b32_e32 v7, 0x7fc0
	v_add3_u32 v1, v14, v1, 0x7fff
	v_lshlrev_b64 v[14:15], 1, v[20:21]
	v_cndmask_b32_sdwa v1, v7, v1, vcc_lo dst_sel:DWORD dst_unused:UNUSED_PAD src0_sel:DWORD src1_sel:WORD_1
	s_waitcnt lgkmcnt(0)
	v_add_co_u32 v14, vcc_lo, s12, v14
	v_add_co_ci_u32_e64 v15, null, s13, v15, vcc_lo
	global_store_short v[14:15], v1, off
	s_or_b32 exec_lo, exec_lo, s4
	s_and_saveexec_b32 s4, s1
	s_cbranch_execz .LBB176_47
.LBB176_76:
	v_bfe_u32 v1, v10, 16, 1
	v_add_nc_u32_e32 v14, v3, v19
	v_mov_b32_e32 v15, 0
	v_cmp_o_f32_e32 vcc_lo, v10, v10
	v_mov_b32_e32 v7, 0x7fc0
	v_add3_u32 v1, v10, v1, 0x7fff
	v_lshlrev_b64 v[10:11], 1, v[14:15]
	v_cndmask_b32_sdwa v1, v7, v1, vcc_lo dst_sel:DWORD dst_unused:UNUSED_PAD src0_sel:DWORD src1_sel:WORD_1
	s_waitcnt lgkmcnt(0)
	v_add_co_u32 v10, vcc_lo, s12, v10
	v_add_co_ci_u32_e64 v11, null, s13, v11, vcc_lo
	global_store_short v[10:11], v1, off
	s_or_b32 exec_lo, exec_lo, s4
	s_and_saveexec_b32 s4, s2
	s_cbranch_execz .LBB176_48
.LBB176_77:
	v_bfe_u32 v1, v6, 16, 1
	v_add_nc_u32_e32 v10, v3, v31
	v_mov_b32_e32 v11, 0
	v_cmp_o_f32_e32 vcc_lo, v6, v6
	v_mov_b32_e32 v14, 0x7fc0
	v_add3_u32 v1, v6, v1, 0x7fff
	v_lshlrev_b64 v[6:7], 1, v[10:11]
	v_cndmask_b32_sdwa v1, v14, v1, vcc_lo dst_sel:DWORD dst_unused:UNUSED_PAD src0_sel:DWORD src1_sel:WORD_1
	s_waitcnt lgkmcnt(0)
	v_add_co_u32 v6, vcc_lo, s12, v6
	v_add_co_ci_u32_e64 v7, null, s13, v7, vcc_lo
	global_store_short v[6:7], v1, off
	s_or_b32 exec_lo, exec_lo, s4
	s_and_saveexec_b32 s4, s3
	s_cbranch_execnz .LBB176_49
	s_branch .LBB176_50
.LBB176_78:
	v_add_nc_u32_e32 v6, v2, v0
	v_mov_b32_e32 v7, 0
	v_bfe_u32 v1, v17, 16, 1
	v_cmp_o_f32_e32 vcc_lo, v17, v17
	v_mov_b32_e32 v3, 0x7fc0
	v_lshlrev_b64 v[6:7], 1, v[6:7]
	v_add3_u32 v1, v17, v1, 0x7fff
	v_cndmask_b32_sdwa v1, v3, v1, vcc_lo dst_sel:DWORD dst_unused:UNUSED_PAD src0_sel:DWORD src1_sel:WORD_1
	s_waitcnt lgkmcnt(0)
	v_add_co_u32 v6, vcc_lo, s12, v6
	v_add_co_ci_u32_e64 v7, null, s13, v7, vcc_lo
	global_store_short v[6:7], v1, off
	s_or_b32 exec_lo, exec_lo, s4
	s_and_saveexec_b32 s4, s1
	s_cbranch_execz .LBB176_53
.LBB176_79:
	v_add_nc_u32_e32 v6, v2, v19
	v_mov_b32_e32 v7, 0
	v_bfe_u32 v1, v13, 16, 1
	v_cmp_o_f32_e32 vcc_lo, v13, v13
	v_mov_b32_e32 v3, 0x7fc0
	v_lshlrev_b64 v[6:7], 1, v[6:7]
	v_add3_u32 v1, v13, v1, 0x7fff
	v_cndmask_b32_sdwa v1, v3, v1, vcc_lo dst_sel:DWORD dst_unused:UNUSED_PAD src0_sel:DWORD src1_sel:WORD_1
	s_waitcnt lgkmcnt(0)
	v_add_co_u32 v6, vcc_lo, s12, v6
	v_add_co_ci_u32_e64 v7, null, s13, v7, vcc_lo
	global_store_short v[6:7], v1, off
	s_or_b32 exec_lo, exec_lo, s4
	s_and_saveexec_b32 s4, s2
	s_cbranch_execz .LBB176_54
.LBB176_80:
	v_add_nc_u32_e32 v6, v2, v31
	v_mov_b32_e32 v7, 0
	v_bfe_u32 v1, v9, 16, 1
	v_cmp_o_f32_e32 vcc_lo, v9, v9
	v_mov_b32_e32 v3, 0x7fc0
	v_lshlrev_b64 v[6:7], 1, v[6:7]
	v_add3_u32 v1, v9, v1, 0x7fff
	v_cndmask_b32_sdwa v1, v3, v1, vcc_lo dst_sel:DWORD dst_unused:UNUSED_PAD src0_sel:DWORD src1_sel:WORD_1
	s_waitcnt lgkmcnt(0)
	v_add_co_u32 v6, vcc_lo, s12, v6
	v_add_co_ci_u32_e64 v7, null, s13, v7, vcc_lo
	global_store_short v[6:7], v1, off
	s_or_b32 exec_lo, exec_lo, s4
	s_and_saveexec_b32 s4, s3
	s_cbranch_execnz .LBB176_55
	s_branch .LBB176_56
.LBB176_81:
	v_add_nc_u32_e32 v2, v1, v0
	v_mov_b32_e32 v3, 0
	v_bfe_u32 v5, v16, 16, 1
	v_cmp_o_f32_e32 vcc_lo, v16, v16
	v_mov_b32_e32 v0, 0x7fc0
	v_lshlrev_b64 v[2:3], 1, v[2:3]
	v_add3_u32 v5, v16, v5, 0x7fff
	v_cndmask_b32_sdwa v0, v0, v5, vcc_lo dst_sel:DWORD dst_unused:UNUSED_PAD src0_sel:DWORD src1_sel:WORD_1
	s_waitcnt lgkmcnt(0)
	v_add_co_u32 v2, vcc_lo, s12, v2
	v_add_co_ci_u32_e64 v3, null, s13, v3, vcc_lo
	global_store_short v[2:3], v0, off
	s_or_b32 exec_lo, exec_lo, s4
	s_and_saveexec_b32 s0, s1
	s_cbranch_execz .LBB176_59
.LBB176_82:
	v_add_nc_u32_e32 v2, v1, v19
	v_mov_b32_e32 v3, 0
	v_bfe_u32 v0, v12, 16, 1
	v_cmp_o_f32_e32 vcc_lo, v12, v12
	v_mov_b32_e32 v5, 0x7fc0
	v_lshlrev_b64 v[2:3], 1, v[2:3]
	v_add3_u32 v0, v12, v0, 0x7fff
	v_cndmask_b32_sdwa v0, v5, v0, vcc_lo dst_sel:DWORD dst_unused:UNUSED_PAD src0_sel:DWORD src1_sel:WORD_1
	s_waitcnt lgkmcnt(0)
	v_add_co_u32 v2, vcc_lo, s12, v2
	v_add_co_ci_u32_e64 v3, null, s13, v3, vcc_lo
	global_store_short v[2:3], v0, off
	s_or_b32 exec_lo, exec_lo, s0
	s_and_saveexec_b32 s0, s2
	s_cbranch_execz .LBB176_60
.LBB176_83:
	v_add_nc_u32_e32 v2, v1, v31
	v_mov_b32_e32 v3, 0
	v_bfe_u32 v0, v8, 16, 1
	v_cmp_o_f32_e32 vcc_lo, v8, v8
	v_mov_b32_e32 v5, 0x7fc0
	v_lshlrev_b64 v[2:3], 1, v[2:3]
	v_add3_u32 v0, v8, v0, 0x7fff
	v_cndmask_b32_sdwa v0, v5, v0, vcc_lo dst_sel:DWORD dst_unused:UNUSED_PAD src0_sel:DWORD src1_sel:WORD_1
	s_waitcnt lgkmcnt(0)
	v_add_co_u32 v2, vcc_lo, s12, v2
	v_add_co_ci_u32_e64 v3, null, s13, v3, vcc_lo
	global_store_short v[2:3], v0, off
	s_or_b32 exec_lo, exec_lo, s0
	s_and_b32 exec_lo, exec_lo, s3
	s_cbranch_execnz .LBB176_61
	s_branch .LBB176_62
	.section	.rodata,"a",@progbits
	.p2align	6, 0x0
	.amdhsa_kernel _ZL12mul_mat_q6_KIN3c108BFloat16ELb1EEvPKvS3_PT_iiiii
		.amdhsa_group_segment_fixed_size 45136
		.amdhsa_private_segment_fixed_size 300
		.amdhsa_kernarg_size 44
		.amdhsa_user_sgpr_count 6
		.amdhsa_user_sgpr_private_segment_buffer 1
		.amdhsa_user_sgpr_dispatch_ptr 0
		.amdhsa_user_sgpr_queue_ptr 0
		.amdhsa_user_sgpr_kernarg_segment_ptr 1
		.amdhsa_user_sgpr_dispatch_id 0
		.amdhsa_user_sgpr_flat_scratch_init 0
		.amdhsa_user_sgpr_private_segment_size 0
		.amdhsa_wavefront_size32 1
		.amdhsa_uses_dynamic_stack 0
		.amdhsa_system_sgpr_private_segment_wavefront_offset 1
		.amdhsa_system_sgpr_workgroup_id_x 1
		.amdhsa_system_sgpr_workgroup_id_y 1
		.amdhsa_system_sgpr_workgroup_id_z 0
		.amdhsa_system_sgpr_workgroup_info 0
		.amdhsa_system_vgpr_workitem_id 1
		.amdhsa_next_free_vgpr 256
		.amdhsa_next_free_sgpr 24
		.amdhsa_reserve_vcc 1
		.amdhsa_reserve_flat_scratch 0
		.amdhsa_float_round_mode_32 0
		.amdhsa_float_round_mode_16_64 0
		.amdhsa_float_denorm_mode_32 3
		.amdhsa_float_denorm_mode_16_64 3
		.amdhsa_dx10_clamp 1
		.amdhsa_ieee_mode 1
		.amdhsa_fp16_overflow 0
		.amdhsa_workgroup_processor_mode 1
		.amdhsa_memory_ordered 1
		.amdhsa_forward_progress 1
		.amdhsa_shared_vgpr_count 0
		.amdhsa_exception_fp_ieee_invalid_op 0
		.amdhsa_exception_fp_denorm_src 0
		.amdhsa_exception_fp_ieee_div_zero 0
		.amdhsa_exception_fp_ieee_overflow 0
		.amdhsa_exception_fp_ieee_underflow 0
		.amdhsa_exception_fp_ieee_inexact 0
		.amdhsa_exception_int_div_zero 0
	.end_amdhsa_kernel
	.section	.text._ZL12mul_mat_q6_KIN3c108BFloat16ELb1EEvPKvS3_PT_iiiii,"axG",@progbits,_ZL12mul_mat_q6_KIN3c108BFloat16ELb1EEvPKvS3_PT_iiiii,comdat
.Lfunc_end176:
	.size	_ZL12mul_mat_q6_KIN3c108BFloat16ELb1EEvPKvS3_PT_iiiii, .Lfunc_end176-_ZL12mul_mat_q6_KIN3c108BFloat16ELb1EEvPKvS3_PT_iiiii
                                        ; -- End function
	.set _ZL12mul_mat_q6_KIN3c108BFloat16ELb1EEvPKvS3_PT_iiiii.num_vgpr, 256
	.set _ZL12mul_mat_q6_KIN3c108BFloat16ELb1EEvPKvS3_PT_iiiii.num_agpr, 0
	.set _ZL12mul_mat_q6_KIN3c108BFloat16ELb1EEvPKvS3_PT_iiiii.numbered_sgpr, 24
	.set _ZL12mul_mat_q6_KIN3c108BFloat16ELb1EEvPKvS3_PT_iiiii.num_named_barrier, 0
	.set _ZL12mul_mat_q6_KIN3c108BFloat16ELb1EEvPKvS3_PT_iiiii.private_seg_size, 300
	.set _ZL12mul_mat_q6_KIN3c108BFloat16ELb1EEvPKvS3_PT_iiiii.uses_vcc, 1
	.set _ZL12mul_mat_q6_KIN3c108BFloat16ELb1EEvPKvS3_PT_iiiii.uses_flat_scratch, 0
	.set _ZL12mul_mat_q6_KIN3c108BFloat16ELb1EEvPKvS3_PT_iiiii.has_dyn_sized_stack, 0
	.set _ZL12mul_mat_q6_KIN3c108BFloat16ELb1EEvPKvS3_PT_iiiii.has_recursion, 0
	.set _ZL12mul_mat_q6_KIN3c108BFloat16ELb1EEvPKvS3_PT_iiiii.has_indirect_call, 0
	.section	.AMDGPU.csdata,"",@progbits
; Kernel info:
; codeLenInByte = 24600
; TotalNumSgprs: 26
; NumVgprs: 256
; ScratchSize: 300
; MemoryBound: 0
; FloatMode: 240
; IeeeMode: 1
; LDSByteSize: 45136 bytes/workgroup (compile time only)
; SGPRBlocks: 0
; VGPRBlocks: 31
; NumSGPRsForWavesPerEU: 26
; NumVGPRsForWavesPerEU: 256
; Occupancy: 4
; WaveLimiterHint : 0
; COMPUTE_PGM_RSRC2:SCRATCH_EN: 1
; COMPUTE_PGM_RSRC2:USER_SGPR: 6
; COMPUTE_PGM_RSRC2:TRAP_HANDLER: 0
; COMPUTE_PGM_RSRC2:TGID_X_EN: 1
; COMPUTE_PGM_RSRC2:TGID_Y_EN: 1
; COMPUTE_PGM_RSRC2:TGID_Z_EN: 0
; COMPUTE_PGM_RSRC2:TIDIG_COMP_CNT: 1
	.section	.text._ZL8moe_q4_0IfLb0EEvPKvS1_PT_PKiS5_S5_iiiiiii,"axG",@progbits,_ZL8moe_q4_0IfLb0EEvPKvS1_PT_PKiS5_S5_iiiiiii,comdat
	.globl	_ZL8moe_q4_0IfLb0EEvPKvS1_PT_PKiS5_S5_iiiiiii ; -- Begin function _ZL8moe_q4_0IfLb0EEvPKvS1_PT_PKiS5_S5_iiiiiii
	.p2align	8
	.type	_ZL8moe_q4_0IfLb0EEvPKvS1_PT_PKiS5_S5_iiiiiii,@function
_ZL8moe_q4_0IfLb0EEvPKvS1_PT_PKiS5_S5_iiiiiii: ; @_ZL8moe_q4_0IfLb0EEvPKvS1_PT_PKiS5_S5_iiiiiii
; %bb.0:
	s_load_dwordx4 s[0:3], s[4:5], 0x18
	s_mov_b32 s8, s7
	s_mov_b32 s9, 0
	s_lshl_b64 s[10:11], s[8:9], 2
	s_waitcnt lgkmcnt(0)
	s_add_u32 s2, s2, s10
	s_addc_u32 s3, s3, s11
	s_load_dword s7, s[2:3], 0x0
	s_waitcnt lgkmcnt(0)
	s_cmpk_gt_u32 s7, 0xff
	s_cbranch_scc1 .LBB177_30
; %bb.1:
	s_load_dwordx2 s[2:3], s[4:5], 0x28
	s_waitcnt lgkmcnt(0)
	s_load_dword s3, s[2:3], 0x0
	s_lshl_b32 s2, s8, 3
	s_waitcnt lgkmcnt(0)
	s_cmp_gt_u32 s2, s3
	s_cbranch_scc1 .LBB177_30
; %bb.2:
	v_add_nc_u32_e32 v2, s2, v1
	v_mov_b32_e32 v3, 0
	s_lshl_b32 s6, s6, 7
	v_lshlrev_b64 v[4:5], 2, v[2:3]
	v_mov_b32_e32 v14, v3
	v_mov_b32_e32 v25, v3
	v_add_co_u32 v4, vcc_lo, s0, v4
	v_add_co_ci_u32_e64 v5, null, s1, v5, vcc_lo
	global_load_dword v4, v[4:5], off
	s_clause 0x2
	s_load_dwordx2 s[14:15], s[4:5], 0x30
	s_load_dwordx2 s[12:13], s[4:5], 0x10
	s_load_dwordx4 s[8:11], s[4:5], 0x3c
	v_mov_b32_e32 v5, v3
	s_waitcnt lgkmcnt(0)
	s_cmp_lt_i32 s15, 32
	s_cbranch_scc1 .LBB177_21
; %bb.3:
	s_load_dwordx4 s[0:3], s[4:5], 0x0
	s_ashr_i32 s4, s15, 31
	s_ashr_i32 s5, s9, 31
	s_lshr_b32 s4, s4, 27
	s_lshr_b32 s5, s5, 27
	s_add_i32 s4, s15, s4
	s_mul_i32 s14, s7, s14
	s_ashr_i32 s7, s4, 5
	s_add_i32 s5, s9, s5
	s_mul_i32 s17, s7, s6
	s_ashr_i32 s16, s14, 31
	s_ashr_i32 s9, s5, 5
	s_mul_hi_i32 s5, s17, 18
	s_mul_i32 s17, s17, 18
	v_mul_lo_u32 v12, s7, v1
	v_lshlrev_b32_e32 v2, 2, v0
	v_lshl_add_u32 v9, v1, 4, 0x5680
	s_waitcnt vmcnt(0)
	v_xor_b32_e32 v19, s11, v4
	v_and_b32_e32 v14, 31, v0
	v_lshl_add_u32 v8, v1, 7, 0x5280
	s_waitcnt lgkmcnt(0)
	s_add_u32 s0, s0, s14
	s_addc_u32 s1, s1, s16
	s_add_u32 s14, s0, s17
	s_addc_u32 s16, s1, s5
	s_abs_i32 s1, s11
	s_lshl_b32 s5, s7, 3
	v_cvt_f32_u32_e32 v3, s1
	s_sub_i32 s0, 0, s1
	v_add_nc_u32_e32 v15, s5, v12
	v_sub_nc_u32_e32 v23, 0, v4
	v_add_nc_u32_e32 v20, 64, v0
	v_rcp_iflag_f32_e32 v3, v3
	v_and_b32_e32 v11, 12, v2
	v_mad_u32_u24 v13, 0x84, v1, v2
	v_and_b32_e32 v46, 28, v2
	v_add_nc_u32_e32 v17, v9, v2
	v_ashrrev_i32_e32 v2, 31, v19
	v_add_nc_u32_e32 v19, s5, v15
	v_lshl_or_b32 v16, v14, 2, v8
	v_max_i32_e32 v14, v4, v23
	v_and_b32_e32 v30, 0x1fc, v20
	v_mul_f32_e32 v3, 0x4f7ffffe, v3
	v_add_nc_u32_e32 v20, s5, v19
	v_lshrrev_b32_e32 v7, 3, v0
	v_add_nc_u32_e32 v22, 0x60, v0
	v_add_nc_u32_e32 v21, 32, v0
	v_cvt_u32_f32_e32 v3, v3
	v_add_nc_u32_e32 v23, s5, v20
	v_lshl_add_u32 v1, v1, 2, v7
	v_lshlrev_b32_e32 v25, 5, v0
	v_and_b32_e32 v29, 0x1fc, v22
	v_mul_lo_u32 v26, s0, v3
	v_add_nc_u32_e32 v27, s5, v23
	v_add_nc_u32_e32 v33, 32, v1
	;; [unrolled: 1-line block ×3, first 2 shown]
	v_and_b32_e32 v6, 7, v0
	v_and_b32_e32 v24, 0xfc, v0
	v_add_nc_u32_e32 v28, s5, v27
	v_and_b32_e32 v31, 0x1fc, v21
	v_mul_hi_u32 v26, v3, v26
	v_add_nc_u32_e32 v38, v25, v29
	v_and_b32_e32 v32, 0x7fc, v1
	v_add_nc_u32_e32 v29, s5, v28
	v_lshlrev_b32_e32 v51, 5, v1
	v_and_b32_e32 v41, 0xffc, v33
	v_lshlrev_b32_e32 v53, 5, v33
	v_and_b32_e32 v44, 0xffc, v34
	v_add_nc_u32_e32 v3, v3, v26
	v_mul_lo_u32 v26, s7, v1
	v_add_nc_u32_e32 v1, 0x60, v1
	v_lshlrev_b32_e32 v54, 5, v34
	v_lshlrev_b32_e32 v43, 2, v6
	v_mul_hi_u32 v3, v14, v3
	v_add_nc_u32_e32 v50, v25, v24
	v_add_nc_u32_e32 v39, v25, v30
	;; [unrolled: 1-line block ×4, first 2 shown]
	v_and_b32_e32 v45, 0xffc, v1
	v_lshlrev_b32_e32 v55, 5, v1
	v_add3_u32 v52, v32, v43, 0x4200
	v_mul_lo_u32 v35, v3, s1
	v_add_nc_u32_e32 v33, 1, v3
	v_add_nc_u32_e32 v32, s5, v31
	s_andn2_b32 s4, s4, 31
	v_add3_u32 v57, v45, v43, 0x4200
	v_add3_u32 v56, v44, v43, 0x4200
	v_cmp_gt_u32_e32 vcc_lo, 4, v0
	v_mov_b32_e32 v5, 0
	v_sub_nc_u32_e32 v14, v14, v35
	v_mad_u32_u24 v10, 0x84, v0, 64
	v_lshrrev_b32_e32 v18, 3, v21
	v_add_nc_u32_e32 v21, 0x35a0, v13
	v_add_nc_u32_e32 v22, 0x39c0, v13
	v_subrev_nc_u32_e32 v34, s1, v14
	v_cmp_le_u32_e64 s0, s1, v14
	v_add_nc_u32_e32 v24, 0x3de0, v13
	v_add_nc_u32_e32 v30, 0x4200, v50
	;; [unrolled: 1-line block ×4, first 2 shown]
	v_cndmask_b32_e64 v3, v3, v33, s0
	v_cndmask_b32_e64 v1, v14, v34, s0
	v_add_nc_u32_e32 v33, s5, v32
	v_add_nc_u32_e32 v34, 0x4e00, v38
	;; [unrolled: 1-line block ×4, first 2 shown]
	v_cmp_le_u32_e64 s0, s1, v1
	v_add_nc_u32_e32 v36, s5, v33
	v_add_nc_u32_e32 v39, 0x4a10, v39
	;; [unrolled: 1-line block ×4, first 2 shown]
	v_cndmask_b32_e64 v1, v3, v14, s0
	v_add_nc_u32_e32 v40, s5, v36
	v_add3_u32 v3, v41, v43, 0x4200
	v_add_nc_u32_e32 v41, s4, v26
	v_add_nc_u32_e32 v51, v52, v51
	v_xor_b32_e32 v1, v1, v2
	v_add_nc_u32_e32 v42, s5, v40
	v_add_nc_u32_e32 v52, v3, v53
	;; [unrolled: 1-line block ×4, first 2 shown]
	v_sub_nc_u32_e32 v14, v1, v2
	v_add_nc_u32_e32 v44, s5, v42
	v_add_co_u32 v1, s0, s2, v46
	v_add_co_ci_u32_e64 v2, null, s3, 0, s0
	v_mul_lo_u32 v45, v14, s9
	v_cmp_gt_i32_e64 s0, s8, v14
	v_add_nc_u32_e32 v46, s4, v43
	v_add_nc_u32_e32 v47, s5, v44
	;; [unrolled: 1-line block ×3, first 2 shown]
	v_mov_b32_e32 v25, 0
	v_mov_b32_e32 v14, 0
	;; [unrolled: 1-line block ×3, first 2 shown]
	v_ashrrev_i32_e32 v48, 31, v45
	s_mov_b32 s17, 0
	s_and_b32 s18, vcc_lo, s0
	s_branch .LBB177_5
.LBB177_4:                              ;   in Loop: Header=BB177_5 Depth=1
	s_add_i32 s17, s17, 8
	s_cmp_ge_i32 s17, s7
	s_cbranch_scc1 .LBB177_21
.LBB177_5:                              ; =>This Loop Header: Depth=1
                                        ;     Child Loop BB177_11 Depth 2
                                        ;     Child Loop BB177_19 Depth 2
	s_mul_i32 s1, s17, 18
	v_lshrrev_b32_e32 v55, 2, v0
	s_mul_hi_u32 s5, s17, 18
	s_add_u32 s4, s14, s1
	s_addc_u32 s5, s16, s5
	v_mad_u64_u32 v[55:56], null, v55, 18, s[4:5]
	v_mad_u64_u32 v[57:58], null, v12, 18, v[55:56]
	;; [unrolled: 1-line block ×5, first 2 shown]
	v_add_co_u32 v57, s1, v57, v11
	v_mad_u64_u32 v[65:66], null, v23, 18, v[55:56]
	v_add_co_ci_u32_e64 v58, null, 0, v58, s1
	v_add_co_u32 v59, s1, v59, v11
	v_mad_u64_u32 v[67:68], null, v27, 18, v[55:56]
	v_add_co_ci_u32_e64 v60, null, 0, v60, s1
	;; [unrolled: 3-line block ×4, first 2 shown]
	v_add_co_u32 v65, s1, v65, v11
	v_add_co_ci_u32_e64 v66, null, 0, v66, s1
	v_add_co_u32 v67, s1, v67, v11
	v_add_co_ci_u32_e64 v68, null, 0, v68, s1
	;; [unrolled: 2-line block ×3, first 2 shown]
	v_add_co_u32 v71, s1, v71, v11
	v_mad_u64_u32 v[73:74], null, v31, 18, v[55:56]
	v_add_co_ci_u32_e64 v72, null, 0, v72, s1
	s_clause 0x7
	global_load_dword v79, v[57:58], off offset:2
	global_load_dword v80, v[59:60], off offset:2
	;; [unrolled: 1-line block ×8, first 2 shown]
	v_mad_u64_u32 v[57:58], null, v32, 18, v[55:56]
	v_mad_u64_u32 v[61:62], null, v33, 18, v[55:56]
	;; [unrolled: 1-line block ×4, first 2 shown]
	v_add_co_u32 v59, s1, v73, v11
	v_mad_u64_u32 v[65:66], null, v40, 18, v[55:56]
	v_add_co_ci_u32_e64 v60, null, 0, v74, s1
	v_add_co_u32 v57, s1, v57, v11
	v_mad_u64_u32 v[67:68], null, v42, 18, v[55:56]
	v_add_co_ci_u32_e64 v58, null, 0, v58, s1
	v_add_co_u32 v61, s1, v61, v11
	v_mad_u64_u32 v[71:72], null, v26, 18, v[69:70]
	v_mad_u64_u32 v[77:78], null, v44, 18, v[55:56]
	;; [unrolled: 1-line block ×3, first 2 shown]
	v_add_co_ci_u32_e64 v62, null, 0, v62, s1
	v_add_co_u32 v63, s1, v63, v11
	v_mad_u64_u32 v[75:76], null, v43, 18, v[69:70]
	v_mad_u64_u32 v[55:56], null, v47, 18, v[55:56]
	;; [unrolled: 1-line block ×3, first 2 shown]
	v_add_co_ci_u32_e64 v64, null, 0, v64, s1
	v_add_co_u32 v65, s1, v65, v11
	v_add_co_ci_u32_e64 v66, null, 0, v66, s1
	v_add_co_u32 v67, s1, v67, v11
	v_add_co_ci_u32_e64 v68, null, 0, v68, s1
	s_clause 0x3
	global_load_ushort v71, v[71:72], off
	global_load_ushort v72, v[73:74], off
	;; [unrolled: 1-line block ×4, first 2 shown]
	v_add_co_u32 v69, s1, v77, v11
	v_add_co_ci_u32_e64 v70, null, 0, v78, s1
	v_add_co_u32 v55, s1, v55, v11
	v_add_co_ci_u32_e64 v56, null, 0, v56, s1
	s_clause 0x7
	global_load_dword v59, v[59:60], off offset:2
	global_load_dword v57, v[57:58], off offset:2
	global_load_dword v58, v[61:62], off offset:2
	global_load_dword v60, v[63:64], off offset:2
	global_load_dword v61, v[65:66], off offset:2
	global_load_dword v62, v[67:68], off offset:2
	global_load_dword v63, v[69:70], off offset:2
	global_load_dword v55, v[55:56], off offset:2
	v_add_nc_u32_e32 v56, 0x420, v13
	s_lshl_b32 s4, s17, 5
	v_add_nc_u32_e32 v64, 0x840, v13
	v_add_nc_u32_e32 v65, 0xc60, v13
	s_cmp_lt_i32 s4, s15
	v_add_nc_u32_e32 v66, 0x1080, v13
	v_add_nc_u32_e32 v67, 0x14a0, v13
	;; [unrolled: 1-line block ×9, first 2 shown]
	s_waitcnt vmcnt(11)
	v_cvt_f32_f16_e32 v71, v71
	s_waitcnt vmcnt(10)
	v_cvt_f32_f16_e32 v72, v72
	;; [unrolled: 2-line block ×4, first 2 shown]
	ds_write_b32 v13, v79
	ds_write_b32 v56, v80
	;; [unrolled: 1-line block ×8, first 2 shown]
	s_waitcnt vmcnt(7)
	ds_write_b32 v70, v59
	s_waitcnt vmcnt(6)
	ds_write_b32 v75, v57
	;; [unrolled: 2-line block ×8, first 2 shown]
	ds_write_b32 v51, v71
	ds_write_b32 v52, v72
	;; [unrolled: 1-line block ×4, first 2 shown]
	s_cbranch_scc0 .LBB177_4
; %bb.6:                                ;   in Loop: Header=BB177_5 Depth=1
	v_add_nc_u32_e32 v55, s17, v7
	v_cmp_gt_i32_e64 s1, s9, v55
	s_and_b32 s5, s0, s1
	s_and_saveexec_b32 s1, s5
	s_cbranch_execz .LBB177_8
; %bb.7:                                ;   in Loop: Header=BB177_5 Depth=1
	v_add_nc_u32_e32 v55, v45, v55
	v_mad_i64_i32 v[55:56], null, v55, 36, v[1:2]
	global_load_dword v55, v[55:56], off offset:4
	s_waitcnt vmcnt(0)
	ds_write_b32 v16, v55
.LBB177_8:                              ;   in Loop: Header=BB177_5 Depth=1
	s_or_b32 exec_lo, exec_lo, s1
	v_add_nc_u32_e32 v55, s17, v0
	v_cmp_gt_i32_e64 s1, s9, v55
	s_and_b32 s5, s18, s1
	s_and_saveexec_b32 s1, s5
	s_cbranch_execz .LBB177_10
; %bb.9:                                ;   in Loop: Header=BB177_5 Depth=1
	v_add_nc_u32_e32 v56, v45, v55
	v_mad_i64_i32 v[56:57], null, v56, 36, s[2:3]
	global_load_dword v56, v[56:57], off
	s_waitcnt vmcnt(0)
	ds_write_b32 v17, v56
.LBB177_10:                             ;   in Loop: Header=BB177_5 Depth=1
	s_or_b32 exec_lo, exec_lo, s1
	v_mov_b32_e32 v56, v8
	v_mov_b32_e32 v57, v9
	v_mul_u32_u24_e32 v62, 0x84, v0
	v_mov_b32_e32 v58, v30
	v_mov_b32_e32 v59, v37
	;; [unrolled: 1-line block ×4, first 2 shown]
	s_mov_b32 s1, -4
	s_waitcnt lgkmcnt(0)
	s_barrier
	buffer_gl0_inv
.LBB177_11:                             ;   Parent Loop BB177_5 Depth=1
                                        ; =>  This Inner Loop Header: Depth=2
	v_add_nc_u32_e32 v75, 0x1080, v62
	v_add_nc_u32_e32 v77, 0x1088, v62
	;; [unrolled: 1-line block ×3, first 2 shown]
	ds_read_b128 v[63:66], v56
	ds_read_b128 v[67:70], v56 offset:16
	ds_read2_b32 v[71:72], v62 offset0:2 offset1:3
	v_add_nc_u32_e32 v81, 0x2108, v62
	ds_read_b32 v90, v57
	ds_read2_b32 v[73:74], v62 offset1:1
	ds_read_b32 v91, v58
	ds_read_b32 v92, v59
	;; [unrolled: 1-line block ×4, first 2 shown]
	v_add_nc_u32_e32 v83, 0x3180, v62
	v_add_nc_u32_e32 v85, 0x3188, v62
	ds_read2_b32 v[75:76], v75 offset1:1
	ds_read2_b32 v[77:78], v77 offset1:1
	;; [unrolled: 1-line block ×6, first 2 shown]
	v_mov_b32_e32 v87, 0
	v_mov_b32_e32 v88, 0
	;; [unrolled: 1-line block ×4, first 2 shown]
	v_add_nc_u32_e32 v62, 16, v62
	v_add_nc_u32_e32 v61, 4, v61
	;; [unrolled: 1-line block ×7, first 2 shown]
	s_add_i32 s1, s1, 4
	s_waitcnt lgkmcnt(10)
	v_and_b32_e32 v96, 0xf0f0f0f, v73
	v_lshrrev_b32_e32 v73, 4, v73
	s_waitcnt lgkmcnt(5)
	v_and_b32_e32 v100, 0xf0f0f0f, v76
	v_lshrrev_b32_e32 v76, 4, v76
	s_waitcnt lgkmcnt(4)
	v_and_b32_e32 v101, 0xf0f0f0f, v77
	v_dot4c_i32_i8 v87, v96, v63
	v_and_b32_e32 v73, 0xf0f0f0f, v73
	v_and_b32_e32 v96, 0xf0f0f0f, v75
	v_lshrrev_b32_e32 v75, 4, v75
	v_lshrrev_b32_e32 v77, 4, v77
	s_waitcnt lgkmcnt(3)
	v_and_b32_e32 v103, 0xf0f0f0f, v79
	v_lshrrev_b32_e32 v79, 4, v79
	s_waitcnt lgkmcnt(1)
	v_and_b32_e32 v107, 0xf0f0f0f, v83
	v_lshrrev_b32_e32 v83, 4, v83
	v_dot4c_i32_i8 v87, v73, v67
	v_and_b32_e32 v73, 0xf0f0f0f, v75
	v_dot4c_i32_i8 v88, v96, v63
	v_and_b32_e32 v75, 0xf0f0f0f, v76
	v_and_b32_e32 v76, 0xf0f0f0f, v77
	;; [unrolled: 1-line block ×3, first 2 shown]
	v_dot4c_i32_i8 v89, v103, v63
	v_and_b32_e32 v79, 0xf0f0f0f, v83
	v_dot4c_i32_i8 v95, v107, v63
	v_and_b32_e32 v97, 0xf0f0f0f, v74
	v_lshrrev_b32_e32 v74, 4, v74
	v_and_b32_e32 v102, 0xf0f0f0f, v78
	v_lshrrev_b32_e32 v78, 4, v78
	;; [unrolled: 2-line block ×4, first 2 shown]
	v_dot4c_i32_i8 v88, v73, v67
	v_dot4c_i32_i8 v89, v77, v67
	;; [unrolled: 1-line block ×3, first 2 shown]
	v_and_b32_e32 v74, 0xf0f0f0f, v74
	v_and_b32_e32 v63, 0xf0f0f0f, v78
	;; [unrolled: 1-line block ×4, first 2 shown]
	v_dot4c_i32_i8 v87, v97, v64
	v_dot4c_i32_i8 v88, v100, v64
	;; [unrolled: 1-line block ×4, first 2 shown]
	v_and_b32_e32 v98, 0xf0f0f0f, v71
	v_lshrrev_b32_e32 v71, 4, v71
	v_and_b32_e32 v105, 0xf0f0f0f, v81
	v_lshrrev_b32_e32 v81, 4, v81
	s_waitcnt lgkmcnt(0)
	v_and_b32_e32 v109, 0xf0f0f0f, v85
	v_lshrrev_b32_e32 v85, 4, v85
	v_dot4c_i32_i8 v87, v74, v68
	v_dot4c_i32_i8 v88, v75, v68
	v_dot4c_i32_i8 v89, v78, v68
	v_dot4c_i32_i8 v95, v67, v68
	v_and_b32_e32 v71, 0xf0f0f0f, v71
	v_and_b32_e32 v64, 0xf0f0f0f, v81
	;; [unrolled: 1-line block ×3, first 2 shown]
	v_dot4c_i32_i8 v87, v98, v65
	v_dot4c_i32_i8 v88, v101, v65
	;; [unrolled: 1-line block ×4, first 2 shown]
	v_and_b32_e32 v99, 0xf0f0f0f, v72
	v_lshrrev_b32_e32 v72, 4, v72
	v_and_b32_e32 v106, 0xf0f0f0f, v82
	v_lshrrev_b32_e32 v82, 4, v82
	;; [unrolled: 2-line block ×3, first 2 shown]
	v_dot4c_i32_i8 v87, v71, v69
	v_dot4c_i32_i8 v88, v76, v69
	v_dot4c_i32_i8 v89, v64, v69
	v_dot4c_i32_i8 v95, v67, v69
	v_and_b32_e32 v72, 0xf0f0f0f, v72
	v_and_b32_e32 v65, 0xf0f0f0f, v82
	;; [unrolled: 1-line block ×3, first 2 shown]
	v_dot4c_i32_i8 v87, v99, v66
	v_dot4c_i32_i8 v88, v102, v66
	;; [unrolled: 1-line block ×4, first 2 shown]
	v_cvt_f32_f16_sdwa v66, v90 dst_sel:DWORD dst_unused:UNUSED_PAD src0_sel:WORD_1
	v_dot4c_i32_i8 v87, v72, v70
	v_dot4c_i32_i8 v88, v63, v70
	;; [unrolled: 1-line block ×4, first 2 shown]
	v_mul_f32_e32 v63, 0xc1000000, v66
	v_cvt_f32_i32_e32 v64, v87
	v_cvt_f32_i32_e32 v65, v88
	;; [unrolled: 1-line block ×4, first 2 shown]
	s_cmp_lt_u32 s1, 12
	v_fma_mix_f32 v64, v90, v64, v63 op_sel_hi:[1,0,0]
	v_fma_mix_f32 v65, v90, v65, v63 op_sel_hi:[1,0,0]
	;; [unrolled: 1-line block ×4, first 2 shown]
	v_fmac_f32_e32 v5, v91, v64
	v_fmac_f32_e32 v25, v92, v65
	;; [unrolled: 1-line block ×4, first 2 shown]
	s_cbranch_scc1 .LBB177_11
; %bb.12:                               ;   in Loop: Header=BB177_5 Depth=1
	s_bitset1_b32 s4, 7
	s_cmp_ge_i32 s4, s15
	s_barrier
	buffer_gl0_inv
	s_cbranch_scc1 .LBB177_4
; %bb.13:                               ;   in Loop: Header=BB177_5 Depth=1
	v_add_nc_u32_e32 v56, s17, v18
	v_cmp_gt_i32_e64 s1, s9, v56
	s_and_b32 s4, s0, s1
	s_and_saveexec_b32 s1, s4
	s_cbranch_execz .LBB177_15
; %bb.14:                               ;   in Loop: Header=BB177_5 Depth=1
	v_add_nc_u32_e32 v56, v45, v56
	v_mad_i64_i32 v[56:57], null, v56, 36, v[1:2]
	global_load_dword v56, v[56:57], off offset:4
	s_waitcnt vmcnt(0)
	ds_write_b32 v16, v56
.LBB177_15:                             ;   in Loop: Header=BB177_5 Depth=1
	s_or_b32 exec_lo, exec_lo, s1
	s_and_saveexec_b32 s4, vcc_lo
	s_cbranch_execz .LBB177_18
; %bb.16:                               ;   in Loop: Header=BB177_5 Depth=1
	v_or_b32_e32 v56, 4, v55
	v_cmp_gt_i32_e64 s1, s9, v56
	s_and_b32 s1, s0, s1
	s_and_b32 exec_lo, exec_lo, s1
	s_cbranch_execz .LBB177_18
; %bb.17:                               ;   in Loop: Header=BB177_5 Depth=1
	v_ashrrev_i32_e32 v56, 31, v55
	v_add_co_u32 v55, s1, v45, v55
	v_add_co_ci_u32_e64 v57, null, v48, v56, s1
	v_mad_u64_u32 v[55:56], null, v55, 36, s[2:3]
	v_mad_i32_i24 v56, v57, 36, v56
	global_load_dword v55, v[55:56], off offset:144
	s_waitcnt vmcnt(0)
	ds_write_b32 v17, v55
.LBB177_18:                             ;   in Loop: Header=BB177_5 Depth=1
	s_or_b32 exec_lo, exec_lo, s4
	v_mov_b32_e32 v55, v9
	v_mov_b32_e32 v56, v8
	;; [unrolled: 1-line block ×7, first 2 shown]
	s_mov_b32 s1, 12
	s_waitcnt lgkmcnt(0)
	s_barrier
	buffer_gl0_inv
.LBB177_19:                             ;   Parent Loop BB177_5 Depth=1
                                        ; =>  This Inner Loop Header: Depth=2
	v_add_nc_u32_e32 v74, 0x1080, v61
	v_add_nc_u32_e32 v76, 0x1088, v61
	;; [unrolled: 1-line block ×3, first 2 shown]
	ds_read_b128 v[62:65], v56
	ds_read_b128 v[66:69], v56 offset:16
	ds_read_b32 v86, v55
	ds_read2_b32 v[70:71], v61 offset0:2 offset1:3
	v_add_nc_u32_e32 v80, 0x2108, v61
	ds_read2_b32 v[72:73], v61 offset1:1
	ds_read_b32 v90, v57
	ds_read_b32 v91, v58
	;; [unrolled: 1-line block ×4, first 2 shown]
	v_add_nc_u32_e32 v82, 0x3180, v61
	v_add_nc_u32_e32 v84, 0x3188, v61
	ds_read2_b32 v[74:75], v74 offset1:1
	ds_read2_b32 v[76:77], v76 offset1:1
	;; [unrolled: 1-line block ×6, first 2 shown]
	v_mov_b32_e32 v87, 0
	v_mov_b32_e32 v88, 0
	v_mov_b32_e32 v89, 0
	v_mov_b32_e32 v94, 0
	v_add_nc_u32_e32 v61, 16, v61
	v_add_nc_u32_e32 v60, 4, v60
	;; [unrolled: 1-line block ×7, first 2 shown]
	s_add_i32 s1, s1, 4
	s_waitcnt lgkmcnt(10)
	v_and_b32_e32 v95, 0xf0f0f0f, v72
	v_lshrrev_b32_e32 v72, 4, v72
	s_waitcnt lgkmcnt(5)
	v_and_b32_e32 v99, 0xf0f0f0f, v75
	v_lshrrev_b32_e32 v75, 4, v75
	s_waitcnt lgkmcnt(4)
	v_and_b32_e32 v100, 0xf0f0f0f, v76
	v_dot4c_i32_i8 v87, v95, v62
	v_and_b32_e32 v72, 0xf0f0f0f, v72
	v_and_b32_e32 v95, 0xf0f0f0f, v74
	v_lshrrev_b32_e32 v74, 4, v74
	v_lshrrev_b32_e32 v76, 4, v76
	s_waitcnt lgkmcnt(3)
	v_and_b32_e32 v102, 0xf0f0f0f, v78
	v_lshrrev_b32_e32 v78, 4, v78
	s_waitcnt lgkmcnt(1)
	v_and_b32_e32 v106, 0xf0f0f0f, v82
	v_lshrrev_b32_e32 v82, 4, v82
	v_dot4c_i32_i8 v87, v72, v66
	v_and_b32_e32 v72, 0xf0f0f0f, v74
	v_dot4c_i32_i8 v88, v95, v62
	v_and_b32_e32 v74, 0xf0f0f0f, v75
	v_and_b32_e32 v75, 0xf0f0f0f, v76
	;; [unrolled: 1-line block ×3, first 2 shown]
	v_dot4c_i32_i8 v89, v102, v62
	v_and_b32_e32 v78, 0xf0f0f0f, v82
	v_dot4c_i32_i8 v94, v106, v62
	v_and_b32_e32 v96, 0xf0f0f0f, v73
	v_lshrrev_b32_e32 v73, 4, v73
	v_and_b32_e32 v101, 0xf0f0f0f, v77
	v_lshrrev_b32_e32 v77, 4, v77
	;; [unrolled: 2-line block ×4, first 2 shown]
	v_dot4c_i32_i8 v88, v72, v66
	v_dot4c_i32_i8 v89, v76, v66
	;; [unrolled: 1-line block ×3, first 2 shown]
	v_and_b32_e32 v73, 0xf0f0f0f, v73
	v_and_b32_e32 v62, 0xf0f0f0f, v77
	;; [unrolled: 1-line block ×4, first 2 shown]
	v_dot4c_i32_i8 v87, v96, v63
	v_dot4c_i32_i8 v88, v99, v63
	;; [unrolled: 1-line block ×4, first 2 shown]
	v_and_b32_e32 v97, 0xf0f0f0f, v70
	v_lshrrev_b32_e32 v70, 4, v70
	v_and_b32_e32 v104, 0xf0f0f0f, v80
	v_lshrrev_b32_e32 v80, 4, v80
	s_waitcnt lgkmcnt(0)
	v_and_b32_e32 v108, 0xf0f0f0f, v84
	v_lshrrev_b32_e32 v84, 4, v84
	v_dot4c_i32_i8 v87, v73, v67
	v_dot4c_i32_i8 v88, v74, v67
	;; [unrolled: 1-line block ×4, first 2 shown]
	v_and_b32_e32 v70, 0xf0f0f0f, v70
	v_and_b32_e32 v63, 0xf0f0f0f, v80
	v_and_b32_e32 v66, 0xf0f0f0f, v84
	v_dot4c_i32_i8 v87, v97, v64
	v_dot4c_i32_i8 v88, v100, v64
	;; [unrolled: 1-line block ×4, first 2 shown]
	v_and_b32_e32 v98, 0xf0f0f0f, v71
	v_lshrrev_b32_e32 v71, 4, v71
	v_and_b32_e32 v105, 0xf0f0f0f, v81
	v_lshrrev_b32_e32 v81, 4, v81
	;; [unrolled: 2-line block ×3, first 2 shown]
	v_dot4c_i32_i8 v87, v70, v68
	v_dot4c_i32_i8 v88, v75, v68
	;; [unrolled: 1-line block ×4, first 2 shown]
	v_and_b32_e32 v71, 0xf0f0f0f, v71
	v_and_b32_e32 v64, 0xf0f0f0f, v81
	;; [unrolled: 1-line block ×3, first 2 shown]
	v_dot4c_i32_i8 v87, v98, v65
	v_dot4c_i32_i8 v88, v101, v65
	;; [unrolled: 1-line block ×4, first 2 shown]
	v_cvt_f32_f16_sdwa v65, v86 dst_sel:DWORD dst_unused:UNUSED_PAD src0_sel:WORD_1
	v_dot4c_i32_i8 v87, v71, v69
	v_dot4c_i32_i8 v88, v62, v69
	;; [unrolled: 1-line block ×4, first 2 shown]
	v_mul_f32_e32 v62, 0xc1000000, v65
	v_cvt_f32_i32_e32 v63, v87
	v_cvt_f32_i32_e32 v64, v88
	;; [unrolled: 1-line block ×4, first 2 shown]
	s_cmp_lt_u32 s1, 28
	v_fma_mix_f32 v63, v86, v63, v62 op_sel_hi:[1,0,0]
	v_fma_mix_f32 v64, v86, v64, v62 op_sel_hi:[1,0,0]
	;; [unrolled: 1-line block ×4, first 2 shown]
	v_fmac_f32_e32 v5, v90, v63
	v_fmac_f32_e32 v25, v91, v64
	;; [unrolled: 1-line block ×4, first 2 shown]
	s_cbranch_scc1 .LBB177_19
; %bb.20:                               ;   in Loop: Header=BB177_5 Depth=1
	s_barrier
	buffer_gl0_inv
	s_branch .LBB177_4
.LBB177_21:
	s_mul_i32 s0, s11, s8
	s_waitcnt vmcnt(0)
	v_cmp_gt_i32_e32 vcc_lo, s0, v4
	s_and_saveexec_b32 s0, vcc_lo
	s_cbranch_execz .LBB177_30
; %bb.22:
	v_add_nc_u32_e32 v1, s6, v0
	v_mul_lo_u32 v0, v4, s10
	s_mov_b32 s0, exec_lo
	v_cmpx_gt_u32_e64 s10, v1
	s_cbranch_execz .LBB177_24
; %bb.23:
	v_add_nc_u32_e32 v6, v0, v1
	v_mov_b32_e32 v7, 0
	v_lshlrev_b64 v[6:7], 2, v[6:7]
	v_add_co_u32 v6, vcc_lo, s12, v6
	v_add_co_ci_u32_e64 v7, null, s13, v7, vcc_lo
	global_store_dword v[6:7], v5, off
.LBB177_24:
	s_or_b32 exec_lo, exec_lo, s0
	v_add_nc_u32_e32 v2, 32, v1
	s_mov_b32 s0, exec_lo
	v_cmpx_gt_u32_e64 s10, v2
	s_cbranch_execz .LBB177_26
; %bb.25:
	v_add_nc_u32_e32 v4, v0, v2
	v_mov_b32_e32 v5, 0
	v_lshlrev_b64 v[4:5], 2, v[4:5]
	v_add_co_u32 v4, vcc_lo, s12, v4
	v_add_co_ci_u32_e64 v5, null, s13, v5, vcc_lo
	global_store_dword v[4:5], v25, off
.LBB177_26:
	s_or_b32 exec_lo, exec_lo, s0
	v_add_nc_u32_e32 v2, 64, v1
	;; [unrolled: 13-line block ×3, first 2 shown]
	v_cmp_gt_u32_e32 vcc_lo, s10, v1
	s_and_b32 exec_lo, exec_lo, vcc_lo
	s_cbranch_execz .LBB177_30
; %bb.29:
	v_add_nc_u32_e32 v0, v0, v1
	v_mov_b32_e32 v1, 0
	v_lshlrev_b64 v[0:1], 2, v[0:1]
	v_add_co_u32 v0, vcc_lo, s12, v0
	v_add_co_ci_u32_e64 v1, null, s13, v1, vcc_lo
	global_store_dword v[0:1], v3, off
.LBB177_30:
	s_endpgm
	.section	.rodata,"a",@progbits
	.p2align	6, 0x0
	.amdhsa_kernel _ZL8moe_q4_0IfLb0EEvPKvS1_PT_PKiS5_S5_iiiiiii
		.amdhsa_group_segment_fixed_size 22272
		.amdhsa_private_segment_fixed_size 0
		.amdhsa_kernarg_size 76
		.amdhsa_user_sgpr_count 6
		.amdhsa_user_sgpr_private_segment_buffer 1
		.amdhsa_user_sgpr_dispatch_ptr 0
		.amdhsa_user_sgpr_queue_ptr 0
		.amdhsa_user_sgpr_kernarg_segment_ptr 1
		.amdhsa_user_sgpr_dispatch_id 0
		.amdhsa_user_sgpr_flat_scratch_init 0
		.amdhsa_user_sgpr_private_segment_size 0
		.amdhsa_wavefront_size32 1
		.amdhsa_uses_dynamic_stack 0
		.amdhsa_system_sgpr_private_segment_wavefront_offset 0
		.amdhsa_system_sgpr_workgroup_id_x 1
		.amdhsa_system_sgpr_workgroup_id_y 1
		.amdhsa_system_sgpr_workgroup_id_z 0
		.amdhsa_system_sgpr_workgroup_info 0
		.amdhsa_system_vgpr_workitem_id 1
		.amdhsa_next_free_vgpr 111
		.amdhsa_next_free_sgpr 19
		.amdhsa_reserve_vcc 1
		.amdhsa_reserve_flat_scratch 0
		.amdhsa_float_round_mode_32 0
		.amdhsa_float_round_mode_16_64 0
		.amdhsa_float_denorm_mode_32 3
		.amdhsa_float_denorm_mode_16_64 3
		.amdhsa_dx10_clamp 1
		.amdhsa_ieee_mode 1
		.amdhsa_fp16_overflow 0
		.amdhsa_workgroup_processor_mode 1
		.amdhsa_memory_ordered 1
		.amdhsa_forward_progress 1
		.amdhsa_shared_vgpr_count 0
		.amdhsa_exception_fp_ieee_invalid_op 0
		.amdhsa_exception_fp_denorm_src 0
		.amdhsa_exception_fp_ieee_div_zero 0
		.amdhsa_exception_fp_ieee_overflow 0
		.amdhsa_exception_fp_ieee_underflow 0
		.amdhsa_exception_fp_ieee_inexact 0
		.amdhsa_exception_int_div_zero 0
	.end_amdhsa_kernel
	.section	.text._ZL8moe_q4_0IfLb0EEvPKvS1_PT_PKiS5_S5_iiiiiii,"axG",@progbits,_ZL8moe_q4_0IfLb0EEvPKvS1_PT_PKiS5_S5_iiiiiii,comdat
.Lfunc_end177:
	.size	_ZL8moe_q4_0IfLb0EEvPKvS1_PT_PKiS5_S5_iiiiiii, .Lfunc_end177-_ZL8moe_q4_0IfLb0EEvPKvS1_PT_PKiS5_S5_iiiiiii
                                        ; -- End function
	.set _ZL8moe_q4_0IfLb0EEvPKvS1_PT_PKiS5_S5_iiiiiii.num_vgpr, 111
	.set _ZL8moe_q4_0IfLb0EEvPKvS1_PT_PKiS5_S5_iiiiiii.num_agpr, 0
	.set _ZL8moe_q4_0IfLb0EEvPKvS1_PT_PKiS5_S5_iiiiiii.numbered_sgpr, 19
	.set _ZL8moe_q4_0IfLb0EEvPKvS1_PT_PKiS5_S5_iiiiiii.num_named_barrier, 0
	.set _ZL8moe_q4_0IfLb0EEvPKvS1_PT_PKiS5_S5_iiiiiii.private_seg_size, 0
	.set _ZL8moe_q4_0IfLb0EEvPKvS1_PT_PKiS5_S5_iiiiiii.uses_vcc, 1
	.set _ZL8moe_q4_0IfLb0EEvPKvS1_PT_PKiS5_S5_iiiiiii.uses_flat_scratch, 0
	.set _ZL8moe_q4_0IfLb0EEvPKvS1_PT_PKiS5_S5_iiiiiii.has_dyn_sized_stack, 0
	.set _ZL8moe_q4_0IfLb0EEvPKvS1_PT_PKiS5_S5_iiiiiii.has_recursion, 0
	.set _ZL8moe_q4_0IfLb0EEvPKvS1_PT_PKiS5_S5_iiiiiii.has_indirect_call, 0
	.section	.AMDGPU.csdata,"",@progbits
; Kernel info:
; codeLenInByte = 4176
; TotalNumSgprs: 21
; NumVgprs: 111
; ScratchSize: 0
; MemoryBound: 0
; FloatMode: 240
; IeeeMode: 1
; LDSByteSize: 22272 bytes/workgroup (compile time only)
; SGPRBlocks: 0
; VGPRBlocks: 13
; NumSGPRsForWavesPerEU: 21
; NumVGPRsForWavesPerEU: 111
; Occupancy: 9
; WaveLimiterHint : 1
; COMPUTE_PGM_RSRC2:SCRATCH_EN: 0
; COMPUTE_PGM_RSRC2:USER_SGPR: 6
; COMPUTE_PGM_RSRC2:TRAP_HANDLER: 0
; COMPUTE_PGM_RSRC2:TGID_X_EN: 1
; COMPUTE_PGM_RSRC2:TGID_Y_EN: 1
; COMPUTE_PGM_RSRC2:TGID_Z_EN: 0
; COMPUTE_PGM_RSRC2:TIDIG_COMP_CNT: 1
	.section	.text._ZL8moe_q4_0IfLb1EEvPKvS1_PT_PKiS5_S5_iiiiiii,"axG",@progbits,_ZL8moe_q4_0IfLb1EEvPKvS1_PT_PKiS5_S5_iiiiiii,comdat
	.globl	_ZL8moe_q4_0IfLb1EEvPKvS1_PT_PKiS5_S5_iiiiiii ; -- Begin function _ZL8moe_q4_0IfLb1EEvPKvS1_PT_PKiS5_S5_iiiiiii
	.p2align	8
	.type	_ZL8moe_q4_0IfLb1EEvPKvS1_PT_PKiS5_S5_iiiiiii,@function
_ZL8moe_q4_0IfLb1EEvPKvS1_PT_PKiS5_S5_iiiiiii: ; @_ZL8moe_q4_0IfLb1EEvPKvS1_PT_PKiS5_S5_iiiiiii
; %bb.0:
	s_load_dwordx4 s[0:3], s[4:5], 0x18
	s_mov_b32 s8, s7
	s_mov_b32 s9, 0
	s_lshl_b64 s[10:11], s[8:9], 2
	s_waitcnt lgkmcnt(0)
	s_add_u32 s2, s2, s10
	s_addc_u32 s3, s3, s11
	s_load_dword s7, s[2:3], 0x0
	s_waitcnt lgkmcnt(0)
	s_cmpk_gt_u32 s7, 0xff
	s_cbranch_scc1 .LBB178_30
; %bb.1:
	s_load_dwordx2 s[2:3], s[4:5], 0x28
	s_waitcnt lgkmcnt(0)
	s_load_dword s3, s[2:3], 0x0
	s_lshl_b32 s2, s8, 3
	s_waitcnt lgkmcnt(0)
	s_cmp_gt_u32 s2, s3
	s_cbranch_scc1 .LBB178_30
; %bb.2:
	v_add_nc_u32_e32 v15, s2, v1
	v_mov_b32_e32 v16, 0
	s_lshl_b32 s6, s6, 7
	v_lshlrev_b64 v[2:3], 2, v[15:16]
	v_mov_b32_e32 v44, v16
	v_mov_b32_e32 v48, v16
	;; [unrolled: 1-line block ×3, first 2 shown]
	v_add_co_u32 v2, vcc_lo, s0, v2
	v_add_co_ci_u32_e64 v3, null, s1, v3, vcc_lo
	global_load_dword v21, v[2:3], off
	s_clause 0x1
	s_load_dwordx8 s[8:15], s[4:5], 0x30
	s_load_dwordx2 s[16:17], s[4:5], 0x10
	s_waitcnt lgkmcnt(0)
	s_cmp_lt_i32 s9, 32
	s_cbranch_scc1 .LBB178_21
; %bb.3:
	s_load_dwordx4 s[0:3], s[4:5], 0x0
	s_ashr_i32 s4, s9, 31
	s_ashr_i32 s5, s12, 31
	s_lshr_b32 s4, s4, 27
	s_lshr_b32 s5, s5, 27
	s_add_i32 s4, s9, s4
	s_mul_i32 s15, s7, s8
	s_ashr_i32 s7, s4, 5
	s_add_i32 s4, s12, s5
	s_mul_i32 s5, s7, s6
	s_ashr_i32 s18, s15, 31
	s_ashr_i32 s8, s4, 5
	s_mul_hi_i32 s4, s5, 18
	s_mul_i32 s5, s5, 18
	v_add_nc_u32_e32 v2, 8, v1
	v_add_nc_u32_e32 v3, 16, v1
	;; [unrolled: 1-line block ×4, first 2 shown]
	v_lshlrev_b32_e32 v20, 2, v0
	v_add_nc_u32_e32 v9, 40, v1
	s_waitcnt lgkmcnt(0)
	s_add_u32 s0, s0, s15
	s_addc_u32 s1, s1, s18
	s_add_u32 s12, s0, s5
	s_addc_u32 s15, s1, s4
	s_abs_i32 s1, s14
	s_not_b32 s0, s6
	v_cvt_f32_u32_e32 v17, s1
	s_add_i32 s0, s10, s0
	v_add_nc_u32_e32 v10, 48, v1
	v_min_i32_e32 v4, s0, v1
	v_min_i32_e32 v5, s0, v2
	v_rcp_iflag_f32_e32 v17, v17
	v_min_i32_e32 v6, s0, v3
	v_add_nc_u32_e32 v11, 56, v1
	v_min_i32_e32 v7, s0, v7
	v_add_nc_u32_e32 v12, 64, v1
	;; [unrolled: 2-line block ×3, first 2 shown]
	s_waitcnt vmcnt(0)
	v_mad_u64_u32 v[2:3], null, 0x84, v4, v[20:21]
	v_min_i32_e32 v9, s0, v9
	v_mul_f32_e32 v17, 0x4f7ffffe, v17
	v_add_nc_u32_e32 v14, 0x50, v1
	v_mul_lo_u32 v25, v4, s7
	v_mad_u64_u32 v[3:4], null, 0x84, v5, v[20:21]
	v_min_i32_e32 v10, s0, v10
	v_add_nc_u32_e32 v15, 0x58, v1
	v_cvt_u32_f32_e32 v46, v17
	v_mul_lo_u32 v26, v5, s7
	v_mad_u64_u32 v[4:5], null, 0x84, v6, v[20:21]
	v_min_i32_e32 v11, s0, v11
	v_add_nc_u32_e32 v16, 0x60, v1
	v_mul_lo_u32 v27, v6, s7
	v_mad_u64_u32 v[5:6], null, 0x84, v7, v[20:21]
	v_min_i32_e32 v12, s0, v12
	v_add_nc_u32_e32 v18, 0x68, v1
	v_mul_lo_u32 v28, v7, s7
	v_mad_u64_u32 v[6:7], null, 0x84, v8, v[20:21]
	v_min_i32_e32 v13, s0, v13
	s_sub_i32 s4, 0, s1
	v_mul_lo_u32 v29, v8, s7
	v_mad_u64_u32 v[7:8], null, 0x84, v9, v[20:21]
	v_min_i32_e32 v14, s0, v14
	v_lshrrev_b32_e32 v38, 3, v0
	v_mul_lo_u32 v30, v9, s7
	v_mad_u64_u32 v[8:9], null, 0x84, v10, v[20:21]
	v_min_i32_e32 v15, s0, v15
	v_mul_lo_u32 v43, s4, v46
	v_mul_lo_u32 v31, v10, s7
	v_mad_u64_u32 v[9:10], null, 0x84, v11, v[20:21]
	v_min_i32_e32 v16, s0, v16
	v_mul_lo_u32 v32, v11, s7
	v_mad_u64_u32 v[10:11], null, 0x84, v12, v[20:21]
	v_min_i32_e32 v18, s0, v18
	v_add_nc_u32_e32 v19, 0x70, v1
	v_mul_lo_u32 v33, v12, s7
	v_mad_u64_u32 v[11:12], null, 0x84, v13, v[20:21]
	v_add_nc_u32_e32 v41, 0x78, v1
	v_mul_lo_u32 v34, v13, s7
	v_mad_u64_u32 v[12:13], null, 0x84, v14, v[20:21]
	v_lshl_add_u32 v44, v1, 2, v38
	v_mul_lo_u32 v35, v14, s7
	v_mad_u64_u32 v[13:14], null, 0x84, v15, v[20:21]
	v_mul_lo_u32 v36, v15, s7
	v_mad_u64_u32 v[14:15], null, 0x84, v16, v[20:21]
	v_mul_lo_u32 v37, v16, s7
	v_min_i32_e32 v19, s0, v19
	v_mad_u64_u32 v[15:16], null, 0x84, v18, v[20:21]
	v_min_i32_e32 v16, s0, v41
	v_mul_hi_u32 v48, v46, v43
	v_add_nc_u32_e32 v47, 32, v44
	v_sub_nc_u32_e32 v49, 0, v21
	v_mul_lo_u32 v39, v18, s7
	v_mad_u64_u32 v[17:18], null, 0x84, v19, v[20:21]
	v_mul_lo_u32 v40, v19, s7
	v_mad_u64_u32 v[18:19], null, 0x84, v16, v[20:21]
	v_min_i32_e32 v19, s0, v47
	v_add_nc_u32_e32 v47, 64, v44
	v_max_i32_e32 v49, v21, v49
	v_add_nc_u32_e32 v46, v46, v48
	v_min_i32_e32 v45, s0, v44
	v_ashrrev_i32_e32 v50, 31, v19
	v_min_i32_e32 v47, s0, v47
	v_add_nc_u32_e32 v44, 0x60, v44
	v_mul_hi_u32 v52, v49, v46
	v_ashrrev_i32_e32 v42, 31, v45
	v_lshrrev_b32_e32 v48, 30, v50
	v_ashrrev_i32_e32 v50, 31, v47
	v_min_i32_e32 v44, s0, v44
	v_mul_lo_u32 v41, v16, s7
	v_lshrrev_b32_e32 v16, 30, v42
	v_add_nc_u32_e32 v46, v19, v48
	v_lshrrev_b32_e32 v48, 30, v50
	v_mul_lo_u32 v50, v52, s1
	v_ashrrev_i32_e32 v53, 31, v44
	v_add_nc_u32_e32 v16, v45, v16
	v_mul_lo_u32 v43, v45, s7
	v_lshlrev_b32_e32 v65, 5, v45
	v_mul_lo_u32 v45, v19, s7
	v_lshlrev_b32_e32 v67, 5, v19
	v_lshrrev_b32_e32 v19, 30, v53
	v_sub_nc_u32_e32 v49, v49, v50
	v_add_nc_u32_e32 v50, 1, v52
	v_and_b32_e32 v42, 7, v0
	v_add_nc_u32_e32 v48, v47, v48
	v_add_nc_u32_e32 v19, v44, v19
	v_subrev_nc_u32_e32 v53, s1, v49
	v_cmp_le_u32_e32 vcc_lo, s1, v49
	v_lshlrev_b32_e32 v51, 2, v42
	v_and_b32_e32 v16, -4, v16
	v_and_b32_e32 v19, -4, v19
	;; [unrolled: 1-line block ×3, first 2 shown]
	v_cndmask_b32_e32 v50, v52, v50, vcc_lo
	v_cndmask_b32_e32 v49, v49, v53, vcc_lo
	v_xor_b32_e32 v52, s14, v21
	v_add3_u32 v69, v19, v51, 0x4200
	v_and_b32_e32 v19, 31, v0
	v_add_nc_u32_e32 v53, 1, v50
	v_cmp_le_u32_e32 vcc_lo, s1, v49
	v_ashrrev_i32_e32 v52, 31, v52
	v_lshl_add_u32 v49, v1, 7, 0x5280
	v_and_b32_e32 v48, -4, v48
	v_lshl_add_u32 v1, v1, 4, 0x5680
	v_cndmask_b32_e32 v50, v50, v53, vcc_lo
	v_add_nc_u32_e32 v56, 64, v0
	v_add_nc_u32_e32 v57, 0x60, v0
	v_and_b32_e32 v24, 12, v20
	v_add3_u32 v16, v16, v51, 0x4200
	v_xor_b32_e32 v53, v50, v52
	v_lshl_or_b32 v50, v19, 2, v49
	v_add_nc_u32_e32 v19, 32, v0
	v_add3_u32 v66, v46, v51, 0x4200
	v_add3_u32 v48, v48, v51, 0x4200
	v_and_b32_e32 v55, 28, v20
	v_add_nc_u32_e32 v51, v1, v20
	v_sub_nc_u32_e32 v20, v53, v52
	v_lshlrev_b32_e32 v58, 5, v0
	v_and_b32_e32 v57, 0x1fc, v57
	v_and_b32_e32 v56, 0x1fc, v56
	;; [unrolled: 1-line block ×4, first 2 shown]
	v_mul_lo_u32 v54, v20, s8
	v_mul_lo_u32 v46, v47, s7
	v_lshlrev_b32_e32 v68, 5, v47
	v_mul_lo_u32 v47, v44, s7
	v_lshlrev_b32_e32 v44, 5, v44
	v_add_nc_u32_e32 v61, v58, v57
	v_add_nc_u32_e32 v62, v58, v56
	;; [unrolled: 1-line block ×4, first 2 shown]
	v_cmp_gt_u32_e32 vcc_lo, 4, v0
	v_lshrrev_b32_e32 v53, 3, v19
	v_cmp_gt_i32_e64 s0, s11, v20
	v_add_co_u32 v19, s1, s2, v55
	v_lshrrev_b32_e32 v23, 2, v0
	v_mov_b32_e32 v22, 0
	v_mul_u32_u24_e32 v52, 0x84, v0
	v_add_co_ci_u32_e64 v20, null, s3, 0, s1
	v_ashrrev_i32_e32 v55, 31, v54
	v_add_nc_u32_e32 v56, 0x4e00, v61
	v_add_nc_u32_e32 v57, 0x4a00, v62
	;; [unrolled: 1-line block ×4, first 2 shown]
	v_mad_u32_u24 v60, 0x84, v0, 64
	v_add_nc_u32_e32 v61, 0x4e10, v61
	v_add_nc_u32_e32 v62, 0x4a10, v62
	;; [unrolled: 1-line block ×8, first 2 shown]
	v_mov_b32_e32 v48, 0
	v_mov_b32_e32 v44, 0
	;; [unrolled: 1-line block ×3, first 2 shown]
	s_mov_b32 s10, 0
	s_and_b32 s18, vcc_lo, s0
	s_branch .LBB178_5
.LBB178_4:                              ;   in Loop: Header=BB178_5 Depth=1
	s_add_i32 s10, s10, 8
	s_cmp_ge_i32 s10, s7
	s_cbranch_scc1 .LBB178_21
.LBB178_5:                              ; =>This Loop Header: Depth=1
                                        ;     Child Loop BB178_11 Depth 2
                                        ;     Child Loop BB178_19 Depth 2
	s_mul_i32 s1, s10, 18
	s_mul_hi_u32 s5, s10, 18
	s_add_u32 s4, s12, s1
	s_addc_u32 s5, s15, s5
	v_mad_u64_u32 v[69:70], null, v23, 18, s[4:5]
	v_mad_i64_i32 v[71:72], null, v25, 18, v[69:70]
	v_mad_i64_i32 v[73:74], null, v26, 18, v[69:70]
	;; [unrolled: 1-line block ×4, first 2 shown]
	v_add_co_u32 v71, s1, v71, v24
	v_mad_i64_i32 v[79:80], null, v29, 18, v[69:70]
	v_add_co_ci_u32_e64 v72, null, 0, v72, s1
	v_add_co_u32 v73, s1, v73, v24
	v_mad_i64_i32 v[81:82], null, v30, 18, v[69:70]
	v_add_co_ci_u32_e64 v74, null, 0, v74, s1
	;; [unrolled: 3-line block ×4, first 2 shown]
	v_add_co_u32 v79, s1, v79, v24
	v_add_co_ci_u32_e64 v80, null, 0, v80, s1
	v_add_co_u32 v81, s1, v81, v24
	v_add_co_ci_u32_e64 v82, null, 0, v82, s1
	;; [unrolled: 2-line block ×3, first 2 shown]
	v_add_co_u32 v85, s1, v85, v24
	v_mad_i64_i32 v[87:88], null, v33, 18, v[69:70]
	v_add_co_ci_u32_e64 v86, null, 0, v86, s1
	s_clause 0x7
	global_load_dword v93, v[71:72], off offset:2
	global_load_dword v94, v[73:74], off offset:2
	;; [unrolled: 1-line block ×8, first 2 shown]
	v_mad_i64_i32 v[71:72], null, v34, 18, v[69:70]
	v_mad_i64_i32 v[75:76], null, v35, 18, v[69:70]
	v_mad_u64_u32 v[83:84], null, v42, 18, s[4:5]
	v_mad_i64_i32 v[77:78], null, v36, 18, v[69:70]
	v_add_co_u32 v73, s1, v87, v24
	v_mad_i64_i32 v[79:80], null, v37, 18, v[69:70]
	v_add_co_ci_u32_e64 v74, null, 0, v88, s1
	v_add_co_u32 v71, s1, v71, v24
	v_mad_i64_i32 v[81:82], null, v39, 18, v[69:70]
	v_add_co_ci_u32_e64 v72, null, 0, v72, s1
	v_add_co_u32 v75, s1, v75, v24
	v_mad_i64_i32 v[85:86], null, v43, 18, v[83:84]
	v_mad_i64_i32 v[91:92], null, v40, 18, v[69:70]
	;; [unrolled: 1-line block ×3, first 2 shown]
	v_add_co_ci_u32_e64 v76, null, 0, v76, s1
	v_add_co_u32 v77, s1, v77, v24
	v_mad_i64_i32 v[89:90], null, v46, 18, v[83:84]
	v_mad_i64_i32 v[69:70], null, v41, 18, v[69:70]
	;; [unrolled: 1-line block ×3, first 2 shown]
	v_add_co_ci_u32_e64 v78, null, 0, v78, s1
	v_add_co_u32 v79, s1, v79, v24
	v_add_co_ci_u32_e64 v80, null, 0, v80, s1
	v_add_co_u32 v81, s1, v81, v24
	v_add_co_ci_u32_e64 v82, null, 0, v82, s1
	s_clause 0x3
	global_load_ushort v85, v[85:86], off
	global_load_ushort v86, v[87:88], off
	;; [unrolled: 1-line block ×4, first 2 shown]
	v_add_co_u32 v83, s1, v91, v24
	v_add_co_ci_u32_e64 v84, null, 0, v92, s1
	v_add_co_u32 v69, s1, v69, v24
	v_add_co_ci_u32_e64 v70, null, 0, v70, s1
	s_clause 0x7
	global_load_dword v73, v[73:74], off offset:2
	global_load_dword v71, v[71:72], off offset:2
	;; [unrolled: 1-line block ×8, first 2 shown]
	s_lshl_b32 s4, s10, 5
	s_cmp_lt_i32 s4, s9
	s_waitcnt vmcnt(11)
	v_cvt_f32_f16_e32 v70, v85
	s_waitcnt vmcnt(10)
	v_cvt_f32_f16_e32 v78, v86
	;; [unrolled: 2-line block ×4, first 2 shown]
	ds_write_b32 v2, v93
	ds_write_b32 v3, v94
	;; [unrolled: 1-line block ×8, first 2 shown]
	s_waitcnt vmcnt(7)
	ds_write_b32 v10, v73
	s_waitcnt vmcnt(6)
	ds_write_b32 v11, v71
	;; [unrolled: 2-line block ×8, first 2 shown]
	ds_write_b32 v65, v70
	ds_write_b32 v66, v78
	;; [unrolled: 1-line block ×4, first 2 shown]
	s_cbranch_scc0 .LBB178_4
; %bb.6:                                ;   in Loop: Header=BB178_5 Depth=1
	v_add_nc_u32_e32 v69, s10, v38
	v_cmp_gt_i32_e64 s1, s8, v69
	s_and_b32 s5, s0, s1
	s_and_saveexec_b32 s1, s5
	s_cbranch_execz .LBB178_8
; %bb.7:                                ;   in Loop: Header=BB178_5 Depth=1
	v_add_nc_u32_e32 v69, v54, v69
	v_mad_i64_i32 v[69:70], null, v69, 36, v[19:20]
	global_load_dword v69, v[69:70], off offset:4
	s_waitcnt vmcnt(0)
	ds_write_b32 v50, v69
.LBB178_8:                              ;   in Loop: Header=BB178_5 Depth=1
	s_or_b32 exec_lo, exec_lo, s1
	v_add_nc_u32_e32 v69, s10, v0
	v_cmp_gt_i32_e64 s1, s8, v69
	s_and_b32 s5, s18, s1
	s_and_saveexec_b32 s1, s5
	s_cbranch_execz .LBB178_10
; %bb.9:                                ;   in Loop: Header=BB178_5 Depth=1
	v_add_nc_u32_e32 v70, v54, v69
	v_mad_i64_i32 v[70:71], null, v70, 36, s[2:3]
	global_load_dword v70, v[70:71], off
	s_waitcnt vmcnt(0)
	ds_write_b32 v51, v70
.LBB178_10:                             ;   in Loop: Header=BB178_5 Depth=1
	s_or_b32 exec_lo, exec_lo, s1
	v_mov_b32_e32 v70, v49
	v_mov_b32_e32 v71, v1
	;; [unrolled: 1-line block ×7, first 2 shown]
	s_mov_b32 s1, -4
	s_waitcnt lgkmcnt(0)
	s_barrier
	buffer_gl0_inv
.LBB178_11:                             ;   Parent Loop BB178_5 Depth=1
                                        ; =>  This Inner Loop Header: Depth=2
	v_add_nc_u32_e32 v89, 0x1080, v76
	v_add_nc_u32_e32 v91, 0x1088, v76
	;; [unrolled: 1-line block ×3, first 2 shown]
	ds_read_b128 v[77:80], v70
	ds_read_b128 v[81:84], v70 offset:16
	ds_read2_b32 v[85:86], v76 offset0:2 offset1:3
	v_add_nc_u32_e32 v95, 0x2108, v76
	ds_read_b32 v104, v71
	ds_read2_b32 v[87:88], v76 offset1:1
	ds_read_b32 v105, v72
	ds_read_b32 v106, v73
	;; [unrolled: 1-line block ×4, first 2 shown]
	v_add_nc_u32_e32 v97, 0x3180, v76
	v_add_nc_u32_e32 v99, 0x3188, v76
	ds_read2_b32 v[89:90], v89 offset1:1
	ds_read2_b32 v[91:92], v91 offset1:1
	;; [unrolled: 1-line block ×6, first 2 shown]
	v_mov_b32_e32 v101, 0
	v_mov_b32_e32 v102, 0
	;; [unrolled: 1-line block ×4, first 2 shown]
	v_add_nc_u32_e32 v76, 16, v76
	v_add_nc_u32_e32 v75, 4, v75
	;; [unrolled: 1-line block ×7, first 2 shown]
	s_add_i32 s1, s1, 4
	s_waitcnt lgkmcnt(10)
	v_and_b32_e32 v110, 0xf0f0f0f, v87
	v_lshrrev_b32_e32 v87, 4, v87
	s_waitcnt lgkmcnt(5)
	v_and_b32_e32 v114, 0xf0f0f0f, v90
	v_lshrrev_b32_e32 v90, 4, v90
	s_waitcnt lgkmcnt(4)
	v_and_b32_e32 v115, 0xf0f0f0f, v91
	v_dot4c_i32_i8 v101, v110, v77
	v_and_b32_e32 v87, 0xf0f0f0f, v87
	v_and_b32_e32 v110, 0xf0f0f0f, v89
	v_lshrrev_b32_e32 v89, 4, v89
	v_lshrrev_b32_e32 v91, 4, v91
	s_waitcnt lgkmcnt(3)
	v_and_b32_e32 v117, 0xf0f0f0f, v93
	v_lshrrev_b32_e32 v93, 4, v93
	s_waitcnt lgkmcnt(1)
	v_and_b32_e32 v121, 0xf0f0f0f, v97
	v_lshrrev_b32_e32 v97, 4, v97
	v_dot4c_i32_i8 v101, v87, v81
	v_and_b32_e32 v87, 0xf0f0f0f, v89
	v_dot4c_i32_i8 v102, v110, v77
	v_and_b32_e32 v89, 0xf0f0f0f, v90
	v_and_b32_e32 v90, 0xf0f0f0f, v91
	;; [unrolled: 1-line block ×3, first 2 shown]
	v_dot4c_i32_i8 v103, v117, v77
	v_and_b32_e32 v93, 0xf0f0f0f, v97
	v_dot4c_i32_i8 v109, v121, v77
	v_and_b32_e32 v111, 0xf0f0f0f, v88
	v_lshrrev_b32_e32 v88, 4, v88
	v_and_b32_e32 v116, 0xf0f0f0f, v92
	v_lshrrev_b32_e32 v92, 4, v92
	;; [unrolled: 2-line block ×4, first 2 shown]
	v_dot4c_i32_i8 v102, v87, v81
	v_dot4c_i32_i8 v103, v91, v81
	;; [unrolled: 1-line block ×3, first 2 shown]
	v_and_b32_e32 v88, 0xf0f0f0f, v88
	v_and_b32_e32 v77, 0xf0f0f0f, v92
	;; [unrolled: 1-line block ×4, first 2 shown]
	v_dot4c_i32_i8 v101, v111, v78
	v_dot4c_i32_i8 v102, v114, v78
	;; [unrolled: 1-line block ×4, first 2 shown]
	v_and_b32_e32 v112, 0xf0f0f0f, v85
	v_lshrrev_b32_e32 v85, 4, v85
	v_and_b32_e32 v119, 0xf0f0f0f, v95
	v_lshrrev_b32_e32 v95, 4, v95
	s_waitcnt lgkmcnt(0)
	v_and_b32_e32 v123, 0xf0f0f0f, v99
	v_lshrrev_b32_e32 v99, 4, v99
	v_dot4c_i32_i8 v101, v88, v82
	v_dot4c_i32_i8 v102, v89, v82
	v_dot4c_i32_i8 v103, v92, v82
	v_dot4c_i32_i8 v109, v81, v82
	v_and_b32_e32 v85, 0xf0f0f0f, v85
	v_and_b32_e32 v78, 0xf0f0f0f, v95
	;; [unrolled: 1-line block ×3, first 2 shown]
	v_dot4c_i32_i8 v101, v112, v79
	v_dot4c_i32_i8 v102, v115, v79
	;; [unrolled: 1-line block ×4, first 2 shown]
	v_and_b32_e32 v113, 0xf0f0f0f, v86
	v_lshrrev_b32_e32 v86, 4, v86
	v_and_b32_e32 v120, 0xf0f0f0f, v96
	v_lshrrev_b32_e32 v96, 4, v96
	v_and_b32_e32 v124, 0xf0f0f0f, v100
	v_lshrrev_b32_e32 v100, 4, v100
	v_dot4c_i32_i8 v101, v85, v83
	v_dot4c_i32_i8 v102, v90, v83
	v_dot4c_i32_i8 v103, v78, v83
	v_dot4c_i32_i8 v109, v81, v83
	v_and_b32_e32 v86, 0xf0f0f0f, v86
	v_and_b32_e32 v79, 0xf0f0f0f, v96
	;; [unrolled: 1-line block ×3, first 2 shown]
	v_dot4c_i32_i8 v101, v113, v80
	v_dot4c_i32_i8 v102, v116, v80
	;; [unrolled: 1-line block ×4, first 2 shown]
	v_cvt_f32_f16_sdwa v80, v104 dst_sel:DWORD dst_unused:UNUSED_PAD src0_sel:WORD_1
	v_dot4c_i32_i8 v101, v86, v84
	v_dot4c_i32_i8 v102, v77, v84
	;; [unrolled: 1-line block ×4, first 2 shown]
	v_mul_f32_e32 v77, 0xc1000000, v80
	v_cvt_f32_i32_e32 v78, v101
	v_cvt_f32_i32_e32 v79, v102
	v_cvt_f32_i32_e32 v80, v103
	v_cvt_f32_i32_e32 v81, v109
	s_cmp_lt_u32 s1, 12
	v_fma_mix_f32 v78, v104, v78, v77 op_sel_hi:[1,0,0]
	v_fma_mix_f32 v79, v104, v79, v77 op_sel_hi:[1,0,0]
	;; [unrolled: 1-line block ×4, first 2 shown]
	v_fmac_f32_e32 v22, v105, v78
	v_fmac_f32_e32 v48, v106, v79
	v_fmac_f32_e32 v44, v107, v80
	v_fmac_f32_e32 v16, v108, v77
	s_cbranch_scc1 .LBB178_11
; %bb.12:                               ;   in Loop: Header=BB178_5 Depth=1
	s_bitset1_b32 s4, 7
	s_cmp_ge_i32 s4, s9
	s_barrier
	buffer_gl0_inv
	s_cbranch_scc1 .LBB178_4
; %bb.13:                               ;   in Loop: Header=BB178_5 Depth=1
	v_add_nc_u32_e32 v70, s10, v53
	v_cmp_gt_i32_e64 s1, s8, v70
	s_and_b32 s4, s0, s1
	s_and_saveexec_b32 s1, s4
	s_cbranch_execz .LBB178_15
; %bb.14:                               ;   in Loop: Header=BB178_5 Depth=1
	v_add_nc_u32_e32 v70, v54, v70
	v_mad_i64_i32 v[70:71], null, v70, 36, v[19:20]
	global_load_dword v70, v[70:71], off offset:4
	s_waitcnt vmcnt(0)
	ds_write_b32 v50, v70
.LBB178_15:                             ;   in Loop: Header=BB178_5 Depth=1
	s_or_b32 exec_lo, exec_lo, s1
	s_and_saveexec_b32 s4, vcc_lo
	s_cbranch_execz .LBB178_18
; %bb.16:                               ;   in Loop: Header=BB178_5 Depth=1
	v_or_b32_e32 v70, 4, v69
	v_cmp_gt_i32_e64 s1, s8, v70
	s_and_b32 s1, s0, s1
	s_and_b32 exec_lo, exec_lo, s1
	s_cbranch_execz .LBB178_18
; %bb.17:                               ;   in Loop: Header=BB178_5 Depth=1
	v_ashrrev_i32_e32 v70, 31, v69
	v_add_co_u32 v69, s1, v54, v69
	v_add_co_ci_u32_e64 v71, null, v55, v70, s1
	v_mad_u64_u32 v[69:70], null, v69, 36, s[2:3]
	v_mad_i32_i24 v70, v71, 36, v70
	global_load_dword v69, v[69:70], off offset:144
	s_waitcnt vmcnt(0)
	ds_write_b32 v51, v69
.LBB178_18:                             ;   in Loop: Header=BB178_5 Depth=1
	s_or_b32 exec_lo, exec_lo, s4
	v_mov_b32_e32 v69, v1
	v_mov_b32_e32 v70, v49
	;; [unrolled: 1-line block ×7, first 2 shown]
	s_mov_b32 s1, 12
	s_waitcnt lgkmcnt(0)
	s_barrier
	buffer_gl0_inv
.LBB178_19:                             ;   Parent Loop BB178_5 Depth=1
                                        ; =>  This Inner Loop Header: Depth=2
	v_add_nc_u32_e32 v88, 0x1080, v75
	v_add_nc_u32_e32 v90, 0x1088, v75
	;; [unrolled: 1-line block ×3, first 2 shown]
	ds_read_b128 v[76:79], v70
	ds_read_b128 v[80:83], v70 offset:16
	ds_read_b32 v100, v69
	ds_read2_b32 v[84:85], v75 offset0:2 offset1:3
	v_add_nc_u32_e32 v94, 0x2108, v75
	ds_read2_b32 v[86:87], v75 offset1:1
	ds_read_b32 v104, v71
	ds_read_b32 v105, v72
	;; [unrolled: 1-line block ×4, first 2 shown]
	v_add_nc_u32_e32 v96, 0x3180, v75
	v_add_nc_u32_e32 v98, 0x3188, v75
	ds_read2_b32 v[88:89], v88 offset1:1
	ds_read2_b32 v[90:91], v90 offset1:1
	;; [unrolled: 1-line block ×6, first 2 shown]
	v_mov_b32_e32 v101, 0
	v_mov_b32_e32 v102, 0
	;; [unrolled: 1-line block ×4, first 2 shown]
	v_add_nc_u32_e32 v75, 16, v75
	v_add_nc_u32_e32 v74, 4, v74
	;; [unrolled: 1-line block ×7, first 2 shown]
	s_add_i32 s1, s1, 4
	s_waitcnt lgkmcnt(10)
	v_and_b32_e32 v109, 0xf0f0f0f, v86
	v_lshrrev_b32_e32 v86, 4, v86
	s_waitcnt lgkmcnt(5)
	v_and_b32_e32 v113, 0xf0f0f0f, v89
	v_lshrrev_b32_e32 v89, 4, v89
	s_waitcnt lgkmcnt(4)
	v_and_b32_e32 v114, 0xf0f0f0f, v90
	v_dot4c_i32_i8 v101, v109, v76
	v_and_b32_e32 v86, 0xf0f0f0f, v86
	v_and_b32_e32 v109, 0xf0f0f0f, v88
	v_lshrrev_b32_e32 v88, 4, v88
	v_lshrrev_b32_e32 v90, 4, v90
	s_waitcnt lgkmcnt(3)
	v_and_b32_e32 v116, 0xf0f0f0f, v92
	v_lshrrev_b32_e32 v92, 4, v92
	s_waitcnt lgkmcnt(1)
	v_and_b32_e32 v120, 0xf0f0f0f, v96
	v_lshrrev_b32_e32 v96, 4, v96
	v_dot4c_i32_i8 v101, v86, v80
	v_and_b32_e32 v86, 0xf0f0f0f, v88
	v_dot4c_i32_i8 v102, v109, v76
	v_and_b32_e32 v88, 0xf0f0f0f, v89
	v_and_b32_e32 v89, 0xf0f0f0f, v90
	;; [unrolled: 1-line block ×3, first 2 shown]
	v_dot4c_i32_i8 v103, v116, v76
	v_and_b32_e32 v92, 0xf0f0f0f, v96
	v_dot4c_i32_i8 v108, v120, v76
	v_and_b32_e32 v110, 0xf0f0f0f, v87
	v_lshrrev_b32_e32 v87, 4, v87
	v_and_b32_e32 v115, 0xf0f0f0f, v91
	v_lshrrev_b32_e32 v91, 4, v91
	;; [unrolled: 2-line block ×4, first 2 shown]
	v_dot4c_i32_i8 v102, v86, v80
	v_dot4c_i32_i8 v103, v90, v80
	;; [unrolled: 1-line block ×3, first 2 shown]
	v_and_b32_e32 v87, 0xf0f0f0f, v87
	v_and_b32_e32 v76, 0xf0f0f0f, v91
	;; [unrolled: 1-line block ×4, first 2 shown]
	v_dot4c_i32_i8 v101, v110, v77
	v_dot4c_i32_i8 v102, v113, v77
	;; [unrolled: 1-line block ×4, first 2 shown]
	v_and_b32_e32 v111, 0xf0f0f0f, v84
	v_lshrrev_b32_e32 v84, 4, v84
	v_and_b32_e32 v118, 0xf0f0f0f, v94
	v_lshrrev_b32_e32 v94, 4, v94
	s_waitcnt lgkmcnt(0)
	v_and_b32_e32 v122, 0xf0f0f0f, v98
	v_lshrrev_b32_e32 v98, 4, v98
	v_dot4c_i32_i8 v101, v87, v81
	v_dot4c_i32_i8 v102, v88, v81
	v_dot4c_i32_i8 v103, v91, v81
	v_dot4c_i32_i8 v108, v80, v81
	v_and_b32_e32 v84, 0xf0f0f0f, v84
	v_and_b32_e32 v77, 0xf0f0f0f, v94
	;; [unrolled: 1-line block ×3, first 2 shown]
	v_dot4c_i32_i8 v101, v111, v78
	v_dot4c_i32_i8 v102, v114, v78
	;; [unrolled: 1-line block ×4, first 2 shown]
	v_and_b32_e32 v112, 0xf0f0f0f, v85
	v_lshrrev_b32_e32 v85, 4, v85
	v_and_b32_e32 v119, 0xf0f0f0f, v95
	v_lshrrev_b32_e32 v95, 4, v95
	;; [unrolled: 2-line block ×3, first 2 shown]
	v_dot4c_i32_i8 v101, v84, v82
	v_dot4c_i32_i8 v102, v89, v82
	;; [unrolled: 1-line block ×4, first 2 shown]
	v_and_b32_e32 v85, 0xf0f0f0f, v85
	v_and_b32_e32 v78, 0xf0f0f0f, v95
	;; [unrolled: 1-line block ×3, first 2 shown]
	v_dot4c_i32_i8 v101, v112, v79
	v_dot4c_i32_i8 v102, v115, v79
	v_dot4c_i32_i8 v103, v119, v79
	v_dot4c_i32_i8 v108, v123, v79
	v_cvt_f32_f16_sdwa v79, v100 dst_sel:DWORD dst_unused:UNUSED_PAD src0_sel:WORD_1
	v_dot4c_i32_i8 v101, v85, v83
	v_dot4c_i32_i8 v102, v76, v83
	;; [unrolled: 1-line block ×4, first 2 shown]
	v_mul_f32_e32 v76, 0xc1000000, v79
	v_cvt_f32_i32_e32 v77, v101
	v_cvt_f32_i32_e32 v78, v102
	;; [unrolled: 1-line block ×4, first 2 shown]
	s_cmp_lt_u32 s1, 28
	v_fma_mix_f32 v77, v100, v77, v76 op_sel_hi:[1,0,0]
	v_fma_mix_f32 v78, v100, v78, v76 op_sel_hi:[1,0,0]
	;; [unrolled: 1-line block ×4, first 2 shown]
	v_fmac_f32_e32 v22, v104, v77
	v_fmac_f32_e32 v48, v105, v78
	;; [unrolled: 1-line block ×4, first 2 shown]
	s_cbranch_scc1 .LBB178_19
; %bb.20:                               ;   in Loop: Header=BB178_5 Depth=1
	s_barrier
	buffer_gl0_inv
	s_branch .LBB178_4
.LBB178_21:
	s_mul_i32 s0, s14, s11
	s_waitcnt vmcnt(0)
	v_cmp_gt_i32_e32 vcc_lo, s0, v21
	s_and_saveexec_b32 s0, vcc_lo
	s_cbranch_execz .LBB178_30
; %bb.22:
	v_add_nc_u32_e32 v1, s6, v0
	v_mul_lo_u32 v0, v21, s13
	s_mov_b32 s0, exec_lo
	v_cmpx_gt_u32_e64 s13, v1
	s_cbranch_execz .LBB178_24
; %bb.23:
	v_add_nc_u32_e32 v2, v0, v1
	v_mov_b32_e32 v3, 0
	v_lshlrev_b64 v[2:3], 2, v[2:3]
	v_add_co_u32 v2, vcc_lo, s16, v2
	v_add_co_ci_u32_e64 v3, null, s17, v3, vcc_lo
	global_store_dword v[2:3], v22, off
.LBB178_24:
	s_or_b32 exec_lo, exec_lo, s0
	v_add_nc_u32_e32 v2, 32, v1
	s_mov_b32 s0, exec_lo
	v_cmpx_gt_u32_e64 s13, v2
	s_cbranch_execz .LBB178_26
; %bb.25:
	v_add_nc_u32_e32 v2, v0, v2
	v_mov_b32_e32 v3, 0
	v_lshlrev_b64 v[2:3], 2, v[2:3]
	v_add_co_u32 v2, vcc_lo, s16, v2
	v_add_co_ci_u32_e64 v3, null, s17, v3, vcc_lo
	global_store_dword v[2:3], v48, off
.LBB178_26:
	s_or_b32 exec_lo, exec_lo, s0
	v_add_nc_u32_e32 v2, 64, v1
	;; [unrolled: 13-line block ×3, first 2 shown]
	v_cmp_gt_u32_e32 vcc_lo, s13, v1
	s_and_b32 exec_lo, exec_lo, vcc_lo
	s_cbranch_execz .LBB178_30
; %bb.29:
	v_add_nc_u32_e32 v0, v0, v1
	v_mov_b32_e32 v1, 0
	v_lshlrev_b64 v[0:1], 2, v[0:1]
	v_add_co_u32 v0, vcc_lo, s16, v0
	v_add_co_ci_u32_e64 v1, null, s17, v1, vcc_lo
	global_store_dword v[0:1], v16, off
.LBB178_30:
	s_endpgm
	.section	.rodata,"a",@progbits
	.p2align	6, 0x0
	.amdhsa_kernel _ZL8moe_q4_0IfLb1EEvPKvS1_PT_PKiS5_S5_iiiiiii
		.amdhsa_group_segment_fixed_size 22272
		.amdhsa_private_segment_fixed_size 0
		.amdhsa_kernarg_size 76
		.amdhsa_user_sgpr_count 6
		.amdhsa_user_sgpr_private_segment_buffer 1
		.amdhsa_user_sgpr_dispatch_ptr 0
		.amdhsa_user_sgpr_queue_ptr 0
		.amdhsa_user_sgpr_kernarg_segment_ptr 1
		.amdhsa_user_sgpr_dispatch_id 0
		.amdhsa_user_sgpr_flat_scratch_init 0
		.amdhsa_user_sgpr_private_segment_size 0
		.amdhsa_wavefront_size32 1
		.amdhsa_uses_dynamic_stack 0
		.amdhsa_system_sgpr_private_segment_wavefront_offset 0
		.amdhsa_system_sgpr_workgroup_id_x 1
		.amdhsa_system_sgpr_workgroup_id_y 1
		.amdhsa_system_sgpr_workgroup_id_z 0
		.amdhsa_system_sgpr_workgroup_info 0
		.amdhsa_system_vgpr_workitem_id 1
		.amdhsa_next_free_vgpr 125
		.amdhsa_next_free_sgpr 19
		.amdhsa_reserve_vcc 1
		.amdhsa_reserve_flat_scratch 0
		.amdhsa_float_round_mode_32 0
		.amdhsa_float_round_mode_16_64 0
		.amdhsa_float_denorm_mode_32 3
		.amdhsa_float_denorm_mode_16_64 3
		.amdhsa_dx10_clamp 1
		.amdhsa_ieee_mode 1
		.amdhsa_fp16_overflow 0
		.amdhsa_workgroup_processor_mode 1
		.amdhsa_memory_ordered 1
		.amdhsa_forward_progress 1
		.amdhsa_shared_vgpr_count 0
		.amdhsa_exception_fp_ieee_invalid_op 0
		.amdhsa_exception_fp_denorm_src 0
		.amdhsa_exception_fp_ieee_div_zero 0
		.amdhsa_exception_fp_ieee_overflow 0
		.amdhsa_exception_fp_ieee_underflow 0
		.amdhsa_exception_fp_ieee_inexact 0
		.amdhsa_exception_int_div_zero 0
	.end_amdhsa_kernel
	.section	.text._ZL8moe_q4_0IfLb1EEvPKvS1_PT_PKiS5_S5_iiiiiii,"axG",@progbits,_ZL8moe_q4_0IfLb1EEvPKvS1_PT_PKiS5_S5_iiiiiii,comdat
.Lfunc_end178:
	.size	_ZL8moe_q4_0IfLb1EEvPKvS1_PT_PKiS5_S5_iiiiiii, .Lfunc_end178-_ZL8moe_q4_0IfLb1EEvPKvS1_PT_PKiS5_S5_iiiiiii
                                        ; -- End function
	.set _ZL8moe_q4_0IfLb1EEvPKvS1_PT_PKiS5_S5_iiiiiii.num_vgpr, 125
	.set _ZL8moe_q4_0IfLb1EEvPKvS1_PT_PKiS5_S5_iiiiiii.num_agpr, 0
	.set _ZL8moe_q4_0IfLb1EEvPKvS1_PT_PKiS5_S5_iiiiiii.numbered_sgpr, 19
	.set _ZL8moe_q4_0IfLb1EEvPKvS1_PT_PKiS5_S5_iiiiiii.num_named_barrier, 0
	.set _ZL8moe_q4_0IfLb1EEvPKvS1_PT_PKiS5_S5_iiiiiii.private_seg_size, 0
	.set _ZL8moe_q4_0IfLb1EEvPKvS1_PT_PKiS5_S5_iiiiiii.uses_vcc, 1
	.set _ZL8moe_q4_0IfLb1EEvPKvS1_PT_PKiS5_S5_iiiiiii.uses_flat_scratch, 0
	.set _ZL8moe_q4_0IfLb1EEvPKvS1_PT_PKiS5_S5_iiiiiii.has_dyn_sized_stack, 0
	.set _ZL8moe_q4_0IfLb1EEvPKvS1_PT_PKiS5_S5_iiiiiii.has_recursion, 0
	.set _ZL8moe_q4_0IfLb1EEvPKvS1_PT_PKiS5_S5_iiiiiii.has_indirect_call, 0
	.section	.AMDGPU.csdata,"",@progbits
; Kernel info:
; codeLenInByte = 4484
; TotalNumSgprs: 21
; NumVgprs: 125
; ScratchSize: 0
; MemoryBound: 0
; FloatMode: 240
; IeeeMode: 1
; LDSByteSize: 22272 bytes/workgroup (compile time only)
; SGPRBlocks: 0
; VGPRBlocks: 15
; NumSGPRsForWavesPerEU: 21
; NumVGPRsForWavesPerEU: 125
; Occupancy: 8
; WaveLimiterHint : 1
; COMPUTE_PGM_RSRC2:SCRATCH_EN: 0
; COMPUTE_PGM_RSRC2:USER_SGPR: 6
; COMPUTE_PGM_RSRC2:TRAP_HANDLER: 0
; COMPUTE_PGM_RSRC2:TGID_X_EN: 1
; COMPUTE_PGM_RSRC2:TGID_Y_EN: 1
; COMPUTE_PGM_RSRC2:TGID_Z_EN: 0
; COMPUTE_PGM_RSRC2:TIDIG_COMP_CNT: 1
	.section	.text._ZL8moe_q4_1IfLb0EEvPKvS1_PT_PKiS5_S5_iiiiiii,"axG",@progbits,_ZL8moe_q4_1IfLb0EEvPKvS1_PT_PKiS5_S5_iiiiiii,comdat
	.globl	_ZL8moe_q4_1IfLb0EEvPKvS1_PT_PKiS5_S5_iiiiiii ; -- Begin function _ZL8moe_q4_1IfLb0EEvPKvS1_PT_PKiS5_S5_iiiiiii
	.p2align	8
	.type	_ZL8moe_q4_1IfLb0EEvPKvS1_PT_PKiS5_S5_iiiiiii,@function
_ZL8moe_q4_1IfLb0EEvPKvS1_PT_PKiS5_S5_iiiiiii: ; @_ZL8moe_q4_1IfLb0EEvPKvS1_PT_PKiS5_S5_iiiiiii
; %bb.0:
	s_load_dwordx4 s[0:3], s[4:5], 0x18
	s_mov_b32 s8, s7
	s_mov_b32 s9, 0
	s_lshl_b64 s[10:11], s[8:9], 2
	s_waitcnt lgkmcnt(0)
	s_add_u32 s2, s2, s10
	s_addc_u32 s3, s3, s11
	s_load_dword s7, s[2:3], 0x0
	s_waitcnt lgkmcnt(0)
	s_cmpk_gt_u32 s7, 0xff
	s_cbranch_scc1 .LBB179_30
; %bb.1:
	s_load_dwordx2 s[2:3], s[4:5], 0x28
	s_waitcnt lgkmcnt(0)
	s_load_dword s3, s[2:3], 0x0
	s_lshl_b32 s2, s8, 3
	s_waitcnt lgkmcnt(0)
	s_cmp_gt_u32 s2, s3
	s_cbranch_scc1 .LBB179_30
; %bb.2:
	v_add_nc_u32_e32 v2, s2, v1
	v_mov_b32_e32 v3, 0
	s_lshl_b32 s6, s6, 7
	v_lshlrev_b64 v[4:5], 2, v[2:3]
	v_mov_b32_e32 v14, v3
	v_mov_b32_e32 v25, v3
	v_add_co_u32 v4, vcc_lo, s0, v4
	v_add_co_ci_u32_e64 v5, null, s1, v5, vcc_lo
	global_load_dword v4, v[4:5], off
	s_clause 0x2
	s_load_dwordx2 s[14:15], s[4:5], 0x30
	s_load_dwordx2 s[12:13], s[4:5], 0x10
	s_load_dwordx4 s[8:11], s[4:5], 0x3c
	v_mov_b32_e32 v5, v3
	s_waitcnt lgkmcnt(0)
	s_cmp_lt_i32 s15, 32
	s_cbranch_scc1 .LBB179_21
; %bb.3:
	s_load_dwordx4 s[0:3], s[4:5], 0x0
	s_ashr_i32 s4, s15, 31
	s_ashr_i32 s5, s9, 31
	s_lshr_b32 s4, s4, 27
	s_lshr_b32 s5, s5, 27
	s_add_i32 s4, s15, s4
	s_mul_i32 s14, s7, s14
	s_ashr_i32 s7, s4, 5
	s_add_i32 s5, s9, s5
	s_mul_i32 s17, s7, s6
	s_ashr_i32 s16, s14, 31
	s_ashr_i32 s9, s5, 5
	s_mul_hi_i32 s5, s17, 20
	s_mul_i32 s17, s17, 20
	v_mul_lo_u32 v12, s7, v1
	v_lshlrev_b32_e32 v2, 2, v0
	v_lshl_add_u32 v9, v1, 4, 0x5680
	s_waitcnt vmcnt(0)
	v_xor_b32_e32 v19, s11, v4
	v_and_b32_e32 v14, 31, v0
	v_lshl_add_u32 v8, v1, 7, 0x5280
	s_waitcnt lgkmcnt(0)
	s_add_u32 s0, s0, s14
	s_addc_u32 s1, s1, s16
	s_add_u32 s14, s0, s17
	s_addc_u32 s16, s1, s5
	s_abs_i32 s1, s11
	s_lshl_b32 s5, s7, 3
	v_cvt_f32_u32_e32 v3, s1
	s_sub_i32 s0, 0, s1
	v_add_nc_u32_e32 v15, s5, v12
	v_sub_nc_u32_e32 v23, 0, v4
	v_add_nc_u32_e32 v20, 64, v0
	v_rcp_iflag_f32_e32 v3, v3
	v_and_b32_e32 v11, 12, v2
	v_mad_u32_u24 v13, 0x84, v1, v2
	v_and_b32_e32 v46, 28, v2
	v_add_nc_u32_e32 v17, v9, v2
	v_ashrrev_i32_e32 v2, 31, v19
	v_add_nc_u32_e32 v19, s5, v15
	v_lshl_or_b32 v16, v14, 2, v8
	v_max_i32_e32 v14, v4, v23
	v_and_b32_e32 v30, 0x1fc, v20
	v_mul_f32_e32 v3, 0x4f7ffffe, v3
	v_add_nc_u32_e32 v20, s5, v19
	v_lshrrev_b32_e32 v7, 3, v0
	v_add_nc_u32_e32 v22, 0x60, v0
	v_add_nc_u32_e32 v21, 32, v0
	v_cvt_u32_f32_e32 v3, v3
	v_add_nc_u32_e32 v23, s5, v20
	v_lshl_add_u32 v1, v1, 2, v7
	v_lshlrev_b32_e32 v25, 5, v0
	v_and_b32_e32 v29, 0x1fc, v22
	v_mul_lo_u32 v26, s0, v3
	v_add_nc_u32_e32 v27, s5, v23
	v_add_nc_u32_e32 v33, 32, v1
	;; [unrolled: 1-line block ×3, first 2 shown]
	v_and_b32_e32 v6, 7, v0
	v_and_b32_e32 v24, 0xfc, v0
	v_add_nc_u32_e32 v28, s5, v27
	v_and_b32_e32 v31, 0x1fc, v21
	v_mul_hi_u32 v26, v3, v26
	v_add_nc_u32_e32 v38, v25, v29
	v_and_b32_e32 v32, 0x7fc, v1
	v_add_nc_u32_e32 v29, s5, v28
	v_lshlrev_b32_e32 v51, 5, v1
	v_and_b32_e32 v41, 0xffc, v33
	v_lshlrev_b32_e32 v53, 5, v33
	v_and_b32_e32 v44, 0xffc, v34
	v_add_nc_u32_e32 v3, v3, v26
	v_mul_lo_u32 v26, s7, v1
	v_add_nc_u32_e32 v1, 0x60, v1
	v_lshlrev_b32_e32 v54, 5, v34
	v_lshlrev_b32_e32 v43, 2, v6
	v_mul_hi_u32 v3, v14, v3
	v_add_nc_u32_e32 v50, v25, v24
	v_add_nc_u32_e32 v39, v25, v30
	;; [unrolled: 1-line block ×4, first 2 shown]
	v_and_b32_e32 v45, 0xffc, v1
	v_lshlrev_b32_e32 v55, 5, v1
	v_add3_u32 v52, v32, v43, 0x4200
	v_mul_lo_u32 v35, v3, s1
	v_add_nc_u32_e32 v33, 1, v3
	v_add_nc_u32_e32 v32, s5, v31
	s_andn2_b32 s4, s4, 31
	v_add3_u32 v57, v45, v43, 0x4200
	v_add3_u32 v56, v44, v43, 0x4200
	v_cmp_gt_u32_e32 vcc_lo, 4, v0
	v_mov_b32_e32 v5, 0
	v_sub_nc_u32_e32 v14, v14, v35
	v_mad_u32_u24 v10, 0x84, v0, 64
	v_lshrrev_b32_e32 v18, 3, v21
	v_add_nc_u32_e32 v21, 0x35a0, v13
	v_add_nc_u32_e32 v22, 0x39c0, v13
	v_subrev_nc_u32_e32 v34, s1, v14
	v_cmp_le_u32_e64 s0, s1, v14
	v_add_nc_u32_e32 v24, 0x3de0, v13
	v_add_nc_u32_e32 v30, 0x4200, v50
	;; [unrolled: 1-line block ×4, first 2 shown]
	v_cndmask_b32_e64 v3, v3, v33, s0
	v_cndmask_b32_e64 v1, v14, v34, s0
	v_add_nc_u32_e32 v33, s5, v32
	v_add_nc_u32_e32 v34, 0x4e00, v38
	;; [unrolled: 1-line block ×4, first 2 shown]
	v_cmp_le_u32_e64 s0, s1, v1
	v_add_nc_u32_e32 v36, s5, v33
	v_add_nc_u32_e32 v39, 0x4a10, v39
	;; [unrolled: 1-line block ×4, first 2 shown]
	v_cndmask_b32_e64 v1, v3, v14, s0
	v_add_nc_u32_e32 v40, s5, v36
	v_add3_u32 v3, v41, v43, 0x4200
	v_add_nc_u32_e32 v41, s4, v26
	v_add_nc_u32_e32 v51, v52, v51
	v_xor_b32_e32 v1, v1, v2
	v_add_nc_u32_e32 v42, s5, v40
	v_add_nc_u32_e32 v52, v3, v53
	v_add_nc_u32_e32 v43, s4, v41
	v_add_nc_u32_e32 v53, v56, v54
	v_sub_nc_u32_e32 v14, v1, v2
	v_add_nc_u32_e32 v44, s5, v42
	v_add_co_u32 v1, s0, s2, v46
	v_add_co_ci_u32_e64 v2, null, s3, 0, s0
	v_mul_lo_u32 v45, v14, s9
	v_cmp_gt_i32_e64 s0, s8, v14
	v_add_nc_u32_e32 v46, s4, v43
	v_add_nc_u32_e32 v47, s5, v44
	;; [unrolled: 1-line block ×3, first 2 shown]
	v_mov_b32_e32 v25, 0
	v_mov_b32_e32 v14, 0
	v_mov_b32_e32 v3, 0
	v_ashrrev_i32_e32 v48, 31, v45
	s_mov_b32 s17, 0
	s_and_b32 s18, vcc_lo, s0
	s_branch .LBB179_5
.LBB179_4:                              ;   in Loop: Header=BB179_5 Depth=1
	s_add_i32 s17, s17, 8
	s_cmp_ge_i32 s17, s7
	s_cbranch_scc1 .LBB179_21
.LBB179_5:                              ; =>This Loop Header: Depth=1
                                        ;     Child Loop BB179_11 Depth 2
                                        ;     Child Loop BB179_19 Depth 2
	s_mul_i32 s1, s17, 20
	v_lshrrev_b32_e32 v55, 2, v0
	s_mul_hi_u32 s5, s17, 20
	s_add_u32 s4, s14, s1
	s_addc_u32 s5, s16, s5
	v_mad_u64_u32 v[55:56], null, v55, 20, s[4:5]
	v_mad_u64_u32 v[57:58], null, v12, 20, v[55:56]
	;; [unrolled: 1-line block ×5, first 2 shown]
	v_add_co_u32 v57, s1, v57, v11
	v_mad_u64_u32 v[65:66], null, v23, 20, v[55:56]
	v_add_co_ci_u32_e64 v58, null, 0, v58, s1
	v_add_co_u32 v59, s1, v59, v11
	v_mad_u64_u32 v[67:68], null, v27, 20, v[55:56]
	v_add_co_ci_u32_e64 v60, null, 0, v60, s1
	;; [unrolled: 3-line block ×4, first 2 shown]
	v_add_co_u32 v65, s1, v65, v11
	v_add_co_ci_u32_e64 v66, null, 0, v66, s1
	v_add_co_u32 v67, s1, v67, v11
	v_add_co_ci_u32_e64 v68, null, 0, v68, s1
	v_add_co_u32 v69, s1, v69, v11
	v_add_co_ci_u32_e64 v70, null, 0, v70, s1
	v_add_co_u32 v71, s1, v71, v11
	v_mad_u64_u32 v[73:74], null, v31, 20, v[55:56]
	v_add_co_ci_u32_e64 v72, null, 0, v72, s1
	s_clause 0x7
	global_load_dword v79, v[57:58], off offset:4
	global_load_dword v80, v[59:60], off offset:4
	;; [unrolled: 1-line block ×8, first 2 shown]
	v_mad_u64_u32 v[57:58], null, v32, 20, v[55:56]
	v_mad_u64_u32 v[61:62], null, v33, 20, v[55:56]
	;; [unrolled: 1-line block ×3, first 2 shown]
	v_add_co_u32 v59, s1, v73, v11
	v_mad_u64_u32 v[65:66], null, v40, 20, v[55:56]
	v_add_co_ci_u32_e64 v60, null, 0, v74, s1
	v_add_co_u32 v57, s1, v57, v11
	v_mad_u64_u32 v[67:68], null, v42, 20, v[55:56]
	v_add_co_ci_u32_e64 v58, null, 0, v58, s1
	;; [unrolled: 3-line block ×5, first 2 shown]
	v_add_co_u32 v67, s1, v67, v11
	v_add_co_ci_u32_e64 v68, null, 0, v68, s1
	v_add_co_u32 v69, s1, v69, v11
	v_add_co_ci_u32_e64 v70, null, 0, v70, s1
	;; [unrolled: 2-line block ×3, first 2 shown]
	v_mad_u64_u32 v[73:74], null, v26, 20, v[71:72]
	v_mad_u64_u32 v[75:76], null, v41, 20, v[71:72]
	v_mad_u64_u32 v[77:78], null, v43, 20, v[71:72]
	v_mad_u64_u32 v[71:72], null, v46, 20, v[71:72]
	s_clause 0xb
	global_load_dword v59, v[59:60], off offset:4
	global_load_dword v57, v[57:58], off offset:4
	;; [unrolled: 1-line block ×8, first 2 shown]
	global_load_dword v56, v[73:74], off
	global_load_dword v64, v[75:76], off
	;; [unrolled: 1-line block ×4, first 2 shown]
	v_add_nc_u32_e32 v67, 0x420, v13
	s_lshl_b32 s4, s17, 5
	v_add_nc_u32_e32 v68, 0x840, v13
	v_add_nc_u32_e32 v69, 0xc60, v13
	s_cmp_lt_i32 s4, s15
	v_add_nc_u32_e32 v70, 0x1080, v13
	v_add_nc_u32_e32 v71, 0x14a0, v13
	;; [unrolled: 1-line block ×9, first 2 shown]
	s_waitcnt vmcnt(19)
	ds_write_b32 v13, v79
	s_waitcnt vmcnt(18)
	ds_write_b32 v67, v80
	;; [unrolled: 2-line block ×20, first 2 shown]
	s_cbranch_scc0 .LBB179_4
; %bb.6:                                ;   in Loop: Header=BB179_5 Depth=1
	v_add_nc_u32_e32 v55, s17, v7
	v_cmp_gt_i32_e64 s1, s9, v55
	s_and_b32 s5, s0, s1
	s_and_saveexec_b32 s1, s5
	s_cbranch_execz .LBB179_8
; %bb.7:                                ;   in Loop: Header=BB179_5 Depth=1
	v_add_nc_u32_e32 v55, v45, v55
	v_mad_i64_i32 v[55:56], null, v55, 36, v[1:2]
	global_load_dword v55, v[55:56], off offset:4
	s_waitcnt vmcnt(0)
	ds_write_b32 v16, v55
.LBB179_8:                              ;   in Loop: Header=BB179_5 Depth=1
	s_or_b32 exec_lo, exec_lo, s1
	v_add_nc_u32_e32 v55, s17, v0
	v_cmp_gt_i32_e64 s1, s9, v55
	s_and_b32 s5, s18, s1
	s_and_saveexec_b32 s1, s5
	s_cbranch_execz .LBB179_10
; %bb.9:                                ;   in Loop: Header=BB179_5 Depth=1
	v_add_nc_u32_e32 v56, v45, v55
	v_mad_i64_i32 v[56:57], null, v56, 36, s[2:3]
	global_load_dword v56, v[56:57], off
	s_waitcnt vmcnt(0)
	ds_write_b32 v17, v56
.LBB179_10:                             ;   in Loop: Header=BB179_5 Depth=1
	s_or_b32 exec_lo, exec_lo, s1
	v_mov_b32_e32 v56, v8
	v_mov_b32_e32 v57, v9
	v_mul_u32_u24_e32 v62, 0x84, v0
	v_mov_b32_e32 v58, v30
	v_mov_b32_e32 v59, v37
	;; [unrolled: 1-line block ×4, first 2 shown]
	s_mov_b32 s1, -4
	s_waitcnt lgkmcnt(0)
	s_barrier
	buffer_gl0_inv
.LBB179_11:                             ;   Parent Loop BB179_5 Depth=1
                                        ; =>  This Inner Loop Header: Depth=2
	v_add_nc_u32_e32 v75, 0x1080, v62
	v_add_nc_u32_e32 v77, 0x1088, v62
	;; [unrolled: 1-line block ×4, first 2 shown]
	ds_read_b128 v[63:66], v56
	ds_read_b128 v[67:70], v56 offset:16
	ds_read2_b32 v[71:72], v62 offset0:2 offset1:3
	v_add_nc_u32_e32 v83, 0x3180, v62
	ds_read2_b32 v[73:74], v62 offset1:1
	ds_read_b32 v90, v57
	ds_read_b32 v91, v58
	;; [unrolled: 1-line block ×5, first 2 shown]
	v_add_nc_u32_e32 v85, 0x3188, v62
	ds_read2_b32 v[75:76], v75 offset1:1
	ds_read2_b32 v[77:78], v77 offset1:1
	ds_read2_b32 v[79:80], v79 offset1:1
	ds_read2_b32 v[81:82], v81 offset1:1
	ds_read2_b32 v[83:84], v83 offset1:1
	ds_read2_b32 v[85:86], v85 offset1:1
	v_mov_b32_e32 v87, 0
	v_mov_b32_e32 v88, 0
	;; [unrolled: 1-line block ×4, first 2 shown]
	v_add_nc_u32_e32 v62, 16, v62
	v_add_nc_u32_e32 v61, 4, v61
	;; [unrolled: 1-line block ×7, first 2 shown]
	s_add_i32 s1, s1, 4
	s_waitcnt lgkmcnt(11)
	v_and_b32_e32 v96, 0xf0f0f0f, v73
	v_lshrrev_b32_e32 v73, 4, v73
	s_waitcnt lgkmcnt(5)
	v_and_b32_e32 v100, 0xf0f0f0f, v76
	v_lshrrev_b32_e32 v76, 4, v76
	s_waitcnt lgkmcnt(4)
	v_and_b32_e32 v101, 0xf0f0f0f, v77
	v_dot4c_i32_i8 v87, v96, v63
	v_and_b32_e32 v73, 0xf0f0f0f, v73
	v_and_b32_e32 v96, 0xf0f0f0f, v75
	v_lshrrev_b32_e32 v75, 4, v75
	v_lshrrev_b32_e32 v77, 4, v77
	s_waitcnt lgkmcnt(3)
	v_and_b32_e32 v103, 0xf0f0f0f, v79
	v_lshrrev_b32_e32 v79, 4, v79
	s_waitcnt lgkmcnt(1)
	v_and_b32_e32 v107, 0xf0f0f0f, v83
	v_lshrrev_b32_e32 v83, 4, v83
	v_dot4c_i32_i8 v87, v73, v67
	v_and_b32_e32 v73, 0xf0f0f0f, v75
	v_dot4c_i32_i8 v88, v96, v63
	v_and_b32_e32 v75, 0xf0f0f0f, v76
	v_and_b32_e32 v76, 0xf0f0f0f, v77
	;; [unrolled: 1-line block ×3, first 2 shown]
	v_dot4c_i32_i8 v89, v103, v63
	v_and_b32_e32 v79, 0xf0f0f0f, v83
	v_dot4c_i32_i8 v95, v107, v63
	v_and_b32_e32 v97, 0xf0f0f0f, v74
	v_lshrrev_b32_e32 v74, 4, v74
	v_and_b32_e32 v102, 0xf0f0f0f, v78
	v_lshrrev_b32_e32 v78, 4, v78
	v_and_b32_e32 v104, 0xf0f0f0f, v80
	v_lshrrev_b32_e32 v80, 4, v80
	v_and_b32_e32 v108, 0xf0f0f0f, v84
	v_lshrrev_b32_e32 v84, 4, v84
	v_dot4c_i32_i8 v88, v73, v67
	v_dot4c_i32_i8 v89, v77, v67
	;; [unrolled: 1-line block ×3, first 2 shown]
	v_and_b32_e32 v74, 0xf0f0f0f, v74
	v_and_b32_e32 v63, 0xf0f0f0f, v78
	;; [unrolled: 1-line block ×4, first 2 shown]
	v_dot4c_i32_i8 v87, v97, v64
	v_dot4c_i32_i8 v88, v100, v64
	;; [unrolled: 1-line block ×4, first 2 shown]
	v_and_b32_e32 v98, 0xf0f0f0f, v71
	v_lshrrev_b32_e32 v71, 4, v71
	v_and_b32_e32 v105, 0xf0f0f0f, v81
	v_lshrrev_b32_e32 v81, 4, v81
	s_waitcnt lgkmcnt(0)
	v_and_b32_e32 v109, 0xf0f0f0f, v85
	v_lshrrev_b32_e32 v85, 4, v85
	v_dot4c_i32_i8 v87, v74, v68
	v_dot4c_i32_i8 v88, v75, v68
	;; [unrolled: 1-line block ×4, first 2 shown]
	v_and_b32_e32 v71, 0xf0f0f0f, v71
	v_and_b32_e32 v64, 0xf0f0f0f, v81
	;; [unrolled: 1-line block ×3, first 2 shown]
	v_dot4c_i32_i8 v87, v98, v65
	v_dot4c_i32_i8 v88, v101, v65
	;; [unrolled: 1-line block ×4, first 2 shown]
	v_and_b32_e32 v99, 0xf0f0f0f, v72
	v_lshrrev_b32_e32 v72, 4, v72
	v_and_b32_e32 v106, 0xf0f0f0f, v82
	v_lshrrev_b32_e32 v82, 4, v82
	;; [unrolled: 2-line block ×3, first 2 shown]
	v_dot4c_i32_i8 v87, v71, v69
	v_dot4c_i32_i8 v88, v76, v69
	;; [unrolled: 1-line block ×4, first 2 shown]
	v_and_b32_e32 v72, 0xf0f0f0f, v72
	v_and_b32_e32 v65, 0xf0f0f0f, v82
	;; [unrolled: 1-line block ×3, first 2 shown]
	v_dot4c_i32_i8 v87, v99, v66
	v_dot4c_i32_i8 v88, v102, v66
	;; [unrolled: 1-line block ×4, first 2 shown]
	v_pk_mul_f16 v91, v90, v91
	v_dot4c_i32_i8 v87, v72, v70
	v_dot4c_i32_i8 v88, v63, v70
	;; [unrolled: 1-line block ×4, first 2 shown]
	v_pk_mul_f16 v92, v90, v92
	v_pk_mul_f16 v66, v90, v93
	v_pk_mul_f16 v63, v90, v94
	v_cvt_f32_i32_e32 v64, v87
	v_cvt_f32_i32_e32 v65, v88
	;; [unrolled: 1-line block ×4, first 2 shown]
	s_cmp_lt_u32 s1, 12
	v_fma_mix_f32 v64, v91, v64, v91 op_sel:[0,0,1] op_sel_hi:[1,0,1]
	v_fma_mix_f32 v65, v92, v65, v92 op_sel:[0,0,1] op_sel_hi:[1,0,1]
	;; [unrolled: 1-line block ×4, first 2 shown]
	v_add_f32_e32 v5, v5, v64
	v_add_f32_e32 v25, v25, v65
	v_add_f32_e32 v14, v14, v66
	v_add_f32_e32 v3, v3, v63
	s_cbranch_scc1 .LBB179_11
; %bb.12:                               ;   in Loop: Header=BB179_5 Depth=1
	s_bitset1_b32 s4, 7
	s_cmp_ge_i32 s4, s15
	s_barrier
	buffer_gl0_inv
	s_cbranch_scc1 .LBB179_4
; %bb.13:                               ;   in Loop: Header=BB179_5 Depth=1
	v_add_nc_u32_e32 v56, s17, v18
	v_cmp_gt_i32_e64 s1, s9, v56
	s_and_b32 s4, s0, s1
	s_and_saveexec_b32 s1, s4
	s_cbranch_execz .LBB179_15
; %bb.14:                               ;   in Loop: Header=BB179_5 Depth=1
	v_add_nc_u32_e32 v56, v45, v56
	v_mad_i64_i32 v[56:57], null, v56, 36, v[1:2]
	global_load_dword v56, v[56:57], off offset:4
	s_waitcnt vmcnt(0)
	ds_write_b32 v16, v56
.LBB179_15:                             ;   in Loop: Header=BB179_5 Depth=1
	s_or_b32 exec_lo, exec_lo, s1
	s_and_saveexec_b32 s4, vcc_lo
	s_cbranch_execz .LBB179_18
; %bb.16:                               ;   in Loop: Header=BB179_5 Depth=1
	v_or_b32_e32 v56, 4, v55
	v_cmp_gt_i32_e64 s1, s9, v56
	s_and_b32 s1, s0, s1
	s_and_b32 exec_lo, exec_lo, s1
	s_cbranch_execz .LBB179_18
; %bb.17:                               ;   in Loop: Header=BB179_5 Depth=1
	v_ashrrev_i32_e32 v56, 31, v55
	v_add_co_u32 v55, s1, v45, v55
	v_add_co_ci_u32_e64 v57, null, v48, v56, s1
	v_mad_u64_u32 v[55:56], null, v55, 36, s[2:3]
	v_mad_i32_i24 v56, v57, 36, v56
	global_load_dword v55, v[55:56], off offset:144
	s_waitcnt vmcnt(0)
	ds_write_b32 v17, v55
.LBB179_18:                             ;   in Loop: Header=BB179_5 Depth=1
	s_or_b32 exec_lo, exec_lo, s4
	v_mov_b32_e32 v55, v9
	v_mov_b32_e32 v56, v8
	;; [unrolled: 1-line block ×7, first 2 shown]
	s_mov_b32 s1, 12
	s_waitcnt lgkmcnt(0)
	s_barrier
	buffer_gl0_inv
.LBB179_19:                             ;   Parent Loop BB179_5 Depth=1
                                        ; =>  This Inner Loop Header: Depth=2
	ds_read_b128 v[62:65], v56
	ds_read_b128 v[66:69], v56 offset:16
	ds_read_b32 v86, v55
	ds_read2_b32 v[70:71], v61 offset1:1
	v_add_nc_u32_e32 v74, 0x1080, v61
	v_add_nc_u32_e32 v76, 0x1088, v61
	;; [unrolled: 1-line block ×6, first 2 shown]
	ds_read2_b32 v[72:73], v61 offset0:2 offset1:3
	ds_read_b32 v90, v57
	ds_read_b32 v91, v58
	;; [unrolled: 1-line block ×4, first 2 shown]
	ds_read2_b32 v[74:75], v74 offset1:1
	ds_read2_b32 v[76:77], v76 offset1:1
	;; [unrolled: 1-line block ×6, first 2 shown]
	v_mov_b32_e32 v87, 0
	v_mov_b32_e32 v88, 0
	v_mov_b32_e32 v89, 0
	v_mov_b32_e32 v94, 0
	v_add_nc_u32_e32 v61, 16, v61
	v_add_nc_u32_e32 v60, 4, v60
	;; [unrolled: 1-line block ×6, first 2 shown]
	s_waitcnt lgkmcnt(11)
	v_and_b32_e32 v95, 0xf0f0f0f, v70
	v_lshrrev_b32_e32 v70, 4, v70
	v_and_b32_e32 v96, 0xf0f0f0f, v71
	v_lshrrev_b32_e32 v71, 4, v71
	s_waitcnt lgkmcnt(5)
	v_and_b32_e32 v99, 0xf0f0f0f, v75
	v_dot4c_i32_i8 v87, v95, v62
	v_and_b32_e32 v70, 0xf0f0f0f, v70
	v_and_b32_e32 v95, 0xf0f0f0f, v74
	v_lshrrev_b32_e32 v74, 4, v74
	v_lshrrev_b32_e32 v75, 4, v75
	s_waitcnt lgkmcnt(4)
	v_and_b32_e32 v100, 0xf0f0f0f, v76
	v_lshrrev_b32_e32 v76, 4, v76
	s_waitcnt lgkmcnt(3)
	v_and_b32_e32 v102, 0xf0f0f0f, v78
	;; [unrolled: 3-line block ×3, first 2 shown]
	v_lshrrev_b32_e32 v82, 4, v82
	v_dot4c_i32_i8 v87, v70, v66
	v_and_b32_e32 v70, 0xf0f0f0f, v74
	v_dot4c_i32_i8 v88, v95, v62
	v_and_b32_e32 v74, 0xf0f0f0f, v75
	v_and_b32_e32 v75, 0xf0f0f0f, v76
	;; [unrolled: 1-line block ×3, first 2 shown]
	v_dot4c_i32_i8 v89, v102, v62
	v_and_b32_e32 v78, 0xf0f0f0f, v82
	v_dot4c_i32_i8 v94, v106, v62
	v_and_b32_e32 v101, 0xf0f0f0f, v77
	v_lshrrev_b32_e32 v77, 4, v77
	v_and_b32_e32 v103, 0xf0f0f0f, v79
	v_lshrrev_b32_e32 v79, 4, v79
	;; [unrolled: 2-line block ×3, first 2 shown]
	v_dot4c_i32_i8 v88, v70, v66
	v_dot4c_i32_i8 v89, v76, v66
	v_dot4c_i32_i8 v94, v78, v66
	v_and_b32_e32 v71, 0xf0f0f0f, v71
	v_and_b32_e32 v62, 0xf0f0f0f, v77
	;; [unrolled: 1-line block ×4, first 2 shown]
	v_dot4c_i32_i8 v87, v96, v63
	v_dot4c_i32_i8 v88, v99, v63
	v_dot4c_i32_i8 v89, v103, v63
	v_dot4c_i32_i8 v94, v107, v63
	v_and_b32_e32 v97, 0xf0f0f0f, v72
	v_lshrrev_b32_e32 v72, 4, v72
	v_and_b32_e32 v104, 0xf0f0f0f, v80
	v_lshrrev_b32_e32 v80, 4, v80
	s_waitcnt lgkmcnt(0)
	v_and_b32_e32 v108, 0xf0f0f0f, v84
	v_lshrrev_b32_e32 v84, 4, v84
	v_dot4c_i32_i8 v87, v71, v67
	v_dot4c_i32_i8 v88, v74, v67
	;; [unrolled: 1-line block ×4, first 2 shown]
	v_and_b32_e32 v72, 0xf0f0f0f, v72
	v_and_b32_e32 v63, 0xf0f0f0f, v80
	;; [unrolled: 1-line block ×3, first 2 shown]
	v_dot4c_i32_i8 v87, v97, v64
	v_dot4c_i32_i8 v88, v100, v64
	;; [unrolled: 1-line block ×4, first 2 shown]
	v_and_b32_e32 v98, 0xf0f0f0f, v73
	v_lshrrev_b32_e32 v73, 4, v73
	v_and_b32_e32 v105, 0xf0f0f0f, v81
	v_lshrrev_b32_e32 v81, 4, v81
	;; [unrolled: 2-line block ×3, first 2 shown]
	v_dot4c_i32_i8 v87, v72, v68
	v_dot4c_i32_i8 v88, v75, v68
	;; [unrolled: 1-line block ×4, first 2 shown]
	v_and_b32_e32 v73, 0xf0f0f0f, v73
	v_and_b32_e32 v64, 0xf0f0f0f, v81
	;; [unrolled: 1-line block ×3, first 2 shown]
	v_dot4c_i32_i8 v87, v98, v65
	v_dot4c_i32_i8 v88, v101, v65
	;; [unrolled: 1-line block ×4, first 2 shown]
	v_pk_mul_f16 v90, v86, v90
	v_dot4c_i32_i8 v87, v73, v69
	v_dot4c_i32_i8 v88, v62, v69
	;; [unrolled: 1-line block ×4, first 2 shown]
	v_pk_mul_f16 v91, v86, v91
	v_pk_mul_f16 v65, v86, v92
	;; [unrolled: 1-line block ×3, first 2 shown]
	v_cvt_f32_i32_e32 v63, v87
	v_cvt_f32_i32_e32 v64, v88
	;; [unrolled: 1-line block ×4, first 2 shown]
	v_add_nc_u32_e32 v55, 4, v55
	v_fma_mix_f32 v63, v90, v63, v90 op_sel:[0,0,1] op_sel_hi:[1,0,1]
	v_fma_mix_f32 v64, v91, v64, v91 op_sel:[0,0,1] op_sel_hi:[1,0,1]
	;; [unrolled: 1-line block ×4, first 2 shown]
	s_add_i32 s1, s1, 4
	v_add_f32_e32 v5, v5, v63
	v_add_f32_e32 v25, v25, v64
	v_add_f32_e32 v14, v14, v65
	v_add_f32_e32 v3, v3, v62
	s_cmp_lt_u32 s1, 28
	s_cbranch_scc1 .LBB179_19
; %bb.20:                               ;   in Loop: Header=BB179_5 Depth=1
	s_barrier
	buffer_gl0_inv
	s_branch .LBB179_4
.LBB179_21:
	s_mul_i32 s0, s11, s8
	s_waitcnt vmcnt(0)
	v_cmp_gt_i32_e32 vcc_lo, s0, v4
	s_and_saveexec_b32 s0, vcc_lo
	s_cbranch_execz .LBB179_30
; %bb.22:
	v_add_nc_u32_e32 v1, s6, v0
	v_mul_lo_u32 v0, v4, s10
	s_mov_b32 s0, exec_lo
	v_cmpx_gt_u32_e64 s10, v1
	s_cbranch_execz .LBB179_24
; %bb.23:
	v_add_nc_u32_e32 v6, v0, v1
	v_mov_b32_e32 v7, 0
	v_lshlrev_b64 v[6:7], 2, v[6:7]
	v_add_co_u32 v6, vcc_lo, s12, v6
	v_add_co_ci_u32_e64 v7, null, s13, v7, vcc_lo
	global_store_dword v[6:7], v5, off
.LBB179_24:
	s_or_b32 exec_lo, exec_lo, s0
	v_add_nc_u32_e32 v2, 32, v1
	s_mov_b32 s0, exec_lo
	v_cmpx_gt_u32_e64 s10, v2
	s_cbranch_execz .LBB179_26
; %bb.25:
	v_add_nc_u32_e32 v4, v0, v2
	v_mov_b32_e32 v5, 0
	v_lshlrev_b64 v[4:5], 2, v[4:5]
	v_add_co_u32 v4, vcc_lo, s12, v4
	v_add_co_ci_u32_e64 v5, null, s13, v5, vcc_lo
	global_store_dword v[4:5], v25, off
.LBB179_26:
	s_or_b32 exec_lo, exec_lo, s0
	v_add_nc_u32_e32 v2, 64, v1
	;; [unrolled: 13-line block ×3, first 2 shown]
	v_cmp_gt_u32_e32 vcc_lo, s10, v1
	s_and_b32 exec_lo, exec_lo, vcc_lo
	s_cbranch_execz .LBB179_30
; %bb.29:
	v_add_nc_u32_e32 v0, v0, v1
	v_mov_b32_e32 v1, 0
	v_lshlrev_b64 v[0:1], 2, v[0:1]
	v_add_co_u32 v0, vcc_lo, s12, v0
	v_add_co_ci_u32_e64 v1, null, s13, v1, vcc_lo
	global_store_dword v[0:1], v3, off
.LBB179_30:
	s_endpgm
	.section	.rodata,"a",@progbits
	.p2align	6, 0x0
	.amdhsa_kernel _ZL8moe_q4_1IfLb0EEvPKvS1_PT_PKiS5_S5_iiiiiii
		.amdhsa_group_segment_fixed_size 22272
		.amdhsa_private_segment_fixed_size 0
		.amdhsa_kernarg_size 76
		.amdhsa_user_sgpr_count 6
		.amdhsa_user_sgpr_private_segment_buffer 1
		.amdhsa_user_sgpr_dispatch_ptr 0
		.amdhsa_user_sgpr_queue_ptr 0
		.amdhsa_user_sgpr_kernarg_segment_ptr 1
		.amdhsa_user_sgpr_dispatch_id 0
		.amdhsa_user_sgpr_flat_scratch_init 0
		.amdhsa_user_sgpr_private_segment_size 0
		.amdhsa_wavefront_size32 1
		.amdhsa_uses_dynamic_stack 0
		.amdhsa_system_sgpr_private_segment_wavefront_offset 0
		.amdhsa_system_sgpr_workgroup_id_x 1
		.amdhsa_system_sgpr_workgroup_id_y 1
		.amdhsa_system_sgpr_workgroup_id_z 0
		.amdhsa_system_sgpr_workgroup_info 0
		.amdhsa_system_vgpr_workitem_id 1
		.amdhsa_next_free_vgpr 111
		.amdhsa_next_free_sgpr 19
		.amdhsa_reserve_vcc 1
		.amdhsa_reserve_flat_scratch 0
		.amdhsa_float_round_mode_32 0
		.amdhsa_float_round_mode_16_64 0
		.amdhsa_float_denorm_mode_32 3
		.amdhsa_float_denorm_mode_16_64 3
		.amdhsa_dx10_clamp 1
		.amdhsa_ieee_mode 1
		.amdhsa_fp16_overflow 0
		.amdhsa_workgroup_processor_mode 1
		.amdhsa_memory_ordered 1
		.amdhsa_forward_progress 1
		.amdhsa_shared_vgpr_count 0
		.amdhsa_exception_fp_ieee_invalid_op 0
		.amdhsa_exception_fp_denorm_src 0
		.amdhsa_exception_fp_ieee_div_zero 0
		.amdhsa_exception_fp_ieee_overflow 0
		.amdhsa_exception_fp_ieee_underflow 0
		.amdhsa_exception_fp_ieee_inexact 0
		.amdhsa_exception_int_div_zero 0
	.end_amdhsa_kernel
	.section	.text._ZL8moe_q4_1IfLb0EEvPKvS1_PT_PKiS5_S5_iiiiiii,"axG",@progbits,_ZL8moe_q4_1IfLb0EEvPKvS1_PT_PKiS5_S5_iiiiiii,comdat
.Lfunc_end179:
	.size	_ZL8moe_q4_1IfLb0EEvPKvS1_PT_PKiS5_S5_iiiiiii, .Lfunc_end179-_ZL8moe_q4_1IfLb0EEvPKvS1_PT_PKiS5_S5_iiiiiii
                                        ; -- End function
	.set _ZL8moe_q4_1IfLb0EEvPKvS1_PT_PKiS5_S5_iiiiiii.num_vgpr, 111
	.set _ZL8moe_q4_1IfLb0EEvPKvS1_PT_PKiS5_S5_iiiiiii.num_agpr, 0
	.set _ZL8moe_q4_1IfLb0EEvPKvS1_PT_PKiS5_S5_iiiiiii.numbered_sgpr, 19
	.set _ZL8moe_q4_1IfLb0EEvPKvS1_PT_PKiS5_S5_iiiiiii.num_named_barrier, 0
	.set _ZL8moe_q4_1IfLb0EEvPKvS1_PT_PKiS5_S5_iiiiiii.private_seg_size, 0
	.set _ZL8moe_q4_1IfLb0EEvPKvS1_PT_PKiS5_S5_iiiiiii.uses_vcc, 1
	.set _ZL8moe_q4_1IfLb0EEvPKvS1_PT_PKiS5_S5_iiiiiii.uses_flat_scratch, 0
	.set _ZL8moe_q4_1IfLb0EEvPKvS1_PT_PKiS5_S5_iiiiiii.has_dyn_sized_stack, 0
	.set _ZL8moe_q4_1IfLb0EEvPKvS1_PT_PKiS5_S5_iiiiiii.has_recursion, 0
	.set _ZL8moe_q4_1IfLb0EEvPKvS1_PT_PKiS5_S5_iiiiiii.has_indirect_call, 0
	.section	.AMDGPU.csdata,"",@progbits
; Kernel info:
; codeLenInByte = 4220
; TotalNumSgprs: 21
; NumVgprs: 111
; ScratchSize: 0
; MemoryBound: 0
; FloatMode: 240
; IeeeMode: 1
; LDSByteSize: 22272 bytes/workgroup (compile time only)
; SGPRBlocks: 0
; VGPRBlocks: 13
; NumSGPRsForWavesPerEU: 21
; NumVGPRsForWavesPerEU: 111
; Occupancy: 9
; WaveLimiterHint : 1
; COMPUTE_PGM_RSRC2:SCRATCH_EN: 0
; COMPUTE_PGM_RSRC2:USER_SGPR: 6
; COMPUTE_PGM_RSRC2:TRAP_HANDLER: 0
; COMPUTE_PGM_RSRC2:TGID_X_EN: 1
; COMPUTE_PGM_RSRC2:TGID_Y_EN: 1
; COMPUTE_PGM_RSRC2:TGID_Z_EN: 0
; COMPUTE_PGM_RSRC2:TIDIG_COMP_CNT: 1
	.section	.text._ZL8moe_q4_1IfLb1EEvPKvS1_PT_PKiS5_S5_iiiiiii,"axG",@progbits,_ZL8moe_q4_1IfLb1EEvPKvS1_PT_PKiS5_S5_iiiiiii,comdat
	.globl	_ZL8moe_q4_1IfLb1EEvPKvS1_PT_PKiS5_S5_iiiiiii ; -- Begin function _ZL8moe_q4_1IfLb1EEvPKvS1_PT_PKiS5_S5_iiiiiii
	.p2align	8
	.type	_ZL8moe_q4_1IfLb1EEvPKvS1_PT_PKiS5_S5_iiiiiii,@function
_ZL8moe_q4_1IfLb1EEvPKvS1_PT_PKiS5_S5_iiiiiii: ; @_ZL8moe_q4_1IfLb1EEvPKvS1_PT_PKiS5_S5_iiiiiii
; %bb.0:
	s_load_dwordx4 s[0:3], s[4:5], 0x18
	s_mov_b32 s8, s7
	s_mov_b32 s9, 0
	s_lshl_b64 s[10:11], s[8:9], 2
	s_waitcnt lgkmcnt(0)
	s_add_u32 s2, s2, s10
	s_addc_u32 s3, s3, s11
	s_load_dword s7, s[2:3], 0x0
	s_waitcnt lgkmcnt(0)
	s_cmpk_gt_u32 s7, 0xff
	s_cbranch_scc1 .LBB180_30
; %bb.1:
	s_load_dwordx2 s[2:3], s[4:5], 0x28
	s_waitcnt lgkmcnt(0)
	s_load_dword s3, s[2:3], 0x0
	s_lshl_b32 s2, s8, 3
	s_waitcnt lgkmcnt(0)
	s_cmp_gt_u32 s2, s3
	s_cbranch_scc1 .LBB180_30
; %bb.2:
	v_add_nc_u32_e32 v15, s2, v1
	v_mov_b32_e32 v16, 0
	s_lshl_b32 s6, s6, 7
	v_lshlrev_b64 v[2:3], 2, v[15:16]
	v_mov_b32_e32 v44, v16
	v_mov_b32_e32 v48, v16
	;; [unrolled: 1-line block ×3, first 2 shown]
	v_add_co_u32 v2, vcc_lo, s0, v2
	v_add_co_ci_u32_e64 v3, null, s1, v3, vcc_lo
	global_load_dword v21, v[2:3], off
	s_clause 0x1
	s_load_dwordx8 s[8:15], s[4:5], 0x30
	s_load_dwordx2 s[16:17], s[4:5], 0x10
	s_waitcnt lgkmcnt(0)
	s_cmp_lt_i32 s9, 32
	s_cbranch_scc1 .LBB180_21
; %bb.3:
	s_load_dwordx4 s[0:3], s[4:5], 0x0
	s_ashr_i32 s4, s9, 31
	s_ashr_i32 s5, s12, 31
	s_lshr_b32 s4, s4, 27
	s_lshr_b32 s5, s5, 27
	s_add_i32 s4, s9, s4
	s_mul_i32 s15, s7, s8
	s_ashr_i32 s7, s4, 5
	s_add_i32 s4, s12, s5
	s_mul_i32 s5, s7, s6
	s_ashr_i32 s18, s15, 31
	s_ashr_i32 s8, s4, 5
	s_mul_hi_i32 s4, s5, 20
	s_mul_i32 s5, s5, 20
	v_add_nc_u32_e32 v2, 8, v1
	v_add_nc_u32_e32 v3, 16, v1
	;; [unrolled: 1-line block ×4, first 2 shown]
	v_lshlrev_b32_e32 v20, 2, v0
	v_add_nc_u32_e32 v9, 40, v1
	s_waitcnt lgkmcnt(0)
	s_add_u32 s0, s0, s15
	s_addc_u32 s1, s1, s18
	s_add_u32 s12, s0, s5
	s_addc_u32 s15, s1, s4
	s_abs_i32 s1, s14
	s_not_b32 s0, s6
	v_cvt_f32_u32_e32 v17, s1
	s_add_i32 s0, s10, s0
	v_add_nc_u32_e32 v10, 48, v1
	v_min_i32_e32 v4, s0, v1
	v_min_i32_e32 v5, s0, v2
	v_rcp_iflag_f32_e32 v17, v17
	v_min_i32_e32 v6, s0, v3
	v_add_nc_u32_e32 v11, 56, v1
	v_min_i32_e32 v7, s0, v7
	v_add_nc_u32_e32 v12, 64, v1
	;; [unrolled: 2-line block ×3, first 2 shown]
	s_waitcnt vmcnt(0)
	v_mad_u64_u32 v[2:3], null, 0x84, v4, v[20:21]
	v_min_i32_e32 v9, s0, v9
	v_mul_f32_e32 v17, 0x4f7ffffe, v17
	v_add_nc_u32_e32 v14, 0x50, v1
	v_mul_lo_u32 v25, v4, s7
	v_mad_u64_u32 v[3:4], null, 0x84, v5, v[20:21]
	v_min_i32_e32 v10, s0, v10
	v_add_nc_u32_e32 v15, 0x58, v1
	v_cvt_u32_f32_e32 v46, v17
	v_mul_lo_u32 v26, v5, s7
	v_mad_u64_u32 v[4:5], null, 0x84, v6, v[20:21]
	v_min_i32_e32 v11, s0, v11
	v_add_nc_u32_e32 v16, 0x60, v1
	v_mul_lo_u32 v27, v6, s7
	v_mad_u64_u32 v[5:6], null, 0x84, v7, v[20:21]
	v_min_i32_e32 v12, s0, v12
	v_add_nc_u32_e32 v18, 0x68, v1
	v_mul_lo_u32 v28, v7, s7
	v_mad_u64_u32 v[6:7], null, 0x84, v8, v[20:21]
	v_min_i32_e32 v13, s0, v13
	s_sub_i32 s4, 0, s1
	v_mul_lo_u32 v29, v8, s7
	v_mad_u64_u32 v[7:8], null, 0x84, v9, v[20:21]
	v_min_i32_e32 v14, s0, v14
	v_lshrrev_b32_e32 v38, 3, v0
	v_mul_lo_u32 v30, v9, s7
	v_mad_u64_u32 v[8:9], null, 0x84, v10, v[20:21]
	v_min_i32_e32 v15, s0, v15
	v_mul_lo_u32 v43, s4, v46
	v_mul_lo_u32 v31, v10, s7
	v_mad_u64_u32 v[9:10], null, 0x84, v11, v[20:21]
	v_min_i32_e32 v16, s0, v16
	v_mul_lo_u32 v32, v11, s7
	v_mad_u64_u32 v[10:11], null, 0x84, v12, v[20:21]
	v_min_i32_e32 v18, s0, v18
	v_add_nc_u32_e32 v19, 0x70, v1
	v_mul_lo_u32 v33, v12, s7
	v_mad_u64_u32 v[11:12], null, 0x84, v13, v[20:21]
	v_add_nc_u32_e32 v41, 0x78, v1
	v_mul_lo_u32 v34, v13, s7
	v_mad_u64_u32 v[12:13], null, 0x84, v14, v[20:21]
	v_lshl_add_u32 v44, v1, 2, v38
	v_mul_lo_u32 v35, v14, s7
	v_mad_u64_u32 v[13:14], null, 0x84, v15, v[20:21]
	v_mul_lo_u32 v36, v15, s7
	v_mad_u64_u32 v[14:15], null, 0x84, v16, v[20:21]
	v_mul_lo_u32 v37, v16, s7
	v_min_i32_e32 v19, s0, v19
	v_mad_u64_u32 v[15:16], null, 0x84, v18, v[20:21]
	v_min_i32_e32 v16, s0, v41
	v_mul_hi_u32 v48, v46, v43
	v_add_nc_u32_e32 v47, 32, v44
	v_sub_nc_u32_e32 v49, 0, v21
	v_mul_lo_u32 v39, v18, s7
	v_mad_u64_u32 v[17:18], null, 0x84, v19, v[20:21]
	v_mul_lo_u32 v40, v19, s7
	v_mad_u64_u32 v[18:19], null, 0x84, v16, v[20:21]
	v_min_i32_e32 v19, s0, v47
	v_add_nc_u32_e32 v47, 64, v44
	v_max_i32_e32 v49, v21, v49
	v_add_nc_u32_e32 v46, v46, v48
	v_min_i32_e32 v45, s0, v44
	v_ashrrev_i32_e32 v50, 31, v19
	v_min_i32_e32 v47, s0, v47
	v_add_nc_u32_e32 v44, 0x60, v44
	v_mul_hi_u32 v52, v49, v46
	v_ashrrev_i32_e32 v42, 31, v45
	v_lshrrev_b32_e32 v48, 30, v50
	v_ashrrev_i32_e32 v50, 31, v47
	v_min_i32_e32 v44, s0, v44
	v_mul_lo_u32 v41, v16, s7
	v_lshrrev_b32_e32 v16, 30, v42
	v_add_nc_u32_e32 v46, v19, v48
	v_lshrrev_b32_e32 v48, 30, v50
	v_mul_lo_u32 v50, v52, s1
	v_ashrrev_i32_e32 v53, 31, v44
	v_add_nc_u32_e32 v16, v45, v16
	v_mul_lo_u32 v43, v45, s7
	v_lshlrev_b32_e32 v65, 5, v45
	v_mul_lo_u32 v45, v19, s7
	v_lshlrev_b32_e32 v67, 5, v19
	v_lshrrev_b32_e32 v19, 30, v53
	v_sub_nc_u32_e32 v49, v49, v50
	v_add_nc_u32_e32 v50, 1, v52
	v_and_b32_e32 v42, 7, v0
	v_add_nc_u32_e32 v48, v47, v48
	v_add_nc_u32_e32 v19, v44, v19
	v_subrev_nc_u32_e32 v53, s1, v49
	v_cmp_le_u32_e32 vcc_lo, s1, v49
	v_lshlrev_b32_e32 v51, 2, v42
	v_and_b32_e32 v16, -4, v16
	v_and_b32_e32 v19, -4, v19
	;; [unrolled: 1-line block ×3, first 2 shown]
	v_cndmask_b32_e32 v50, v52, v50, vcc_lo
	v_cndmask_b32_e32 v49, v49, v53, vcc_lo
	v_xor_b32_e32 v52, s14, v21
	v_add3_u32 v69, v19, v51, 0x4200
	v_and_b32_e32 v19, 31, v0
	v_add_nc_u32_e32 v53, 1, v50
	v_cmp_le_u32_e32 vcc_lo, s1, v49
	v_ashrrev_i32_e32 v52, 31, v52
	v_lshl_add_u32 v49, v1, 7, 0x5280
	v_and_b32_e32 v48, -4, v48
	v_lshl_add_u32 v1, v1, 4, 0x5680
	v_cndmask_b32_e32 v50, v50, v53, vcc_lo
	v_add_nc_u32_e32 v56, 64, v0
	v_add_nc_u32_e32 v57, 0x60, v0
	v_and_b32_e32 v24, 12, v20
	v_add3_u32 v16, v16, v51, 0x4200
	v_xor_b32_e32 v53, v50, v52
	v_lshl_or_b32 v50, v19, 2, v49
	v_add_nc_u32_e32 v19, 32, v0
	v_add3_u32 v66, v46, v51, 0x4200
	v_add3_u32 v48, v48, v51, 0x4200
	v_and_b32_e32 v55, 28, v20
	v_add_nc_u32_e32 v51, v1, v20
	v_sub_nc_u32_e32 v20, v53, v52
	v_lshlrev_b32_e32 v58, 5, v0
	v_and_b32_e32 v57, 0x1fc, v57
	v_and_b32_e32 v56, 0x1fc, v56
	v_and_b32_e32 v59, 0x1fc, v19
	v_and_b32_e32 v60, 0xfc, v0
	v_mul_lo_u32 v54, v20, s8
	v_mul_lo_u32 v46, v47, s7
	v_lshlrev_b32_e32 v68, 5, v47
	v_mul_lo_u32 v47, v44, s7
	v_lshlrev_b32_e32 v44, 5, v44
	v_add_nc_u32_e32 v61, v58, v57
	v_add_nc_u32_e32 v62, v58, v56
	;; [unrolled: 1-line block ×4, first 2 shown]
	v_cmp_gt_u32_e32 vcc_lo, 4, v0
	v_lshrrev_b32_e32 v53, 3, v19
	v_cmp_gt_i32_e64 s0, s11, v20
	v_add_co_u32 v19, s1, s2, v55
	v_lshrrev_b32_e32 v23, 2, v0
	v_mov_b32_e32 v22, 0
	v_mul_u32_u24_e32 v52, 0x84, v0
	v_add_co_ci_u32_e64 v20, null, s3, 0, s1
	v_ashrrev_i32_e32 v55, 31, v54
	v_add_nc_u32_e32 v56, 0x4e00, v61
	v_add_nc_u32_e32 v57, 0x4a00, v62
	;; [unrolled: 1-line block ×4, first 2 shown]
	v_mad_u32_u24 v60, 0x84, v0, 64
	v_add_nc_u32_e32 v61, 0x4e10, v61
	v_add_nc_u32_e32 v62, 0x4a10, v62
	;; [unrolled: 1-line block ×8, first 2 shown]
	v_mov_b32_e32 v48, 0
	v_mov_b32_e32 v44, 0
	v_mov_b32_e32 v16, 0
	s_mov_b32 s10, 0
	s_and_b32 s18, vcc_lo, s0
	s_branch .LBB180_5
.LBB180_4:                              ;   in Loop: Header=BB180_5 Depth=1
	s_add_i32 s10, s10, 8
	s_cmp_ge_i32 s10, s7
	s_cbranch_scc1 .LBB180_21
.LBB180_5:                              ; =>This Loop Header: Depth=1
                                        ;     Child Loop BB180_11 Depth 2
                                        ;     Child Loop BB180_19 Depth 2
	s_mul_i32 s1, s10, 20
	s_mul_hi_u32 s5, s10, 20
	s_add_u32 s4, s12, s1
	s_addc_u32 s5, s15, s5
	v_mad_u64_u32 v[69:70], null, v23, 20, s[4:5]
	v_mad_i64_i32 v[71:72], null, v25, 20, v[69:70]
	v_mad_i64_i32 v[73:74], null, v26, 20, v[69:70]
	;; [unrolled: 1-line block ×4, first 2 shown]
	v_add_co_u32 v71, s1, v71, v24
	v_mad_i64_i32 v[79:80], null, v29, 20, v[69:70]
	v_add_co_ci_u32_e64 v72, null, 0, v72, s1
	v_add_co_u32 v73, s1, v73, v24
	v_mad_i64_i32 v[81:82], null, v30, 20, v[69:70]
	v_add_co_ci_u32_e64 v74, null, 0, v74, s1
	;; [unrolled: 3-line block ×4, first 2 shown]
	v_add_co_u32 v79, s1, v79, v24
	v_add_co_ci_u32_e64 v80, null, 0, v80, s1
	v_add_co_u32 v81, s1, v81, v24
	v_add_co_ci_u32_e64 v82, null, 0, v82, s1
	;; [unrolled: 2-line block ×3, first 2 shown]
	v_add_co_u32 v85, s1, v85, v24
	v_mad_i64_i32 v[87:88], null, v33, 20, v[69:70]
	v_add_co_ci_u32_e64 v86, null, 0, v86, s1
	s_clause 0x7
	global_load_dword v93, v[71:72], off offset:4
	global_load_dword v94, v[73:74], off offset:4
	;; [unrolled: 1-line block ×8, first 2 shown]
	v_mad_i64_i32 v[71:72], null, v34, 20, v[69:70]
	v_mad_i64_i32 v[75:76], null, v35, 20, v[69:70]
	;; [unrolled: 1-line block ×3, first 2 shown]
	v_add_co_u32 v73, s1, v87, v24
	v_mad_i64_i32 v[79:80], null, v37, 20, v[69:70]
	v_add_co_ci_u32_e64 v74, null, 0, v88, s1
	v_add_co_u32 v71, s1, v71, v24
	v_mad_i64_i32 v[81:82], null, v39, 20, v[69:70]
	v_add_co_ci_u32_e64 v72, null, 0, v72, s1
	;; [unrolled: 3-line block ×4, first 2 shown]
	v_add_co_u32 v79, s1, v79, v24
	v_mad_u64_u32 v[85:86], null, v42, 20, s[4:5]
	v_add_co_ci_u32_e64 v80, null, 0, v80, s1
	v_add_co_u32 v81, s1, v81, v24
	v_add_co_ci_u32_e64 v82, null, 0, v82, s1
	v_add_co_u32 v83, s1, v83, v24
	;; [unrolled: 2-line block ×3, first 2 shown]
	v_add_co_ci_u32_e64 v70, null, 0, v70, s1
	v_mad_i64_i32 v[87:88], null, v43, 20, v[85:86]
	v_mad_i64_i32 v[89:90], null, v45, 20, v[85:86]
	v_mad_i64_i32 v[91:92], null, v46, 20, v[85:86]
	v_mad_i64_i32 v[85:86], null, v47, 20, v[85:86]
	s_clause 0xb
	global_load_dword v73, v[73:74], off offset:4
	global_load_dword v71, v[71:72], off offset:4
	global_load_dword v72, v[75:76], off offset:4
	global_load_dword v74, v[77:78], off offset:4
	global_load_dword v75, v[79:80], off offset:4
	global_load_dword v76, v[81:82], off offset:4
	global_load_dword v77, v[83:84], off offset:4
	global_load_dword v69, v[69:70], off offset:4
	global_load_dword v70, v[87:88], off
	global_load_dword v78, v[89:90], off
	;; [unrolled: 1-line block ×4, first 2 shown]
	s_lshl_b32 s4, s10, 5
	s_waitcnt vmcnt(19)
	ds_write_b32 v2, v93
	s_waitcnt vmcnt(18)
	ds_write_b32 v3, v94
	;; [unrolled: 2-line block ×20, first 2 shown]
	s_cmp_lt_i32 s4, s9
	s_cbranch_scc0 .LBB180_4
; %bb.6:                                ;   in Loop: Header=BB180_5 Depth=1
	v_add_nc_u32_e32 v69, s10, v38
	v_cmp_gt_i32_e64 s1, s8, v69
	s_and_b32 s5, s0, s1
	s_and_saveexec_b32 s1, s5
	s_cbranch_execz .LBB180_8
; %bb.7:                                ;   in Loop: Header=BB180_5 Depth=1
	v_add_nc_u32_e32 v69, v54, v69
	v_mad_i64_i32 v[69:70], null, v69, 36, v[19:20]
	global_load_dword v69, v[69:70], off offset:4
	s_waitcnt vmcnt(0)
	ds_write_b32 v50, v69
.LBB180_8:                              ;   in Loop: Header=BB180_5 Depth=1
	s_or_b32 exec_lo, exec_lo, s1
	v_add_nc_u32_e32 v69, s10, v0
	v_cmp_gt_i32_e64 s1, s8, v69
	s_and_b32 s5, s18, s1
	s_and_saveexec_b32 s1, s5
	s_cbranch_execz .LBB180_10
; %bb.9:                                ;   in Loop: Header=BB180_5 Depth=1
	v_add_nc_u32_e32 v70, v54, v69
	v_mad_i64_i32 v[70:71], null, v70, 36, s[2:3]
	global_load_dword v70, v[70:71], off
	s_waitcnt vmcnt(0)
	ds_write_b32 v51, v70
.LBB180_10:                             ;   in Loop: Header=BB180_5 Depth=1
	s_or_b32 exec_lo, exec_lo, s1
	v_mov_b32_e32 v70, v49
	v_mov_b32_e32 v71, v1
	;; [unrolled: 1-line block ×7, first 2 shown]
	s_mov_b32 s1, -4
	s_waitcnt lgkmcnt(0)
	s_barrier
	buffer_gl0_inv
.LBB180_11:                             ;   Parent Loop BB180_5 Depth=1
                                        ; =>  This Inner Loop Header: Depth=2
	v_add_nc_u32_e32 v89, 0x1080, v76
	v_add_nc_u32_e32 v91, 0x1088, v76
	;; [unrolled: 1-line block ×4, first 2 shown]
	ds_read_b128 v[77:80], v70
	ds_read_b128 v[81:84], v70 offset:16
	ds_read2_b32 v[85:86], v76 offset0:2 offset1:3
	v_add_nc_u32_e32 v97, 0x3180, v76
	ds_read2_b32 v[87:88], v76 offset1:1
	ds_read_b32 v104, v71
	ds_read_b32 v105, v72
	;; [unrolled: 1-line block ×5, first 2 shown]
	v_add_nc_u32_e32 v99, 0x3188, v76
	ds_read2_b32 v[89:90], v89 offset1:1
	ds_read2_b32 v[91:92], v91 offset1:1
	;; [unrolled: 1-line block ×6, first 2 shown]
	v_mov_b32_e32 v101, 0
	v_mov_b32_e32 v102, 0
	;; [unrolled: 1-line block ×4, first 2 shown]
	v_add_nc_u32_e32 v76, 16, v76
	v_add_nc_u32_e32 v75, 4, v75
	;; [unrolled: 1-line block ×7, first 2 shown]
	s_add_i32 s1, s1, 4
	s_waitcnt lgkmcnt(11)
	v_and_b32_e32 v110, 0xf0f0f0f, v87
	v_lshrrev_b32_e32 v87, 4, v87
	s_waitcnt lgkmcnt(5)
	v_and_b32_e32 v114, 0xf0f0f0f, v90
	v_lshrrev_b32_e32 v90, 4, v90
	s_waitcnt lgkmcnt(4)
	v_and_b32_e32 v115, 0xf0f0f0f, v91
	v_dot4c_i32_i8 v101, v110, v77
	v_and_b32_e32 v87, 0xf0f0f0f, v87
	v_and_b32_e32 v110, 0xf0f0f0f, v89
	v_lshrrev_b32_e32 v89, 4, v89
	v_lshrrev_b32_e32 v91, 4, v91
	s_waitcnt lgkmcnt(3)
	v_and_b32_e32 v117, 0xf0f0f0f, v93
	v_lshrrev_b32_e32 v93, 4, v93
	s_waitcnt lgkmcnt(1)
	v_and_b32_e32 v121, 0xf0f0f0f, v97
	v_lshrrev_b32_e32 v97, 4, v97
	v_dot4c_i32_i8 v101, v87, v81
	v_and_b32_e32 v87, 0xf0f0f0f, v89
	v_dot4c_i32_i8 v102, v110, v77
	v_and_b32_e32 v89, 0xf0f0f0f, v90
	v_and_b32_e32 v90, 0xf0f0f0f, v91
	;; [unrolled: 1-line block ×3, first 2 shown]
	v_dot4c_i32_i8 v103, v117, v77
	v_and_b32_e32 v93, 0xf0f0f0f, v97
	v_dot4c_i32_i8 v109, v121, v77
	v_and_b32_e32 v111, 0xf0f0f0f, v88
	v_lshrrev_b32_e32 v88, 4, v88
	v_and_b32_e32 v116, 0xf0f0f0f, v92
	v_lshrrev_b32_e32 v92, 4, v92
	;; [unrolled: 2-line block ×4, first 2 shown]
	v_dot4c_i32_i8 v102, v87, v81
	v_dot4c_i32_i8 v103, v91, v81
	;; [unrolled: 1-line block ×3, first 2 shown]
	v_and_b32_e32 v88, 0xf0f0f0f, v88
	v_and_b32_e32 v77, 0xf0f0f0f, v92
	;; [unrolled: 1-line block ×4, first 2 shown]
	v_dot4c_i32_i8 v101, v111, v78
	v_dot4c_i32_i8 v102, v114, v78
	;; [unrolled: 1-line block ×4, first 2 shown]
	v_and_b32_e32 v112, 0xf0f0f0f, v85
	v_lshrrev_b32_e32 v85, 4, v85
	v_and_b32_e32 v119, 0xf0f0f0f, v95
	v_lshrrev_b32_e32 v95, 4, v95
	s_waitcnt lgkmcnt(0)
	v_and_b32_e32 v123, 0xf0f0f0f, v99
	v_lshrrev_b32_e32 v99, 4, v99
	v_dot4c_i32_i8 v101, v88, v82
	v_dot4c_i32_i8 v102, v89, v82
	;; [unrolled: 1-line block ×4, first 2 shown]
	v_and_b32_e32 v85, 0xf0f0f0f, v85
	v_and_b32_e32 v78, 0xf0f0f0f, v95
	;; [unrolled: 1-line block ×3, first 2 shown]
	v_dot4c_i32_i8 v101, v112, v79
	v_dot4c_i32_i8 v102, v115, v79
	;; [unrolled: 1-line block ×4, first 2 shown]
	v_and_b32_e32 v113, 0xf0f0f0f, v86
	v_lshrrev_b32_e32 v86, 4, v86
	v_and_b32_e32 v120, 0xf0f0f0f, v96
	v_lshrrev_b32_e32 v96, 4, v96
	;; [unrolled: 2-line block ×3, first 2 shown]
	v_dot4c_i32_i8 v101, v85, v83
	v_dot4c_i32_i8 v102, v90, v83
	v_dot4c_i32_i8 v103, v78, v83
	v_dot4c_i32_i8 v109, v81, v83
	v_and_b32_e32 v86, 0xf0f0f0f, v86
	v_and_b32_e32 v79, 0xf0f0f0f, v96
	;; [unrolled: 1-line block ×3, first 2 shown]
	v_dot4c_i32_i8 v101, v113, v80
	v_dot4c_i32_i8 v102, v116, v80
	;; [unrolled: 1-line block ×4, first 2 shown]
	v_pk_mul_f16 v105, v104, v105
	v_dot4c_i32_i8 v101, v86, v84
	v_dot4c_i32_i8 v102, v77, v84
	;; [unrolled: 1-line block ×4, first 2 shown]
	v_pk_mul_f16 v106, v104, v106
	v_pk_mul_f16 v80, v104, v107
	;; [unrolled: 1-line block ×3, first 2 shown]
	v_cvt_f32_i32_e32 v78, v101
	v_cvt_f32_i32_e32 v79, v102
	;; [unrolled: 1-line block ×4, first 2 shown]
	s_cmp_lt_u32 s1, 12
	v_fma_mix_f32 v78, v105, v78, v105 op_sel:[0,0,1] op_sel_hi:[1,0,1]
	v_fma_mix_f32 v79, v106, v79, v106 op_sel:[0,0,1] op_sel_hi:[1,0,1]
	;; [unrolled: 1-line block ×4, first 2 shown]
	v_add_f32_e32 v22, v22, v78
	v_add_f32_e32 v48, v48, v79
	v_add_f32_e32 v44, v44, v80
	v_add_f32_e32 v16, v16, v77
	s_cbranch_scc1 .LBB180_11
; %bb.12:                               ;   in Loop: Header=BB180_5 Depth=1
	s_bitset1_b32 s4, 7
	s_cmp_ge_i32 s4, s9
	s_barrier
	buffer_gl0_inv
	s_cbranch_scc1 .LBB180_4
; %bb.13:                               ;   in Loop: Header=BB180_5 Depth=1
	v_add_nc_u32_e32 v70, s10, v53
	v_cmp_gt_i32_e64 s1, s8, v70
	s_and_b32 s4, s0, s1
	s_and_saveexec_b32 s1, s4
	s_cbranch_execz .LBB180_15
; %bb.14:                               ;   in Loop: Header=BB180_5 Depth=1
	v_add_nc_u32_e32 v70, v54, v70
	v_mad_i64_i32 v[70:71], null, v70, 36, v[19:20]
	global_load_dword v70, v[70:71], off offset:4
	s_waitcnt vmcnt(0)
	ds_write_b32 v50, v70
.LBB180_15:                             ;   in Loop: Header=BB180_5 Depth=1
	s_or_b32 exec_lo, exec_lo, s1
	s_and_saveexec_b32 s4, vcc_lo
	s_cbranch_execz .LBB180_18
; %bb.16:                               ;   in Loop: Header=BB180_5 Depth=1
	v_or_b32_e32 v70, 4, v69
	v_cmp_gt_i32_e64 s1, s8, v70
	s_and_b32 s1, s0, s1
	s_and_b32 exec_lo, exec_lo, s1
	s_cbranch_execz .LBB180_18
; %bb.17:                               ;   in Loop: Header=BB180_5 Depth=1
	v_ashrrev_i32_e32 v70, 31, v69
	v_add_co_u32 v69, s1, v54, v69
	v_add_co_ci_u32_e64 v71, null, v55, v70, s1
	v_mad_u64_u32 v[69:70], null, v69, 36, s[2:3]
	v_mad_i32_i24 v70, v71, 36, v70
	global_load_dword v69, v[69:70], off offset:144
	s_waitcnt vmcnt(0)
	ds_write_b32 v51, v69
.LBB180_18:                             ;   in Loop: Header=BB180_5 Depth=1
	s_or_b32 exec_lo, exec_lo, s4
	v_mov_b32_e32 v69, v1
	v_mov_b32_e32 v70, v49
	;; [unrolled: 1-line block ×7, first 2 shown]
	s_mov_b32 s1, 12
	s_waitcnt lgkmcnt(0)
	s_barrier
	buffer_gl0_inv
.LBB180_19:                             ;   Parent Loop BB180_5 Depth=1
                                        ; =>  This Inner Loop Header: Depth=2
	ds_read_b128 v[76:79], v70
	ds_read_b128 v[80:83], v70 offset:16
	ds_read_b32 v100, v69
	ds_read2_b32 v[84:85], v75 offset1:1
	v_add_nc_u32_e32 v88, 0x1080, v75
	v_add_nc_u32_e32 v90, 0x1088, v75
	;; [unrolled: 1-line block ×6, first 2 shown]
	ds_read2_b32 v[86:87], v75 offset0:2 offset1:3
	ds_read_b32 v104, v71
	ds_read_b32 v105, v72
	;; [unrolled: 1-line block ×4, first 2 shown]
	ds_read2_b32 v[88:89], v88 offset1:1
	ds_read2_b32 v[90:91], v90 offset1:1
	;; [unrolled: 1-line block ×6, first 2 shown]
	v_mov_b32_e32 v101, 0
	v_mov_b32_e32 v102, 0
	;; [unrolled: 1-line block ×4, first 2 shown]
	v_add_nc_u32_e32 v75, 16, v75
	v_add_nc_u32_e32 v74, 4, v74
	;; [unrolled: 1-line block ×6, first 2 shown]
	s_waitcnt lgkmcnt(11)
	v_and_b32_e32 v109, 0xf0f0f0f, v84
	v_lshrrev_b32_e32 v84, 4, v84
	v_and_b32_e32 v110, 0xf0f0f0f, v85
	v_lshrrev_b32_e32 v85, 4, v85
	s_waitcnt lgkmcnt(5)
	v_and_b32_e32 v113, 0xf0f0f0f, v89
	v_dot4c_i32_i8 v101, v109, v76
	v_and_b32_e32 v84, 0xf0f0f0f, v84
	v_and_b32_e32 v109, 0xf0f0f0f, v88
	v_lshrrev_b32_e32 v88, 4, v88
	v_lshrrev_b32_e32 v89, 4, v89
	s_waitcnt lgkmcnt(4)
	v_and_b32_e32 v114, 0xf0f0f0f, v90
	v_lshrrev_b32_e32 v90, 4, v90
	s_waitcnt lgkmcnt(3)
	v_and_b32_e32 v116, 0xf0f0f0f, v92
	;; [unrolled: 3-line block ×3, first 2 shown]
	v_lshrrev_b32_e32 v96, 4, v96
	v_dot4c_i32_i8 v101, v84, v80
	v_and_b32_e32 v84, 0xf0f0f0f, v88
	v_dot4c_i32_i8 v102, v109, v76
	v_and_b32_e32 v88, 0xf0f0f0f, v89
	v_and_b32_e32 v89, 0xf0f0f0f, v90
	;; [unrolled: 1-line block ×3, first 2 shown]
	v_dot4c_i32_i8 v103, v116, v76
	v_and_b32_e32 v92, 0xf0f0f0f, v96
	v_dot4c_i32_i8 v108, v120, v76
	v_and_b32_e32 v115, 0xf0f0f0f, v91
	v_lshrrev_b32_e32 v91, 4, v91
	v_and_b32_e32 v117, 0xf0f0f0f, v93
	v_lshrrev_b32_e32 v93, 4, v93
	;; [unrolled: 2-line block ×3, first 2 shown]
	v_dot4c_i32_i8 v102, v84, v80
	v_dot4c_i32_i8 v103, v90, v80
	;; [unrolled: 1-line block ×3, first 2 shown]
	v_and_b32_e32 v85, 0xf0f0f0f, v85
	v_and_b32_e32 v76, 0xf0f0f0f, v91
	;; [unrolled: 1-line block ×4, first 2 shown]
	v_dot4c_i32_i8 v101, v110, v77
	v_dot4c_i32_i8 v102, v113, v77
	;; [unrolled: 1-line block ×4, first 2 shown]
	v_and_b32_e32 v111, 0xf0f0f0f, v86
	v_lshrrev_b32_e32 v86, 4, v86
	v_and_b32_e32 v118, 0xf0f0f0f, v94
	v_lshrrev_b32_e32 v94, 4, v94
	s_waitcnt lgkmcnt(0)
	v_and_b32_e32 v122, 0xf0f0f0f, v98
	v_lshrrev_b32_e32 v98, 4, v98
	v_dot4c_i32_i8 v101, v85, v81
	v_dot4c_i32_i8 v102, v88, v81
	;; [unrolled: 1-line block ×4, first 2 shown]
	v_and_b32_e32 v86, 0xf0f0f0f, v86
	v_and_b32_e32 v77, 0xf0f0f0f, v94
	;; [unrolled: 1-line block ×3, first 2 shown]
	v_dot4c_i32_i8 v101, v111, v78
	v_dot4c_i32_i8 v102, v114, v78
	;; [unrolled: 1-line block ×4, first 2 shown]
	v_and_b32_e32 v112, 0xf0f0f0f, v87
	v_lshrrev_b32_e32 v87, 4, v87
	v_and_b32_e32 v119, 0xf0f0f0f, v95
	v_lshrrev_b32_e32 v95, 4, v95
	;; [unrolled: 2-line block ×3, first 2 shown]
	v_dot4c_i32_i8 v101, v86, v82
	v_dot4c_i32_i8 v102, v89, v82
	v_dot4c_i32_i8 v103, v77, v82
	v_dot4c_i32_i8 v108, v80, v82
	v_and_b32_e32 v87, 0xf0f0f0f, v87
	v_and_b32_e32 v78, 0xf0f0f0f, v95
	;; [unrolled: 1-line block ×3, first 2 shown]
	v_dot4c_i32_i8 v101, v112, v79
	v_dot4c_i32_i8 v102, v115, v79
	;; [unrolled: 1-line block ×4, first 2 shown]
	v_pk_mul_f16 v104, v100, v104
	v_dot4c_i32_i8 v101, v87, v83
	v_dot4c_i32_i8 v102, v76, v83
	;; [unrolled: 1-line block ×4, first 2 shown]
	v_pk_mul_f16 v105, v100, v105
	v_pk_mul_f16 v79, v100, v106
	;; [unrolled: 1-line block ×3, first 2 shown]
	v_cvt_f32_i32_e32 v77, v101
	v_cvt_f32_i32_e32 v78, v102
	;; [unrolled: 1-line block ×4, first 2 shown]
	v_add_nc_u32_e32 v69, 4, v69
	v_fma_mix_f32 v77, v104, v77, v104 op_sel:[0,0,1] op_sel_hi:[1,0,1]
	v_fma_mix_f32 v78, v105, v78, v105 op_sel:[0,0,1] op_sel_hi:[1,0,1]
	;; [unrolled: 1-line block ×4, first 2 shown]
	s_add_i32 s1, s1, 4
	v_add_f32_e32 v22, v22, v77
	v_add_f32_e32 v48, v48, v78
	;; [unrolled: 1-line block ×4, first 2 shown]
	s_cmp_lt_u32 s1, 28
	s_cbranch_scc1 .LBB180_19
; %bb.20:                               ;   in Loop: Header=BB180_5 Depth=1
	s_barrier
	buffer_gl0_inv
	s_branch .LBB180_4
.LBB180_21:
	s_mul_i32 s0, s14, s11
	s_waitcnt vmcnt(0)
	v_cmp_gt_i32_e32 vcc_lo, s0, v21
	s_and_saveexec_b32 s0, vcc_lo
	s_cbranch_execz .LBB180_30
; %bb.22:
	v_add_nc_u32_e32 v1, s6, v0
	v_mul_lo_u32 v0, v21, s13
	s_mov_b32 s0, exec_lo
	v_cmpx_gt_u32_e64 s13, v1
	s_cbranch_execz .LBB180_24
; %bb.23:
	v_add_nc_u32_e32 v2, v0, v1
	v_mov_b32_e32 v3, 0
	v_lshlrev_b64 v[2:3], 2, v[2:3]
	v_add_co_u32 v2, vcc_lo, s16, v2
	v_add_co_ci_u32_e64 v3, null, s17, v3, vcc_lo
	global_store_dword v[2:3], v22, off
.LBB180_24:
	s_or_b32 exec_lo, exec_lo, s0
	v_add_nc_u32_e32 v2, 32, v1
	s_mov_b32 s0, exec_lo
	v_cmpx_gt_u32_e64 s13, v2
	s_cbranch_execz .LBB180_26
; %bb.25:
	v_add_nc_u32_e32 v2, v0, v2
	v_mov_b32_e32 v3, 0
	v_lshlrev_b64 v[2:3], 2, v[2:3]
	v_add_co_u32 v2, vcc_lo, s16, v2
	v_add_co_ci_u32_e64 v3, null, s17, v3, vcc_lo
	global_store_dword v[2:3], v48, off
.LBB180_26:
	s_or_b32 exec_lo, exec_lo, s0
	v_add_nc_u32_e32 v2, 64, v1
	;; [unrolled: 13-line block ×3, first 2 shown]
	v_cmp_gt_u32_e32 vcc_lo, s13, v1
	s_and_b32 exec_lo, exec_lo, vcc_lo
	s_cbranch_execz .LBB180_30
; %bb.29:
	v_add_nc_u32_e32 v0, v0, v1
	v_mov_b32_e32 v1, 0
	v_lshlrev_b64 v[0:1], 2, v[0:1]
	v_add_co_u32 v0, vcc_lo, s16, v0
	v_add_co_ci_u32_e64 v1, null, s17, v1, vcc_lo
	global_store_dword v[0:1], v16, off
.LBB180_30:
	s_endpgm
	.section	.rodata,"a",@progbits
	.p2align	6, 0x0
	.amdhsa_kernel _ZL8moe_q4_1IfLb1EEvPKvS1_PT_PKiS5_S5_iiiiiii
		.amdhsa_group_segment_fixed_size 22272
		.amdhsa_private_segment_fixed_size 0
		.amdhsa_kernarg_size 76
		.amdhsa_user_sgpr_count 6
		.amdhsa_user_sgpr_private_segment_buffer 1
		.amdhsa_user_sgpr_dispatch_ptr 0
		.amdhsa_user_sgpr_queue_ptr 0
		.amdhsa_user_sgpr_kernarg_segment_ptr 1
		.amdhsa_user_sgpr_dispatch_id 0
		.amdhsa_user_sgpr_flat_scratch_init 0
		.amdhsa_user_sgpr_private_segment_size 0
		.amdhsa_wavefront_size32 1
		.amdhsa_uses_dynamic_stack 0
		.amdhsa_system_sgpr_private_segment_wavefront_offset 0
		.amdhsa_system_sgpr_workgroup_id_x 1
		.amdhsa_system_sgpr_workgroup_id_y 1
		.amdhsa_system_sgpr_workgroup_id_z 0
		.amdhsa_system_sgpr_workgroup_info 0
		.amdhsa_system_vgpr_workitem_id 1
		.amdhsa_next_free_vgpr 125
		.amdhsa_next_free_sgpr 19
		.amdhsa_reserve_vcc 1
		.amdhsa_reserve_flat_scratch 0
		.amdhsa_float_round_mode_32 0
		.amdhsa_float_round_mode_16_64 0
		.amdhsa_float_denorm_mode_32 3
		.amdhsa_float_denorm_mode_16_64 3
		.amdhsa_dx10_clamp 1
		.amdhsa_ieee_mode 1
		.amdhsa_fp16_overflow 0
		.amdhsa_workgroup_processor_mode 1
		.amdhsa_memory_ordered 1
		.amdhsa_forward_progress 1
		.amdhsa_shared_vgpr_count 0
		.amdhsa_exception_fp_ieee_invalid_op 0
		.amdhsa_exception_fp_denorm_src 0
		.amdhsa_exception_fp_ieee_div_zero 0
		.amdhsa_exception_fp_ieee_overflow 0
		.amdhsa_exception_fp_ieee_underflow 0
		.amdhsa_exception_fp_ieee_inexact 0
		.amdhsa_exception_int_div_zero 0
	.end_amdhsa_kernel
	.section	.text._ZL8moe_q4_1IfLb1EEvPKvS1_PT_PKiS5_S5_iiiiiii,"axG",@progbits,_ZL8moe_q4_1IfLb1EEvPKvS1_PT_PKiS5_S5_iiiiiii,comdat
.Lfunc_end180:
	.size	_ZL8moe_q4_1IfLb1EEvPKvS1_PT_PKiS5_S5_iiiiiii, .Lfunc_end180-_ZL8moe_q4_1IfLb1EEvPKvS1_PT_PKiS5_S5_iiiiiii
                                        ; -- End function
	.set _ZL8moe_q4_1IfLb1EEvPKvS1_PT_PKiS5_S5_iiiiiii.num_vgpr, 125
	.set _ZL8moe_q4_1IfLb1EEvPKvS1_PT_PKiS5_S5_iiiiiii.num_agpr, 0
	.set _ZL8moe_q4_1IfLb1EEvPKvS1_PT_PKiS5_S5_iiiiiii.numbered_sgpr, 19
	.set _ZL8moe_q4_1IfLb1EEvPKvS1_PT_PKiS5_S5_iiiiiii.num_named_barrier, 0
	.set _ZL8moe_q4_1IfLb1EEvPKvS1_PT_PKiS5_S5_iiiiiii.private_seg_size, 0
	.set _ZL8moe_q4_1IfLb1EEvPKvS1_PT_PKiS5_S5_iiiiiii.uses_vcc, 1
	.set _ZL8moe_q4_1IfLb1EEvPKvS1_PT_PKiS5_S5_iiiiiii.uses_flat_scratch, 0
	.set _ZL8moe_q4_1IfLb1EEvPKvS1_PT_PKiS5_S5_iiiiiii.has_dyn_sized_stack, 0
	.set _ZL8moe_q4_1IfLb1EEvPKvS1_PT_PKiS5_S5_iiiiiii.has_recursion, 0
	.set _ZL8moe_q4_1IfLb1EEvPKvS1_PT_PKiS5_S5_iiiiiii.has_indirect_call, 0
	.section	.AMDGPU.csdata,"",@progbits
; Kernel info:
; codeLenInByte = 4528
; TotalNumSgprs: 21
; NumVgprs: 125
; ScratchSize: 0
; MemoryBound: 0
; FloatMode: 240
; IeeeMode: 1
; LDSByteSize: 22272 bytes/workgroup (compile time only)
; SGPRBlocks: 0
; VGPRBlocks: 15
; NumSGPRsForWavesPerEU: 21
; NumVGPRsForWavesPerEU: 125
; Occupancy: 8
; WaveLimiterHint : 1
; COMPUTE_PGM_RSRC2:SCRATCH_EN: 0
; COMPUTE_PGM_RSRC2:USER_SGPR: 6
; COMPUTE_PGM_RSRC2:TRAP_HANDLER: 0
; COMPUTE_PGM_RSRC2:TGID_X_EN: 1
; COMPUTE_PGM_RSRC2:TGID_Y_EN: 1
; COMPUTE_PGM_RSRC2:TGID_Z_EN: 0
; COMPUTE_PGM_RSRC2:TIDIG_COMP_CNT: 1
	.section	.text._ZL8moe_q5_0IfLb0EEvPKvS1_PT_PKiS5_S5_iiiiiii,"axG",@progbits,_ZL8moe_q5_0IfLb0EEvPKvS1_PT_PKiS5_S5_iiiiiii,comdat
	.globl	_ZL8moe_q5_0IfLb0EEvPKvS1_PT_PKiS5_S5_iiiiiii ; -- Begin function _ZL8moe_q5_0IfLb0EEvPKvS1_PT_PKiS5_S5_iiiiiii
	.p2align	8
	.type	_ZL8moe_q5_0IfLb0EEvPKvS1_PT_PKiS5_S5_iiiiiii,@function
_ZL8moe_q5_0IfLb0EEvPKvS1_PT_PKiS5_S5_iiiiiii: ; @_ZL8moe_q5_0IfLb0EEvPKvS1_PT_PKiS5_S5_iiiiiii
; %bb.0:
	s_load_dwordx4 s[0:3], s[4:5], 0x18
	s_mov_b32 s8, s7
	s_mov_b32 s9, 0
	s_lshl_b64 s[10:11], s[8:9], 2
	s_waitcnt lgkmcnt(0)
	s_add_u32 s2, s2, s10
	s_addc_u32 s3, s3, s11
	s_load_dword s14, s[2:3], 0x0
	s_waitcnt lgkmcnt(0)
	s_cmpk_gt_u32 s14, 0xff
	s_cbranch_scc1 .LBB181_26
; %bb.1:
	s_load_dwordx2 s[2:3], s[4:5], 0x28
	s_waitcnt lgkmcnt(0)
	s_load_dword s3, s[2:3], 0x0
	s_lshl_b32 s2, s8, 3
	s_waitcnt lgkmcnt(0)
	s_cmp_gt_u32 s2, s3
	s_cbranch_scc1 .LBB181_26
; %bb.2:
	v_add_nc_u32_e32 v8, s2, v1
	v_mov_b32_e32 v9, 0
	s_lshl_b32 s16, s6, 7
	v_lshlrev_b64 v[2:3], 2, v[8:9]
	v_mov_b32_e32 v105, v9
	v_mov_b32_e32 v110, v9
	;; [unrolled: 1-line block ×3, first 2 shown]
	v_add_co_u32 v2, vcc_lo, s0, v2
	v_add_co_ci_u32_e64 v3, null, s1, v3, vcc_lo
	global_load_dword v10, v[2:3], off
	s_clause 0x2
	s_load_dwordx2 s[12:13], s[4:5], 0x30
	s_load_dwordx2 s[2:3], s[4:5], 0x10
	s_load_dwordx4 s[8:11], s[4:5], 0x3c
	s_waitcnt lgkmcnt(0)
	s_cmp_lt_i32 s13, 32
	s_cbranch_scc1 .LBB181_17
; %bb.3:
	s_abs_i32 s15, s11
	v_lshlrev_b32_e32 v5, 3, v0
	v_cvt_f32_u32_e32 v7, s15
	s_ashr_i32 s0, s13, 31
	s_sub_i32 s19, 0, s15
	s_lshr_b32 s0, s0, 27
	v_mad_u32_u24 v14, 0x104, v1, v5
	v_rcp_iflag_f32_e32 v5, v7
	s_add_i32 s0, s13, s0
	s_mul_i32 s12, s14, s12
	s_ashr_i32 s17, s0, 5
	s_waitcnt vmcnt(0)
	v_sub_nc_u32_e32 v6, 0, v10
	v_mul_lo_u32 v9, s17, v1
	s_lshl_b32 s14, s17, 3
	v_lshrrev_b32_e32 v12, 3, v0
	v_and_b32_e32 v2, 7, v0
	v_max_i32_e32 v6, v10, v6
	v_mul_f32_e32 v5, 0x4f7ffffe, v5
	s_ashr_i32 s1, s9, 31
	v_lshl_add_u32 v7, v1, 2, v12
	v_add_nc_u32_e32 v42, s14, v9
	v_lshlrev_b32_e32 v8, 2, v2
	v_cvt_u32_f32_e32 v5, v5
	s_lshr_b32 s1, s1, 27
	v_and_b32_e32 v31, 0x7fc, v7
	v_add_nc_u32_e32 v47, s14, v42
	v_add_nc_u32_e32 v32, 32, v7
	v_mul_lo_u32 v28, s19, v5
	v_mul_lo_u32 v103, s17, v7
	v_add3_u32 v117, v31, v8, 0x8200
	v_add_nc_u32_e32 v51, s14, v47
	v_and_b32_e32 v31, 0xffc, v32
	v_lshlrev_b32_e32 v118, 5, v32
	v_lshlrev_b32_e32 v110, 5, v7
	s_load_dwordx4 s[4:7], s[4:5], 0x0
	v_mul_hi_u32 v30, v5, v28
	v_add_nc_u32_e32 v55, s14, v51
	v_add3_u32 v120, v31, v8, 0x8200
	s_add_i32 s1, s9, s1
	v_lshlrev_b32_e32 v4, 2, v0
	s_ashr_i32 s9, s1, 5
	v_add_nc_u32_e32 v59, s14, v55
	v_add_nc_u32_e32 v34, 0x60, v0
	v_add_nc_u32_e32 v5, v5, v30
	v_add_nc_u32_e32 v30, 64, v7
	v_add_nc_u32_e32 v7, 0x60, v7
	v_add_nc_u32_e32 v63, s14, v59
	s_andn2_b32 s0, s0, 31
	v_mul_hi_u32 v5, v6, v5
	v_and_b32_e32 v32, 0xffc, v30
	v_lshlrev_b32_e32 v119, 5, v30
	v_and_b32_e32 v33, 0xffc, v7
	v_add_nc_u32_e32 v67, s14, v63
	v_add_nc_u32_e32 v107, s0, v103
	v_add3_u32 v121, v32, v8, 0x8200
	v_lshl_add_u32 v32, v1, 4, 0x9680
	v_mul_lo_u32 v30, v5, s15
	v_add3_u32 v122, v33, v8, 0x8200
	v_add_nc_u32_e32 v8, 1, v5
	v_add_nc_u32_e32 v71, s14, v67
	v_and_b32_e32 v13, 12, v4
	v_and_b32_e32 v40, 28, v4
	;; [unrolled: 1-line block ×3, first 2 shown]
	v_lshlrev_b32_e32 v39, 5, v34
	v_sub_nc_u32_e32 v6, v6, v30
	v_add_nc_u32_e32 v75, s14, v71
	v_lshl_add_u32 v30, v1, 7, 0x9280
	v_add_nc_u32_e32 v111, s0, v107
	v_lshlrev_b32_e32 v123, 5, v7
	v_subrev_nc_u32_e32 v31, s15, v6
	v_cmp_le_u32_e32 vcc_lo, s15, v6
	v_add_nc_u32_e32 v79, s14, v75
	v_and_b32_e32 v7, 31, v0
	v_lshrrev_b32_e32 v3, 2, v0
	v_add3_u32 v38, v39, v38, 0x8200
	v_cndmask_b32_e32 v5, v5, v8, vcc_lo
	v_cndmask_b32_e32 v6, v6, v31, vcc_lo
	v_xor_b32_e32 v8, s11, v10
	v_add_nc_u32_e32 v83, s14, v79
	s_mul_i32 s20, s17, s16
	v_add_nc_u32_e32 v33, 1, v5
	v_cmp_le_u32_e32 vcc_lo, s15, v6
	v_ashrrev_i32_e32 v1, 31, v8
	v_add_nc_u32_e32 v87, s14, v83
	v_add_nc_u32_e32 v8, 64, v0
	;; [unrolled: 1-line block ×3, first 2 shown]
	v_cndmask_b32_e32 v5, v5, v33, vcc_lo
	v_add_nc_u32_e32 v33, v32, v4
	v_add_nc_u32_e32 v91, s14, v87
	;; [unrolled: 1-line block ×3, first 2 shown]
	v_lshl_or_b32 v31, v7, 2, v30
	v_xor_b32_e32 v5, v5, v1
	v_and_b32_e32 v6, 0xfc, v0
	v_add_nc_u32_e32 v95, s14, v91
	v_and_b32_e32 v36, 0x1fc, v4
	v_lshrrev_b32_e32 v39, 3, v4
	v_sub_nc_u32_e32 v1, v5, v1
	v_lshlrev_b32_e32 v5, 5, v4
	v_add_nc_u32_e32 v99, s14, v95
	v_lshlrev_b32_e32 v7, 5, v0
	v_and_b32_e32 v37, 0x1fc, v8
	v_mul_lo_u32 v43, v1, s9
	v_lshlrev_b32_e32 v8, 5, v8
	v_cmp_gt_i32_e64 s0, s8, v1
	s_mul_hi_i32 s15, s20, 22
	s_mul_i32 s14, s20, 22
	v_add3_u32 v35, v7, v6, 0x8200
	v_add3_u32 v37, v8, v37, 0x8200
	;; [unrolled: 1-line block ×3, first 2 shown]
	v_ashrrev_i32_e32 v4, 31, v43
	v_add_co_u32 v1, s1, v43, v0
	v_mul_hi_u32_u24_e32 v113, 22, v2
	v_mul_u32_u24_e32 v114, 22, v2
	v_add_co_ci_u32_e64 v41, null, 0, v4, s1
	v_mad_u64_u32 v[3:4], null, v3, 22, s[14:15]
	s_waitcnt lgkmcnt(0)
	v_mad_u64_u32 v[7:8], null, v1, 36, s[6:7]
	v_add_co_u32 v5, s1, s6, v40
	v_add_co_ci_u32_e64 v6, null, s7, 0, s1
	v_mad_u64_u32 v[45:46], null, v9, 22, v[3:4]
	v_mad_i32_i24 v1, v41, 36, v8
	v_add_co_u32 v7, s1, 0x90, v7
	v_mad_u64_u32 v[49:50], null, v42, 22, v[3:4]
	v_add_co_ci_u32_e64 v8, null, 0, v1, s1
	v_add_co_u32 v1, s1, v45, v13
	v_add_co_ci_u32_e64 v9, null, 0, v46, s1
	v_add_nc_u32_e32 v40, v39, v43
	v_add_co_u32 v1, s1, s4, v1
	v_add_co_ci_u32_e64 v9, null, s5, v9, s1
	v_add_nc_u32_e32 v41, v12, v43
	v_add_nc_u32_e32 v42, v0, v43
	v_add_co_u32 v43, s1, v1, 6
	v_add_co_ci_u32_e64 v44, null, 0, v9, s1
	v_add_co_u32 v1, s1, v49, v13
	v_add_co_ci_u32_e64 v9, null, 0, v50, s1
	;; [unrolled: 2-line block ×3, first 2 shown]
	v_add_co_u32 v1, s1, s4, v1
	v_mad_u64_u32 v[53:54], null, v47, 22, v[3:4]
	v_add_co_ci_u32_e64 v9, null, s5, v9, s1
	v_add_co_u32 v47, s1, v1, 6
	v_mad_u64_u32 v[57:58], null, v51, 22, v[3:4]
	v_add_co_ci_u32_e64 v48, null, 0, v9, s1
	v_add_co_u32 v1, s1, s4, v49
	v_add_co_ci_u32_e64 v9, null, s5, v50, s1
	v_add_co_u32 v52, s1, v53, v13
	v_add_co_ci_u32_e64 v56, null, 0, v54, s1
	v_add_co_u32 v49, s1, v1, 2
	v_add_co_ci_u32_e64 v50, null, 0, v9, s1
	v_add_co_u32 v1, s1, s4, v52
	v_add_co_ci_u32_e64 v9, null, s5, v56, s1
	v_mad_u64_u32 v[61:62], null, v55, 22, v[3:4]
	v_add_co_u32 v51, s1, v1, 6
	v_add_co_ci_u32_e64 v52, null, 0, v9, s1
	v_add_co_u32 v1, s1, s4, v53
	v_add_co_ci_u32_e64 v9, null, s5, v54, s1
	v_add_co_u32 v56, s1, v57, v13
	v_add_co_ci_u32_e64 v60, null, 0, v58, s1
	v_add_co_u32 v53, s1, v1, 2
	v_add_co_ci_u32_e64 v54, null, 0, v9, s1
	v_add_co_u32 v1, s1, s4, v56
	v_add_co_ci_u32_e64 v9, null, s5, v60, s1
	v_mad_u64_u32 v[65:66], null, v59, 22, v[3:4]
	v_add_co_u32 v55, s1, v1, 6
	;; [unrolled: 11-line block ×12, first 2 shown]
	v_add_co_ci_u32_e64 v96, null, 0, v9, s1
	v_add_co_u32 v1, s1, s4, v97
	v_add_co_ci_u32_e64 v9, null, s5, v98, s1
	v_add_co_u32 v100, s1, v101, v13
	;; [unrolled: 2-line block ×4, first 2 shown]
	v_add_co_ci_u32_e64 v9, null, s5, v104, s1
	v_cmp_gt_u32_e32 vcc_lo, 4, v0
	v_add_co_u32 v99, s1, v1, 6
	v_add_co_ci_u32_e64 v100, null, 0, v9, s1
	v_add_co_u32 v1, s1, s4, v101
	v_add_co_ci_u32_e64 v9, null, s5, v102, s1
	;; [unrolled: 2-line block ×5, first 2 shown]
	v_mad_u64_u32 v[105:106], null, v103, 22, 0
	v_add_co_u32 v103, s1, v1, 6
	v_add_co_ci_u32_e64 v104, null, 0, v9, s1
	v_add_co_u32 v3, s1, s4, v3
	v_mad_u64_u32 v[1:2], null, v107, 22, 0
	v_add_co_ci_u32_e64 v4, null, s5, v4, s1
	v_add_co_u32 v9, s1, s14, v105
	v_add_co_ci_u32_e64 v105, null, s15, v106, s1
	v_add_co_u32 v106, s1, v3, 2
	;; [unrolled: 2-line block ×6, first 2 shown]
	v_add_co_ci_u32_e64 v105, null, v2, v113, s1
	v_mad_u64_u32 v[1:2], null, v111, 22, 0
	v_mad_u64_u32 v[3:4], null, v112, 22, 0
	v_add_co_u32 v111, s1, s4, v9
	v_add_co_ci_u32_e64 v112, null, s5, v105, s1
	v_add_co_u32 v1, s1, s14, v1
	v_add_co_ci_u32_e64 v2, null, s15, v2, s1
	;; [unrolled: 2-line block ×6, first 2 shown]
	v_add_co_u32 v115, s1, s4, v3
	v_mov_b32_e32 v11, 0
	v_add_nc_u32_e32 v15, 0x820, v14
	v_add_nc_u32_e32 v16, 0x1040, v14
	;; [unrolled: 1-line block ×15, first 2 shown]
	v_mul_u32_u24_e32 v34, 0x104, v0
	v_add_co_ci_u32_e64 v116, null, s5, v4, s1
	v_add_nc_u32_e32 v117, v117, v110
	v_add_nc_u32_e32 v118, v120, v118
	;; [unrolled: 1-line block ×4, first 2 shown]
	v_mov_b32_e32 v110, 0
	v_mov_b32_e32 v105, 0
	;; [unrolled: 1-line block ×3, first 2 shown]
	s_ashr_i32 s18, s12, 31
	s_mov_b32 s4, 0
	s_and_b32 s5, vcc_lo, s0
	s_movk_i32 s14, 0x80
	s_branch .LBB181_6
.LBB181_4:                              ;   in Loop: Header=BB181_6 Depth=1
	s_or_b32 exec_lo, exec_lo, s15
	s_waitcnt lgkmcnt(0)
	s_barrier
	buffer_gl0_inv
	ds_read_b128 v[121:124], v30
	ds_read2_b32 v[129:130], v34 offset0:32 offset1:33
	v_add_nc_u32_e32 v1, 0x2100, v34
	ds_read_b128 v[125:128], v30 offset:16
	ds_read2_b32 v[131:132], v1 offset1:1
	ds_read_b128 v[1:4], v32
	ds_read2_b32 v[133:134], v34 offset0:34 offset1:35
	v_add_nc_u32_e32 v137, 0x2108, v34
	ds_read2_b32 v[135:136], v34 offset0:36 offset1:37
	v_mov_b32_e32 v167, 0
	v_add_nc_u32_e32 v139, 0x4180, v34
	v_mov_b32_e32 v168, 0
	ds_read2_b32 v[137:138], v137 offset1:1
	v_add_nc_u32_e32 v141, 0x2110, v34
	v_add_nc_u32_e32 v143, 0x2118, v34
	ds_read2_b32 v[139:140], v139 offset1:1
	ds_read2_b32 v[141:142], v141 offset1:1
	;; [unrolled: 1-line block ×3, first 2 shown]
	ds_read2_b32 v[145:146], v38 offset0:4 offset1:5
	ds_read2_b32 v[147:148], v38 offset0:6 offset1:7
	;; [unrolled: 1-line block ×4, first 2 shown]
	v_mov_b32_e32 v169, 0
	s_waitcnt lgkmcnt(13)
	v_dot4c_i32_i8 v167, v129, v121
	v_add_nc_u32_e32 v129, 0x4188, v34
	v_mov_b32_e32 v173, 0
	s_waitcnt lgkmcnt(11)
	v_dot4c_i32_i8 v168, v131, v121
	v_add_nc_u32_e32 v131, 0x4198, v34
	v_dot4c_i32_i8 v167, v130, v125
	ds_read2_b32 v[153:154], v129 offset1:1
	v_add_nc_u32_e32 v129, 0x6200, v34
	v_dot4c_i32_i8 v168, v132, v125
	v_add_nc_u32_e32 v130, 0x4190, v34
	s_waitcnt lgkmcnt(10)
	v_dot4c_i32_i8 v167, v133, v122
	v_add_nc_u32_e32 v159, 0x2120, v34
	v_mov_b32_e32 v174, 0
	s_waitcnt lgkmcnt(8)
	v_dot4c_i32_i8 v168, v137, v122
	s_waitcnt lgkmcnt(7)
	v_dot4c_i32_i8 v169, v139, v121
	v_dot4c_i32_i8 v167, v134, v126
	v_add_nc_u32_e32 v139, 0x6208, v34
	v_add_nc_u32_e32 v171, 0x6220, v34
	v_dot4c_i32_i8 v168, v138, v126
	ds_read2_b32 v[137:138], v129 offset1:1
	ds_read2_b32 v[155:156], v130 offset1:1
	;; [unrolled: 1-line block ×3, first 2 shown]
	v_dot4c_i32_i8 v167, v135, v123
	v_dot4c_i32_i8 v169, v140, v125
	v_mov_b32_e32 v175, 0
	s_waitcnt lgkmcnt(9)
	v_dot4c_i32_i8 v168, v141, v123
	v_mov_b32_e32 v176, 0
	v_dot4c_i32_i8 v167, v136, v127
	ds_read_b128 v[129:132], v30 offset:32
	ds_read_b128 v[133:136], v30 offset:48
	ds_read2_b32 v[139:140], v139 offset1:1
	s_waitcnt lgkmcnt(6)
	v_dot4c_i32_i8 v169, v153, v122
	v_dot4c_i32_i8 v168, v142, v127
	;; [unrolled: 1-line block ×3, first 2 shown]
	ds_read2_b32 v[141:142], v35 offset0:4 offset1:5
	v_mov_b32_e32 v177, 0
	v_dot4c_i32_i8 v169, v154, v126
	v_dot4c_i32_i8 v168, v143, v124
	v_add_nc_u32_e32 v143, 0x6218, v34
	v_dot4c_i32_i8 v167, v150, v128
	s_waitcnt lgkmcnt(6)
	v_dot4c_i32_i8 v173, v137, v121
	v_add_nc_u32_e32 v121, 0x6210, v34
	s_waitcnt lgkmcnt(5)
	v_dot4c_i32_i8 v169, v155, v123
	ds_read2_b32 v[149:150], v36 offset0:4 offset1:5
	ds_read2_b32 v[153:154], v37 offset0:4 offset1:5
	v_dot4c_i32_i8 v168, v144, v128
	v_dot4c_i32_i8 v173, v138, v125
	ds_read2_b32 v[137:138], v121 offset1:1
	v_dot4c_i32_i8 v169, v156, v127
	ds_read2_b32 v[155:156], v143 offset1:1
	ds_read2_b32 v[159:160], v159 offset1:1
	ds_read2_b32 v[161:162], v34 offset0:58 offset1:59
	ds_read2_b32 v[163:164], v34 offset0:60 offset1:61
	;; [unrolled: 1-line block ×3, first 2 shown]
	s_waitcnt lgkmcnt(9)
	v_dot4c_i32_i8 v173, v139, v122
	v_dot4c_i32_i8 v174, v151, v129
	;; [unrolled: 1-line block ×3, first 2 shown]
	v_cvt_f32_i32_e32 v167, v167
	s_waitcnt lgkmcnt(8)
	v_mul_f32_e32 v141, v1, v141
	v_dot4c_i32_i8 v173, v140, v126
	ds_read2_b32 v[121:122], v34 offset0:42 offset1:43
	ds_read2_b32 v[139:140], v36 offset0:6 offset1:7
	;; [unrolled: 1-line block ×4, first 2 shown]
	v_dot4c_i32_i8 v174, v152, v133
	v_dot4c_i32_i8 v169, v158, v128
	v_cvt_f32_i32_e32 v157, v168
	v_fmac_f32_e32 v11, v141, v167
	s_waitcnt lgkmcnt(11)
	v_mul_f32_e32 v149, v1, v149
	v_add_nc_u32_e32 v141, 0x2138, v34
	s_waitcnt lgkmcnt(9)
	v_dot4c_i32_i8 v173, v137, v123
	v_mul_f32_e32 v123, v1, v153
	v_cvt_f32_i32_e32 v137, v169
	v_fmac_f32_e32 v110, v149, v157
	v_add_nc_u32_e32 v149, 0x41a0, v34
	v_dot4c_i32_i8 v173, v138, v127
	v_add_nc_u32_e32 v127, 0x2130, v34
	v_fmac_f32_e32 v105, v123, v137
	s_waitcnt lgkmcnt(3)
	v_dot4c_i32_i8 v174, v121, v130
	v_add_nc_u32_e32 v121, 0x2128, v34
	v_dot4c_i32_i8 v173, v155, v124
	ds_read2_b32 v[123:124], v34 offset0:46 offset1:47
	ds_read2_b32 v[137:138], v34 offset0:48 offset1:49
	v_add_nc_u32_e32 v153, 0x41b8, v34
	v_dot4c_i32_i8 v174, v122, v134
	ds_read2_b32 v[121:122], v121 offset1:1
	ds_read2_b32 v[151:152], v127 offset1:1
	;; [unrolled: 1-line block ×4, first 2 shown]
	v_mov_b32_e32 v149, 0
	v_add_nc_u32_e32 v141, 0x41b0, v34
	v_dot4c_i32_i8 v173, v156, v128
	s_waitcnt lgkmcnt(6)
	v_dot4c_i32_i8 v174, v125, v131
	v_add_nc_u32_e32 v125, 0x41a8, v34
	v_dot4c_i32_i8 v149, v159, v129
	ds_read2_b32 v[127:128], v125 offset1:1
	ds_read2_b32 v[155:156], v141 offset1:1
	;; [unrolled: 1-line block ×4, first 2 shown]
	v_dot4c_i32_i8 v149, v160, v133
	v_add_nc_u32_e32 v125, 0x6228, v34
	v_dot4c_i32_i8 v174, v126, v135
	v_mov_b32_e32 v153, 0
	ds_read2_b32 v[159:160], v37 offset0:6 offset1:7
	v_mul_f32_e32 v1, v1, v145
	s_waitcnt lgkmcnt(8)
	v_dot4c_i32_i8 v149, v121, v130
	ds_read2_b32 v[125:126], v125 offset1:1
	v_add_nc_u32_e32 v121, 0x6230, v34
	s_waitcnt lgkmcnt(6)
	v_dot4c_i32_i8 v153, v167, v129
	v_cvt_f32_i32_e32 v145, v173
	v_dot4c_i32_i8 v149, v122, v134
	v_mul_f32_e32 v173, v2, v142
	ds_read2_b32 v[141:142], v121 offset1:1
	v_dot4c_i32_i8 v153, v168, v133
	v_dot4c_i32_i8 v174, v123, v132
	;; [unrolled: 1-line block ×3, first 2 shown]
	v_add_nc_u32_e32 v121, 0x6238, v34
	v_add_nc_u32_e32 v122, 0x2140, v34
	s_waitcnt lgkmcnt(3)
	v_dot4c_i32_i8 v175, v171, v129
	v_dot4c_i32_i8 v153, v127, v130
	;; [unrolled: 1-line block ×4, first 2 shown]
	ds_read2_b32 v[151:152], v121 offset1:1
	ds_read2_b32 v[167:168], v122 offset1:1
	v_dot4c_i32_i8 v175, v172, v133
	ds_read_b128 v[121:124], v30 offset:64
	v_dot4c_i32_i8 v149, v157, v132
	v_dot4c_i32_i8 v153, v128, v134
	v_cvt_f32_i32_e32 v129, v174
	s_waitcnt lgkmcnt(4)
	v_dot4c_i32_i8 v175, v125, v130
	v_mul_f32_e32 v130, v2, v150
	v_dot4c_i32_i8 v149, v158, v136
	v_dot4c_i32_i8 v153, v155, v131
	v_fmac_f32_e32 v11, v173, v129
	v_dot4c_i32_i8 v175, v126, v134
	ds_read_b128 v[125:128], v30 offset:80
	v_cvt_f32_i32_e32 v133, v149
	v_dot4c_i32_i8 v153, v156, v135
	v_add_nc_u32_e32 v171, 0x41d8, v34
	s_waitcnt lgkmcnt(4)
	v_dot4c_i32_i8 v175, v141, v131
	v_add_nc_u32_e32 v131, 0x2148, v34
	v_fmac_f32_e32 v110, v130, v133
	ds_read2_b32 v[129:130], v34 offset0:50 offset1:51
	v_dot4c_i32_i8 v153, v169, v132
	v_dot4c_i32_i8 v175, v142, v135
	v_mov_b32_e32 v135, 0
	v_add_nc_u32_e32 v133, 0x2150, v34
	v_add_nc_u32_e32 v141, 0x41c0, v34
	v_dot4c_i32_i8 v153, v170, v136
	s_waitcnt lgkmcnt(4)
	v_dot4c_i32_i8 v175, v151, v132
	s_waitcnt lgkmcnt(2)
	v_dot4c_i32_i8 v135, v137, v121
	v_add_nc_u32_e32 v137, 0x2158, v34
	v_add_nc_u32_e32 v151, 0x41c8, v34
	;; [unrolled: 1-line block ×4, first 2 shown]
	s_waitcnt lgkmcnt(1)
	v_dot4c_i32_i8 v135, v138, v125
	ds_read2_b32 v[131:132], v131 offset1:1
	ds_read2_b32 v[133:134], v133 offset1:1
	;; [unrolled: 1-line block ×4, first 2 shown]
	ds_read2_b32 v[149:150], v34 offset0:52 offset1:53
	v_fmac_f32_e32 v9, v1, v145
	v_mul_f32_e32 v1, v2, v154
	v_cvt_f32_i32_e32 v145, v153
	ds_read2_b32 v[153:154], v34 offset0:54 offset1:55
	ds_read2_b32 v[155:156], v34 offset0:56 offset1:57
	ds_read2_b32 v[157:158], v151 offset1:1
	ds_read2_b32 v[169:170], v169 offset1:1
	;; [unrolled: 1-line block ×4, first 2 shown]
	s_waitcnt lgkmcnt(11)
	v_dot4c_i32_i8 v135, v129, v122
	v_dot4c_i32_i8 v175, v152, v136
	v_fmac_f32_e32 v105, v1, v145
	v_add_nc_u32_e32 v1, 0x6248, v34
	v_mul_f32_e32 v136, v2, v146
	v_dot4c_i32_i8 v176, v167, v121
	v_dot4c_i32_i8 v135, v130, v126
	v_mov_b32_e32 v167, 0
	ds_read2_b32 v[1:2], v1 offset1:1
	v_add_nc_u32_e32 v129, 0x6250, v34
	v_dot4c_i32_i8 v176, v168, v125
	v_add_nc_u32_e32 v151, 0x41f0, v34
	s_waitcnt lgkmcnt(8)
	v_dot4c_i32_i8 v177, v141, v121
	s_waitcnt lgkmcnt(7)
	v_dot4c_i32_i8 v135, v149, v123
	ds_read2_b32 v[129:130], v129 offset1:1
	v_dot4c_i32_i8 v176, v131, v122
	v_add_nc_u32_e32 v131, 0x2160, v34
	v_dot4c_i32_i8 v177, v142, v125
	s_waitcnt lgkmcnt(2)
	v_dot4c_i32_i8 v167, v173, v121
	v_dot4c_i32_i8 v135, v150, v127
	;; [unrolled: 1-line block ×3, first 2 shown]
	v_add_nc_u32_e32 v121, 0x6258, v34
	v_dot4c_i32_i8 v177, v157, v122
	v_dot4c_i32_i8 v167, v174, v125
	;; [unrolled: 1-line block ×4, first 2 shown]
	ds_read2_b32 v[141:142], v121 offset1:1
	ds_read2_b32 v[145:146], v131 offset1:1
	v_dot4c_i32_i8 v177, v158, v126
	s_waitcnt lgkmcnt(3)
	v_dot4c_i32_i8 v167, v1, v122
	v_dot4c_i32_i8 v135, v154, v128
	v_cvt_f32_i32_e32 v1, v175
	v_dot4c_i32_i8 v176, v134, v127
	v_dot4c_i32_i8 v177, v169, v123
	v_dot4c_i32_i8 v167, v2, v126
	v_mul_f32_e32 v2, v3, v143
	v_cvt_f32_i32_e32 v121, v135
	v_dot4c_i32_i8 v176, v137, v124
	v_dot4c_i32_i8 v177, v170, v127
	s_waitcnt lgkmcnt(2)
	v_dot4c_i32_i8 v167, v129, v123
	v_fmac_f32_e32 v9, v136, v1
	v_add_nc_u32_e32 v1, 0x2168, v34
	v_fmac_f32_e32 v11, v2, v121
	v_add_nc_u32_e32 v121, 0x2170, v34
	v_add_nc_u32_e32 v123, 0x2178, v34
	v_dot4c_i32_i8 v167, v130, v127
	v_add_nc_u32_e32 v127, 0x41e0, v34
	v_add_nc_u32_e32 v143, 0x41e8, v34
	;; [unrolled: 1-line block ×4, first 2 shown]
	v_dot4c_i32_i8 v177, v171, v124
	v_dot4c_i32_i8 v176, v138, v128
	ds_read_b128 v[129:132], v30 offset:96
	ds_read_b128 v[133:136], v30 offset:112
	ds_read2_b32 v[1:2], v1 offset1:1
	ds_read2_b32 v[121:122], v121 offset1:1
	;; [unrolled: 1-line block ×8, first 2 shown]
	v_mul_f32_e32 v123, v3, v139
	v_dot4c_i32_i8 v177, v172, v128
	v_cvt_f32_i32_e32 v127, v176
	s_waitcnt lgkmcnt(11)
	v_dot4c_i32_i8 v167, v141, v124
	v_add_nc_u32_e32 v124, 0x6268, v34
	v_mul_f32_e32 v139, v3, v159
	v_cvt_f32_i32_e32 v143, v177
	v_fmac_f32_e32 v110, v123, v127
	v_mov_b32_e32 v141, 0
	ds_read2_b32 v[123:124], v124 offset1:1
	v_dot4c_i32_i8 v167, v142, v128
	v_fmac_f32_e32 v105, v139, v143
	v_mov_b32_e32 v139, 0
	v_mov_b32_e32 v142, 0
	v_mov_b32_e32 v143, 0
	v_add_nc_u32_e32 v127, 0x6270, v34
	s_waitcnt lgkmcnt(10)
	v_dot4c_i32_i8 v141, v155, v129
	v_dot4c_i32_i8 v139, v145, v129
	s_waitcnt lgkmcnt(5)
	v_dot4c_i32_i8 v142, v137, v129
	s_waitcnt lgkmcnt(1)
	v_dot4c_i32_i8 v143, v157, v129
	ds_read2_b32 v[127:128], v127 offset1:1
	v_dot4c_i32_i8 v141, v156, v133
	v_dot4c_i32_i8 v139, v146, v133
	;; [unrolled: 1-line block ×3, first 2 shown]
	v_add_nc_u32_e32 v129, 0x6278, v34
	v_dot4c_i32_i8 v143, v158, v133
	v_dot4c_i32_i8 v141, v161, v130
	;; [unrolled: 1-line block ×4, first 2 shown]
	ds_read2_b32 v[137:138], v129 offset1:1
	s_waitcnt lgkmcnt(2)
	v_dot4c_i32_i8 v143, v123, v130
	v_dot4c_i32_i8 v141, v162, v134
	;; [unrolled: 1-line block ×4, first 2 shown]
	v_mul_f32_e32 v1, v3, v147
	v_dot4c_i32_i8 v143, v124, v134
	v_dot4c_i32_i8 v141, v163, v131
	;; [unrolled: 1-line block ×4, first 2 shown]
	v_cvt_f32_i32_e32 v2, v167
	s_waitcnt lgkmcnt(1)
	v_dot4c_i32_i8 v143, v127, v131
	v_dot4c_i32_i8 v141, v164, v135
	v_dot4c_i32_i8 v139, v122, v135
	v_dot4c_i32_i8 v142, v152, v135
	v_fmac_f32_e32 v9, v1, v2
	v_dot4c_i32_i8 v143, v128, v135
	v_dot4c_i32_i8 v141, v165, v132
	;; [unrolled: 1-line block ×4, first 2 shown]
	v_mul_f32_e32 v1, v4, v144
	s_waitcnt lgkmcnt(0)
	v_dot4c_i32_i8 v143, v137, v132
	v_dot4c_i32_i8 v141, v166, v136
	;; [unrolled: 1-line block ×4, first 2 shown]
	v_mul_f32_e32 v3, v4, v140
	v_dot4c_i32_i8 v143, v138, v136
	v_cvt_f32_i32_e32 v2, v141
	v_cvt_f32_i32_e32 v121, v139
	v_mul_f32_e32 v122, v4, v160
	v_cvt_f32_i32_e32 v123, v142
	v_mul_f32_e32 v4, v4, v148
	v_cvt_f32_i32_e32 v124, v143
	v_fmac_f32_e32 v11, v1, v2
	v_fmac_f32_e32 v110, v3, v121
	;; [unrolled: 1-line block ×4, first 2 shown]
	s_barrier
	buffer_gl0_inv
.LBB181_5:                              ;   in Loop: Header=BB181_6 Depth=1
	v_add_co_u32 v7, s1, 0x120, v7
	v_add_co_ci_u32_e64 v8, null, 0, v8, s1
	v_add_co_u32 v43, s1, 0xb0, v43
	v_add_co_ci_u32_e64 v44, null, 0, v44, s1
	;; [unrolled: 2-line block ×37, first 2 shown]
	s_add_i32 s4, s4, 8
	s_addk_i32 s14, 0x100
	s_cmp_ge_i32 s4, s17
	s_cbranch_scc1 .LBB181_17
.LBB181_6:                              ; =>This Inner Loop Header: Depth=1
	v_add_co_u32 v1, s1, v43, s12
	v_add_co_ci_u32_e64 v2, null, s18, v44, s1
	v_add_co_u32 v3, s1, v45, s12
	v_add_co_ci_u32_e64 v4, null, s18, v46, s1
	;; [unrolled: 2-line block ×3, first 2 shown]
	global_load_dword v128, v[1:2], off
	global_load_dword v130, v[3:4], off offset:2
	global_load_dword v129, v[121:122], off
	v_add_co_u32 v1, s1, v49, s12
	v_add_co_ci_u32_e64 v2, null, s18, v50, s1
	v_add_co_u32 v3, s1, v51, s12
	v_add_co_ci_u32_e64 v4, null, s18, v52, s1
	;; [unrolled: 2-line block ×5, first 2 shown]
	global_load_dword v145, v[1:2], off
	global_load_dword v146, v[3:4], off
	;; [unrolled: 1-line block ×5, first 2 shown]
	v_add_co_u32 v1, s1, v59, s12
	v_add_co_ci_u32_e64 v2, null, s18, v60, s1
	v_add_co_u32 v3, s1, v61, s12
	v_add_co_ci_u32_e64 v4, null, s18, v62, s1
	;; [unrolled: 2-line block ×4, first 2 shown]
	global_load_dword v150, v[3:4], off
	global_load_dword v151, v[1:2], off
	;; [unrolled: 1-line block ×4, first 2 shown]
	v_add_co_u32 v1, s1, v67, s12
	v_add_co_ci_u32_e64 v2, null, s18, v68, s1
	v_add_co_u32 v3, s1, v69, s12
	v_add_co_ci_u32_e64 v4, null, s18, v70, s1
	global_load_dword v125, v[1:2], off
	v_add_co_u32 v121, s1, v71, s12
	global_load_dword v126, v[3:4], off
	v_add_co_ci_u32_e64 v122, null, s18, v72, s1
	v_add_co_u32 v131, s1, v73, s12
	v_add_co_ci_u32_e64 v132, null, s18, v74, s1
	v_add_co_u32 v133, s1, v75, s12
	;; [unrolled: 2-line block ×7, first 2 shown]
	v_add_co_ci_u32_e64 v144, null, s18, v86, s1
	global_load_dword v123, v[121:122], off
	global_load_dword v124, v[131:132], off
	;; [unrolled: 1-line block ×8, first 2 shown]
	s_waitcnt vmcnt(21)
	v_lshrrev_b32_e32 v132, 4, v128
	s_waitcnt vmcnt(20)
	v_ashrrev_i32_e32 v130, v13, v130
	v_and_b32_e32 v131, 0xf0f0f0f, v128
	s_waitcnt vmcnt(19)
	v_and_b32_e32 v134, 0xf0f0f0f, v129
	v_lshrrev_b32_e32 v129, 4, v129
	v_and_b32_e32 v132, 0xf0f0f0f, v132
	v_and_b32_e32 v129, 0xf0f0f0f, v129
	s_waitcnt vmcnt(18)
	v_ashrrev_i32_e32 v133, v13, v145
	s_waitcnt vmcnt(17)
	v_and_b32_e32 v136, 0xf0f0f0f, v146
	s_waitcnt vmcnt(16)
	v_ashrrev_i32_e32 v135, v13, v147
	v_lshrrev_b32_e32 v137, 4, v146
	s_waitcnt vmcnt(14)
	v_ashrrev_i32_e32 v138, v13, v149
	v_and_b32_e32 v139, 0xf0f0f0f, v148
	v_lshrrev_b32_e32 v140, 4, v148
	v_lshlrev_b32_e32 v145, 4, v130
	v_lshlrev_b32_e32 v146, 11, v130
	;; [unrolled: 1-line block ×4, first 2 shown]
	v_lshrrev_b32_e32 v149, 12, v130
	v_lshlrev_b32_e32 v153, 11, v133
	v_lshlrev_b32_e32 v154, 18, v133
	;; [unrolled: 1-line block ×3, first 2 shown]
	v_lshrrev_b32_e32 v156, 12, v133
	v_lshrrev_b32_e32 v157, 5, v133
	v_lshlrev_b32_e32 v158, 2, v133
	s_waitcnt vmcnt(13)
	v_ashrrev_i32_e32 v141, v13, v150
	v_lshrrev_b32_e32 v150, 5, v130
	s_waitcnt vmcnt(12)
	v_and_b32_e32 v142, 0xf0f0f0f, v151
	v_lshrrev_b32_e32 v143, 4, v151
	s_waitcnt vmcnt(11)
	v_ashrrev_i32_e32 v128, v13, v152
	v_lshlrev_b32_e32 v151, 2, v130
	v_lshlrev_b32_e32 v130, 9, v130
	;; [unrolled: 1-line block ×8, first 2 shown]
	v_lshrrev_b32_e32 v163, 12, v135
	v_lshrrev_b32_e32 v164, 5, v135
	v_lshlrev_b32_e32 v165, 2, v135
	v_lshlrev_b32_e32 v135, 9, v135
	;; [unrolled: 1-line block ×6, first 2 shown]
	v_lshrrev_b32_e32 v170, 12, v138
	v_lshrrev_b32_e32 v171, 5, v138
	v_and_b32_e32 v145, 16, v145
	v_and_b32_e32 v146, 0x1000, v146
	;; [unrolled: 1-line block ×24, first 2 shown]
	v_lshlrev_b32_e32 v172, 2, v138
	v_lshlrev_b32_e32 v138, 9, v138
	v_and_b32_e32 v165, 0x100000, v165
	v_and_b32_e32 v135, 0x10000000, v135
	;; [unrolled: 1-line block ×8, first 2 shown]
	v_or3_b32 v145, v145, v131, v146
	v_or3_b32 v131, v131, v147, v148
	;; [unrolled: 1-line block ×11, first 2 shown]
	v_and_b32_e32 v172, 0x100000, v172
	v_and_b32_e32 v138, 0x10000000, v138
	v_or3_b32 v135, v137, v165, v135
	v_or3_b32 v137, v166, v139, v167
	;; [unrolled: 1-line block ×4, first 2 shown]
	v_lshrrev_b32_e32 v131, 16, v131
	v_and_b32_e32 v151, 0x1f00, v145
	v_lshlrev_b16 v145, 8, v145
	v_and_b32_e32 v152, 0x1f00, v146
	v_lshlrev_b16 v146, 8, v146
	v_lshrrev_b32_e32 v134, 16, v134
	v_and_b32_e32 v154, 0x1f00, v147
	v_lshlrev_b16 v147, 8, v147
	v_lshrrev_b32_e32 v136, 16, v136
	v_and_b32_e32 v156, 0x1f00, v148
	v_lshlrev_b16 v148, 8, v148
	v_or3_b32 v138, v140, v172, v138
	v_lshrrev_b32_e32 v139, 16, v139
	v_and_b32_e32 v158, 0x1f00, v149
	v_lshlrev_b16 v149, 8, v149
	v_lshrrev_b32_e32 v130, 16, v130
	v_add_nc_u16 v151, 0xf000, v151
	v_add_nc_u16 v145, 0xf000, v145
	v_and_b32_e32 v162, 0x1f00, v131
	v_lshlrev_b16 v131, 8, v131
	v_add_nc_u16 v146, 0xf000, v146
	v_and_b32_e32 v153, 0x1f00, v132
	v_lshlrev_b16 v132, 8, v132
	v_lshrrev_b32_e32 v129, 16, v129
	v_and_b32_e32 v164, 0x1f00, v134
	v_lshlrev_b16 v134, 8, v134
	v_add_nc_u16 v147, 0xf000, v147
	v_and_b32_e32 v155, 0x1f00, v133
	v_lshlrev_b16 v133, 8, v133
	v_lshrrev_b32_e32 v135, 16, v135
	;; [unrolled: 6-line block ×3, first 2 shown]
	v_and_b32_e32 v168, 0x1f00, v139
	v_lshlrev_b16 v139, 8, v139
	v_add_nc_u16 v149, 0xf000, v149
	v_and_b32_e32 v163, 0x1f00, v130
	v_lshlrev_b16 v130, 8, v130
	v_perm_b32 v145, v145, v151, 0xc0c0105
	v_add_nc_u16 v151, 0xf000, v162
	v_add_nc_u16 v131, 0xf000, v131
	v_or_b32_sdwa v146, v152, v146 dst_sel:DWORD dst_unused:UNUSED_PAD src0_sel:DWORD src1_sel:BYTE_1
	v_add_nc_u16 v153, 0xf000, v153
	v_add_nc_u16 v132, 0xf000, v132
	v_and_b32_e32 v165, 0x1f00, v129
	v_lshlrev_b16 v129, 8, v129
	v_add_nc_u16 v152, 0xf000, v164
	v_add_nc_u16 v134, 0xf000, v134
	v_or_b32_sdwa v147, v154, v147 dst_sel:DWORD dst_unused:UNUSED_PAD src0_sel:DWORD src1_sel:BYTE_1
	v_lshlrev_b32_e32 v173, 4, v141
	v_lshlrev_b32_e32 v174, 11, v141
	;; [unrolled: 1-line block ×4, first 2 shown]
	v_lshrrev_b32_e32 v177, 12, v141
	v_lshrrev_b32_e32 v178, 5, v141
	v_add_nc_u16 v155, 0xf000, v155
	v_add_nc_u16 v133, 0xf000, v133
	v_and_b32_e32 v167, 0x1f00, v135
	v_lshlrev_b16 v135, 8, v135
	v_add_nc_u16 v154, 0xf000, v166
	v_add_nc_u16 v136, 0xf000, v136
	v_or_b32_sdwa v148, v156, v148 dst_sel:DWORD dst_unused:UNUSED_PAD src0_sel:DWORD src1_sel:BYTE_1
	v_add_nc_u16 v157, 0xf000, v157
	v_add_nc_u16 v137, 0xf000, v137
	v_and_b32_e32 v169, 0x1f00, v138
	v_lshlrev_b16 v138, 8, v138
	v_add_nc_u16 v156, 0xf000, v168
	v_add_nc_u16 v139, 0xf000, v139
	v_or_b32_sdwa v149, v158, v149 dst_sel:DWORD dst_unused:UNUSED_PAD src0_sel:DWORD src1_sel:BYTE_1
	v_add_nc_u16 v162, 0xf000, v163
	v_add_nc_u16 v130, 0xf000, v130
	v_perm_b32 v131, v131, v151, 0xc0c0105
	v_add_nc_u16 v146, 0xf000, v146
	v_perm_b32 v132, v132, v153, 0xc0c0105
	v_add_nc_u16 v153, 0xf000, v165
	v_add_nc_u16 v129, 0xf000, v129
	v_perm_b32 v134, v134, v152, 0xc0c0105
	v_add_nc_u16 v147, 0xf000, v147
	v_and_b32_e32 v143, 0xf0f0f0f, v143
	v_lshlrev_b32_e32 v179, 2, v141
	v_lshlrev_b32_e32 v141, 9, v141
	v_and_b32_e32 v173, 16, v173
	v_and_b32_e32 v174, 0x1000, v174
	;; [unrolled: 1-line block ×6, first 2 shown]
	v_perm_b32 v133, v133, v155, 0xc0c0105
	v_add_nc_u16 v155, 0xf000, v167
	v_add_nc_u16 v135, 0xf000, v135
	v_perm_b32 v136, v136, v154, 0xc0c0105
	v_add_nc_u16 v148, 0xf000, v148
	v_perm_b32 v137, v137, v157, 0xc0c0105
	v_add_nc_u16 v157, 0xf000, v169
	v_add_nc_u16 v138, 0xf000, v138
	v_perm_b32 v139, v139, v156, 0xc0c0105
	v_add_nc_u16 v149, 0xf000, v149
	v_perm_b32 v130, v130, v162, 0xc0c0105
	v_lshl_or_b32 v131, v131, 16, v145
	v_and_b32_e32 v145, 0xffff, v146
	v_perm_b32 v129, v129, v153, 0xc0c0105
	v_lshl_or_b32 v132, v134, 16, v132
	v_and_b32_e32 v134, 0xffff, v147
	v_and_b32_e32 v179, 0x100000, v179
	;; [unrolled: 1-line block ×3, first 2 shown]
	v_or3_b32 v140, v173, v142, v174
	v_or3_b32 v142, v142, v175, v176
	;; [unrolled: 1-line block ×3, first 2 shown]
	v_perm_b32 v135, v135, v155, 0xc0c0105
	v_lshl_or_b32 v133, v136, 16, v133
	v_and_b32_e32 v136, 0xffff, v148
	v_perm_b32 v138, v138, v157, 0xc0c0105
	v_lshl_or_b32 v137, v139, 16, v137
	v_and_b32_e32 v139, 0xffff, v149
	v_lshl_or_b32 v130, v130, 16, v145
	v_lshl_or_b32 v129, v129, 16, v134
	v_lshlrev_b32_e32 v180, 4, v128
	v_lshlrev_b32_e32 v181, 11, v128
	;; [unrolled: 1-line block ×4, first 2 shown]
	v_or3_b32 v141, v143, v179, v141
	v_lshrrev_b32_e32 v142, 16, v142
	v_and_b32_e32 v160, 0x1f00, v150
	v_lshlrev_b16 v150, 8, v150
	v_lshl_or_b32 v134, v135, 16, v136
	v_lshl_or_b32 v135, v138, 16, v139
	s_waitcnt vmcnt(10)
	v_and_b32_e32 v144, 0xf0f0f0f, v127
	v_lshrrev_b32_e32 v127, 4, v127
	v_lshrrev_b32_e32 v184, 12, v128
	ds_write2_b32 v14, v131, v130 offset1:1
	ds_write2_b32 v15, v132, v129 offset1:1
	;; [unrolled: 1-line block ×4, first 2 shown]
	v_lshrrev_b32_e32 v129, 5, v128
	v_lshlrev_b32_e32 v130, 2, v128
	v_lshlrev_b32_e32 v128, 9, v128
	v_and_b32_e32 v180, 16, v180
	v_and_b32_e32 v181, 0x1000, v181
	;; [unrolled: 1-line block ×5, first 2 shown]
	v_lshlrev_b16 v140, 8, v140
	v_lshrrev_b32_e32 v141, 16, v141
	v_and_b32_e32 v170, 0x1f00, v142
	v_lshlrev_b16 v142, 8, v142
	v_add_nc_u16 v150, 0xf000, v150
	v_and_b32_e32 v127, 0xf0f0f0f, v127
	v_and_b32_e32 v131, 16, v184
	v_and_b32_e32 v129, 0x1000, v129
	v_and_b32_e32 v130, 0x100000, v130
	v_and_b32_e32 v128, 0x10000000, v128
	v_or3_b32 v143, v180, v144, v181
	v_or3_b32 v144, v144, v182, v183
	v_add_nc_u16 v159, 0xf000, v159
	v_add_nc_u16 v140, 0xf000, v140
	v_and_b32_e32 v171, 0x1f00, v141
	v_lshlrev_b16 v141, 8, v141
	v_add_nc_u16 v158, 0xf000, v170
	v_add_nc_u16 v142, 0xf000, v142
	v_or_b32_sdwa v150, v160, v150 dst_sel:DWORD dst_unused:UNUSED_PAD src0_sel:DWORD src1_sel:BYTE_1
	v_or3_b32 v129, v131, v127, v129
	v_or3_b32 v130, v127, v130, v128
	v_add_co_u32 v127, s1, v89, s12
	v_lshrrev_b32_e32 v144, 16, v144
	v_perm_b32 v140, v140, v159, 0xc0c0105
	v_add_nc_u16 v159, 0xf000, v171
	v_add_nc_u16 v141, 0xf000, v141
	v_perm_b32 v142, v142, v158, 0xc0c0105
	v_add_nc_u16 v150, 0xf000, v150
	v_add_co_ci_u32_e64 v128, null, s18, v90, s1
	v_perm_b32 v141, v141, v159, 0xc0c0105
	v_lshl_or_b32 v140, v142, 16, v140
	v_and_b32_e32 v142, 0xffff, v150
	v_and_b32_e32 v133, 0x1f00, v144
	v_lshlrev_b16 v135, 8, v129
	global_load_dword v128, v[127:128], off
	v_and_b32_e32 v134, 0x1f00, v129
	v_add_co_u32 v129, s1, v87, s12
	v_lshl_or_b32 v136, v141, 16, v142
	v_add_nc_u16 v131, 0xf000, v133
	v_lshrrev_b32_e32 v133, 16, v130
	v_add_co_ci_u32_e64 v130, null, s18, v88, s1
	v_add_nc_u16 v135, 0xf000, v135
	v_and_b32_e32 v161, 0x1f00, v143
	v_lshlrev_b16 v143, 8, v143
	ds_write2_b32 v18, v140, v136 offset1:1
	v_lshlrev_b16 v136, 8, v144
	v_and_b32_e32 v137, 0x1f00, v133
	v_lshlrev_b16 v133, 8, v133
	global_load_dword v127, v[129:130], off
	v_or_b32_sdwa v129, v134, v135 dst_sel:DWORD dst_unused:UNUSED_PAD src0_sel:DWORD src1_sel:BYTE_1
	v_add_nc_u16 v161, 0xf000, v161
	v_add_nc_u16 v143, 0xf000, v143
	s_waitcnt vmcnt(10)
	v_ashrrev_i32_e32 v126, v13, v126
	v_add_nc_u16 v130, 0xf000, v136
	v_add_nc_u16 v134, 0xf000, v137
	;; [unrolled: 1-line block ×4, first 2 shown]
	v_perm_b32 v132, v143, v161, 0xc0c0105
	v_lshlrev_b32_e32 v135, 4, v126
	v_lshlrev_b32_e32 v136, 18, v126
	;; [unrolled: 1-line block ×4, first 2 shown]
	v_perm_b32 v130, v130, v131, 0xc0c0105
	v_perm_b32 v131, v133, v134, 0xc0c0105
	v_and_b32_e32 v129, 0xffff, v129
	v_and_b32_e32 v139, 0xf0f0f0f, v125
	;; [unrolled: 1-line block ×6, first 2 shown]
	v_lshrrev_b32_e32 v125, 4, v125
	v_lshl_or_b32 v132, v130, 16, v132
	v_lshl_or_b32 v131, v131, 16, v129
	v_lshrrev_b32_e32 v129, 12, v126
	v_lshrrev_b32_e32 v130, 5, v126
	v_or3_b32 v133, v139, v136, v137
	v_or3_b32 v134, v135, v139, v138
	v_and_b32_e32 v136, 0xf0f0f0f, v125
	v_and_b32_e32 v139, 16, v129
	;; [unrolled: 1-line block ×3, first 2 shown]
	v_add_co_u32 v125, s1, v93, s12
	v_lshlrev_b32_e32 v137, 2, v126
	v_lshlrev_b32_e32 v138, 9, v126
	v_add_co_ci_u32_e64 v126, null, s18, v94, s1
	v_add_co_u32 v129, s1, v91, s12
	v_add_co_ci_u32_e64 v130, null, s18, v92, s1
	v_or3_b32 v139, v139, v136, v140
	v_lshrrev_b32_e32 v133, 16, v133
	v_and_b32_e32 v135, 0x1f00, v134
	v_lshlrev_b16 v134, 8, v134
	v_and_b32_e32 v137, 0x100000, v137
	v_and_b32_e32 v138, 0x10000000, v138
	global_load_dword v126, v[125:126], off
	global_load_dword v125, v[129:130], off
	v_lshlrev_b16 v130, 8, v139
	v_add_nc_u16 v129, 0xf000, v134
	v_and_b32_e32 v134, 0x1f00, v133
	v_lshlrev_b16 v133, 8, v133
	v_or3_b32 v136, v136, v137, v138
	v_and_b32_e32 v137, 0x1f00, v139
	v_add_nc_u16 v130, 0xf000, v130
	v_add_nc_u16 v135, 0xf000, v135
	;; [unrolled: 1-line block ×4, first 2 shown]
	v_lshrrev_b32_e32 v136, 16, v136
	v_or_b32_sdwa v130, v137, v130 dst_sel:DWORD dst_unused:UNUSED_PAD src0_sel:DWORD src1_sel:BYTE_1
	v_perm_b32 v129, v129, v135, 0xc0c0105
	s_waitcnt vmcnt(10)
	v_ashrrev_i32_e32 v124, v13, v124
	v_perm_b32 v133, v133, v134, 0xc0c0105
	v_and_b32_e32 v138, 0x1f00, v136
	v_lshlrev_b16 v136, 8, v136
	v_add_nc_u16 v130, 0xf000, v130
	ds_write2_b32 v19, v132, v131 offset1:1
	v_lshl_or_b32 v131, v133, 16, v129
	v_lshlrev_b32_e32 v129, 18, v124
	v_add_nc_u16 v134, 0xf000, v138
	v_add_nc_u16 v135, 0xf000, v136
	v_and_b32_e32 v133, 0xffff, v130
	v_lshlrev_b32_e32 v130, 25, v124
	v_and_b32_e32 v137, 0x100000, v129
	v_add_co_u32 v129, s1, v97, s12
	v_perm_b32 v132, v135, v134, 0xc0c0105
	v_and_b32_e32 v134, 0xf0f0f0f, v123
	v_lshlrev_b32_e32 v135, 4, v124
	v_lshlrev_b32_e32 v136, 11, v124
	v_and_b32_e32 v138, 0x10000000, v130
	v_add_co_ci_u32_e64 v130, null, s18, v98, s1
	v_lshl_or_b32 v132, v132, 16, v133
	v_and_b32_e32 v133, 16, v135
	v_and_b32_e32 v135, 0x1000, v136
	v_or3_b32 v136, v134, v137, v138
	global_load_dword v137, v[129:130], off
	v_add_co_u32 v129, s1, v95, s12
	v_add_co_ci_u32_e64 v130, null, s18, v96, s1
	ds_write2_b32 v20, v131, v132 offset1:1
	v_or3_b32 v131, v133, v134, v135
	v_lshrrev_b32_e32 v132, 16, v136
	global_load_dword v129, v[129:130], off
	v_lshrrev_b32_e32 v123, 4, v123
	v_lshlrev_b32_e32 v130, 2, v124
	v_lshlrev_b32_e32 v133, 9, v124
	v_and_b32_e32 v135, 0x1f00, v132
	v_lshlrev_b16 v132, 8, v132
	v_and_b32_e32 v123, 0xf0f0f0f, v123
	v_and_b32_e32 v130, 0x100000, v130
	;; [unrolled: 1-line block ×4, first 2 shown]
	v_lshlrev_b16 v131, 8, v131
	v_add_nc_u16 v132, 0xf000, v132
	s_waitcnt vmcnt(11)
	v_and_b32_e32 v136, 0xf0f0f0f, v121
	v_or3_b32 v130, v123, v130, v133
	v_add_nc_u16 v133, 0xf000, v135
	v_lshrrev_b32_e32 v135, 12, v124
	v_lshrrev_b32_e32 v124, 5, v124
	v_add_nc_u16 v134, 0xf000, v134
	v_add_nc_u16 v131, 0xf000, v131
	v_lshrrev_b32_e32 v130, 16, v130
	v_perm_b32 v132, v132, v133, 0xc0c0105
	v_and_b32_e32 v133, 16, v135
	v_and_b32_e32 v124, 0x1000, v124
	v_perm_b32 v131, v131, v134, 0xc0c0105
	s_waitcnt vmcnt(10)
	v_ashrrev_i32_e32 v135, v13, v122
	v_and_b32_e32 v134, 0x1f00, v130
	v_lshrrev_b32_e32 v121, 4, v121
	v_or3_b32 v122, v133, v123, v124
	v_lshl_or_b32 v131, v132, 16, v131
	v_lshlrev_b32_e32 v123, 4, v135
	v_lshlrev_b32_e32 v132, 11, v135
	v_add_nc_u16 v124, 0xf000, v134
	v_and_b32_e32 v133, 0x1f00, v122
	v_lshlrev_b16 v134, 8, v122
	v_add_co_u32 v122, s1, v101, s12
	v_and_b32_e32 v138, 16, v123
	v_and_b32_e32 v132, 0x1000, v132
	v_lshlrev_b32_e32 v139, 18, v135
	v_lshlrev_b32_e32 v140, 25, v135
	v_add_co_ci_u32_e64 v123, null, s18, v102, s1
	v_or3_b32 v132, v138, v136, v132
	v_and_b32_e32 v138, 0x100000, v139
	v_and_b32_e32 v139, 0x10000000, v140
	global_load_dword v140, v[122:123], off
	v_add_nc_u16 v134, 0xf000, v134
	v_add_co_u32 v122, s1, v99, s12
	v_add_co_ci_u32_e64 v123, null, s18, v100, s1
	v_or_b32_sdwa v133, v133, v134 dst_sel:DWORD dst_unused:UNUSED_PAD src0_sel:DWORD src1_sel:BYTE_1
	v_or3_b32 v134, v136, v138, v139
	v_lshrrev_b32_e32 v138, 12, v135
	global_load_dword v136, v[122:123], off
	v_and_b32_e32 v121, 0xf0f0f0f, v121
	v_add_nc_u16 v122, 0xf000, v133
	v_lshrrev_b32_e32 v123, 16, v134
	v_lshlrev_b32_e32 v133, 2, v135
	v_lshlrev_b32_e32 v134, 9, v135
	v_lshrrev_b32_e32 v135, 5, v135
	v_and_b32_e32 v138, 16, v138
	v_and_b32_e32 v139, 0x1f00, v123
	;; [unrolled: 1-line block ×5, first 2 shown]
	v_lshlrev_b16 v123, 8, v123
	v_lshlrev_b16 v130, 8, v130
	s_waitcnt vmcnt(10)
	v_ashrrev_i32_e32 v4, v13, v4
	v_or3_b32 v133, v121, v133, v134
	v_or3_b32 v121, v138, v121, v135
	v_add_nc_u16 v134, 0xf000, v139
	v_add_nc_u16 v123, 0xf000, v123
	v_and_b32_e32 v135, 0xffff, v122
	v_add_nc_u16 v130, 0xf000, v130
	v_lshlrev_b16 v122, 8, v121
	v_lshrrev_b32_e32 v133, 16, v133
	v_perm_b32 v123, v123, v134, 0xc0c0105
	v_and_b32_e32 v134, 0x1f00, v121
	v_add_co_u32 v121, s1, v106, s12
	v_add_nc_u16 v138, 0xf000, v122
	v_add_co_ci_u32_e64 v122, null, s18, v107, s1
	v_perm_b32 v124, v130, v124, 0xc0c0105
	v_and_b32_e32 v130, 0x1f00, v132
	v_or_b32_sdwa v134, v134, v138 dst_sel:DWORD dst_unused:UNUSED_PAD src0_sel:DWORD src1_sel:BYTE_1
	global_load_dword v138, v[121:122], off
	v_add_co_u32 v121, s1, v103, s12
	v_lshlrev_b16 v132, 8, v132
	v_add_co_ci_u32_e64 v122, null, s18, v104, s1
	v_add_nc_u16 v130, 0xf000, v130
	v_lshlrev_b32_e32 v139, 4, v4
	v_add_nc_u16 v132, 0xf000, v132
	global_load_dword v143, v[121:122], off
	v_lshlrev_b32_e32 v141, 11, v4
	v_add_nc_u16 v134, 0xf000, v134
	v_lshlrev_b32_e32 v142, 18, v4
	v_perm_b32 v130, v132, v130, 0xc0c0105
	v_and_b32_e32 v132, 0x1f00, v133
	v_lshlrev_b16 v133, 8, v133
	v_lshlrev_b32_e32 v121, 25, v4
	v_and_b32_e32 v122, 0xf0f0f0f, v3
	v_and_b32_e32 v139, 16, v139
	v_add_nc_u16 v132, 0xf000, v132
	v_add_nc_u16 v133, 0xf000, v133
	v_and_b32_e32 v141, 0x1000, v141
	v_and_b32_e32 v142, 0x100000, v142
	;; [unrolled: 1-line block ×3, first 2 shown]
	v_lshl_or_b32 v124, v124, 16, v135
	v_perm_b32 v132, v133, v132, 0xc0c0105
	v_and_b32_e32 v133, 0xffff, v134
	v_or3_b32 v134, v139, v122, v141
	v_or3_b32 v121, v122, v142, v121
	v_lshl_or_b32 v122, v123, 16, v130
	v_lshrrev_b32_e32 v3, 4, v3
	v_lshl_or_b32 v123, v132, 16, v133
	v_lshlrev_b16 v132, 8, v134
	ds_write2_b32 v21, v131, v124 offset1:1
	ds_write2_b32 v22, v122, v123 offset1:1
	v_lshrrev_b32_e32 v123, 12, v4
	v_add_nc_u16 v131, 0xf000, v132
	v_lshrrev_b32_e32 v124, 5, v4
	v_lshlrev_b32_e32 v132, 2, v4
	v_lshlrev_b32_e32 v4, 9, v4
	v_lshrrev_b32_e32 v121, 16, v121
	v_and_b32_e32 v133, 0xf0f0f0f, v3
	v_add_co_u32 v3, s1, v108, s12
	v_and_b32_e32 v130, 0x1f00, v134
	v_and_b32_e32 v123, 16, v123
	;; [unrolled: 1-line block ×5, first 2 shown]
	v_add_co_ci_u32_e64 v4, null, s18, v109, s1
	v_and_b32_e32 v122, 0x1f00, v121
	v_lshlrev_b16 v121, 8, v121
	v_or3_b32 v141, v123, v133, v124
	v_or3_b32 v132, v133, v132, v134
	global_load_ushort v133, v[3:4], off
	v_add_co_u32 v3, s1, v111, s12
	v_add_nc_u16 v139, 0xf000, v121
	v_add_co_ci_u32_e64 v4, null, s18, v112, s1
	v_add_co_u32 v121, s1, v113, s12
	v_add_nc_u16 v135, 0xf000, v122
	v_add_co_ci_u32_e64 v122, null, s18, v114, s1
	v_add_co_u32 v123, s1, v115, s12
	v_add_co_ci_u32_e64 v124, null, s18, v116, s1
	global_load_ushort v3, v[3:4], off
	global_load_ushort v4, v[121:122], off
	;; [unrolled: 1-line block ×3, first 2 shown]
	v_add_nc_u16 v130, 0xf000, v130
	s_waitcnt vmcnt(14)
	v_ashrrev_i32_e32 v2, v13, v2
	v_lshlrev_b16 v123, 8, v141
	v_perm_b32 v124, v139, v135, 0xc0c0105
	v_lshrrev_b32_e32 v132, 16, v132
	v_perm_b32 v122, v131, v130, 0xc0c0105
	v_lshlrev_b32_e32 v131, 4, v2
	v_lshlrev_b32_e32 v135, 11, v2
	v_and_b32_e32 v134, 0x1f00, v141
	v_add_nc_u16 v123, 0xf000, v123
	v_and_b32_e32 v139, 0xf0f0f0f, v1
	v_and_b32_e32 v131, 16, v131
	v_lshlrev_b32_e32 v141, 18, v2
	v_lshlrev_b32_e32 v142, 25, v2
	v_and_b32_e32 v135, 0x1000, v135
	v_and_b32_e32 v130, 0x1f00, v132
	v_lshlrev_b16 v132, 8, v132
	v_or_b32_sdwa v123, v134, v123 dst_sel:DWORD dst_unused:UNUSED_PAD src0_sel:DWORD src1_sel:BYTE_1
	v_and_b32_e32 v134, 0x100000, v141
	v_and_b32_e32 v141, 0x10000000, v142
	v_or3_b32 v131, v131, v139, v135
	v_add_nc_u16 v130, 0xf000, v130
	v_add_nc_u16 v132, 0xf000, v132
	v_lshl_or_b32 v122, v124, 16, v122
	v_or3_b32 v134, v139, v134, v141
	v_and_b32_e32 v135, 0x1f00, v131
	v_lshrrev_b32_e32 v1, 4, v1
	v_perm_b32 v124, v132, v130, 0xc0c0105
	v_lshlrev_b32_e32 v139, 2, v2
	v_lshrrev_b32_e32 v130, 16, v134
	v_add_nc_u16 v132, 0xf000, v135
	v_lshrrev_b32_e32 v134, 12, v2
	v_lshrrev_b32_e32 v135, 5, v2
	v_lshlrev_b32_e32 v2, 9, v2
	v_add_nc_u16 v123, 0xf000, v123
	v_and_b32_e32 v1, 0xf0f0f0f, v1
	v_and_b32_e32 v134, 16, v134
	v_and_b32_e32 v135, 0x1000, v135
	v_and_b32_e32 v139, 0x100000, v139
	v_and_b32_e32 v2, 0x10000000, v2
	v_and_b32_e32 v123, 0xffff, v123
	v_lshlrev_b16 v131, 8, v131
	v_and_b32_e32 v141, 0x1f00, v130
	v_lshlrev_b16 v130, 8, v130
	v_or3_b32 v134, v134, v1, v135
	v_or3_b32 v1, v1, v139, v2
	v_add_nc_u16 v131, 0xf000, v131
	v_add_nc_u16 v2, 0xf000, v141
	;; [unrolled: 1-line block ×3, first 2 shown]
	v_lshl_or_b32 v123, v124, 16, v123
	v_lshlrev_b16 v124, 8, v134
	v_lshrrev_b32_e32 v1, 16, v1
	v_perm_b32 v131, v131, v132, 0xc0c0105
	v_perm_b32 v2, v130, v2, 0xc0c0105
	v_and_b32_e32 v130, 0x1f00, v134
	v_add_nc_u16 v124, 0xf000, v124
	v_and_b32_e32 v132, 0x1f00, v1
	s_waitcnt vmcnt(13)
	v_ashrrev_i32_e32 v128, v13, v128
	v_lshlrev_b16 v1, 8, v1
	v_lshl_or_b32 v2, v2, 16, v131
	v_or_b32_sdwa v124, v130, v124 dst_sel:DWORD dst_unused:UNUSED_PAD src0_sel:DWORD src1_sel:BYTE_1
	v_add_nc_u16 v130, 0xf000, v132
	v_lshlrev_b32_e32 v131, 4, v128
	v_lshlrev_b32_e32 v132, 11, v128
	v_add_nc_u16 v1, 0xf000, v1
	s_waitcnt vmcnt(12)
	v_and_b32_e32 v134, 0xf0f0f0f, v127
	v_lshlrev_b32_e32 v135, 25, v128
	v_and_b32_e32 v131, 16, v131
	v_and_b32_e32 v132, 0x1000, v132
	v_perm_b32 v1, v1, v130, 0xc0c0105
	v_lshlrev_b32_e32 v130, 18, v128
	v_lshrrev_b32_e32 v127, 4, v127
	v_lshlrev_b32_e32 v139, 9, v128
	v_or3_b32 v131, v131, v134, v132
	v_and_b32_e32 v132, 0x10000000, v135
	v_lshlrev_b32_e32 v135, 2, v128
	v_and_b32_e32 v130, 0x100000, v130
	v_lshrrev_b32_e32 v141, 12, v128
	v_lshrrev_b32_e32 v128, 5, v128
	v_and_b32_e32 v127, 0xf0f0f0f, v127
	v_and_b32_e32 v135, 0x100000, v135
	;; [unrolled: 1-line block ×3, first 2 shown]
	v_or3_b32 v130, v134, v130, v132
	v_and_b32_e32 v132, 16, v141
	v_and_b32_e32 v128, 0x1000, v128
	;; [unrolled: 1-line block ×3, first 2 shown]
	v_or3_b32 v135, v127, v135, v139
	v_lshrrev_b32_e32 v130, 16, v130
	v_lshlrev_b16 v131, 8, v131
	v_or3_b32 v127, v132, v127, v128
	v_add_nc_u16 v128, 0xf000, v134
	v_lshrrev_b32_e32 v132, 16, v135
	v_and_b32_e32 v134, 0x1f00, v130
	v_lshlrev_b16 v130, 8, v130
	v_lshlrev_b16 v135, 8, v127
	v_and_b32_e32 v127, 0x1f00, v127
	v_and_b32_e32 v139, 0x1f00, v132
	v_lshlrev_b16 v132, 8, v132
	v_add_nc_u16 v131, 0xf000, v131
	v_add_nc_u16 v135, 0xf000, v135
	;; [unrolled: 1-line block ×6, first 2 shown]
	v_or_b32_sdwa v127, v127, v135 dst_sel:DWORD dst_unused:UNUSED_PAD src0_sel:DWORD src1_sel:BYTE_1
	v_add_nc_u16 v124, 0xf000, v124
	v_perm_b32 v128, v131, v128, 0xc0c0105
	v_perm_b32 v130, v130, v134, 0xc0c0105
	;; [unrolled: 1-line block ×3, first 2 shown]
	v_add_nc_u16 v127, 0xf000, v127
	s_waitcnt vmcnt(11)
	v_ashrrev_i32_e32 v126, v13, v126
	v_and_b32_e32 v124, 0xffff, v124
	s_waitcnt vmcnt(10)
	v_and_b32_e32 v135, 0xf0f0f0f, v125
	v_lshl_or_b32 v128, v130, 16, v128
	v_and_b32_e32 v127, 0xffff, v127
	v_lshlrev_b32_e32 v132, 4, v126
	v_lshlrev_b32_e32 v134, 11, v126
	v_lshlrev_b32_e32 v139, 18, v126
	v_lshlrev_b32_e32 v141, 25, v126
	v_lshl_or_b32 v1, v1, 16, v124
	v_and_b32_e32 v132, 16, v132
	v_and_b32_e32 v134, 0x1000, v134
	;; [unrolled: 1-line block ×4, first 2 shown]
	v_lshl_or_b32 v127, v131, 16, v127
	ds_write2_b32 v23, v122, v123 offset1:1
	v_or3_b32 v124, v132, v135, v134
	ds_write2_b32 v24, v2, v1 offset1:1
	ds_write2_b32 v25, v128, v127 offset1:1
	v_or3_b32 v130, v135, v139, v141
	v_lshrrev_b32_e32 v2, 4, v125
	v_and_b32_e32 v122, 0x1f00, v124
	v_lshlrev_b16 v123, 8, v124
	v_lshlrev_b32_e32 v124, 2, v126
	v_lshlrev_b32_e32 v125, 9, v126
	v_lshrrev_b32_e32 v127, 12, v126
	v_lshrrev_b32_e32 v126, 5, v126
	;; [unrolled: 1-line block ×3, first 2 shown]
	v_and_b32_e32 v2, 0xf0f0f0f, v2
	v_and_b32_e32 v124, 0x100000, v124
	;; [unrolled: 1-line block ×5, first 2 shown]
	v_add_nc_u16 v122, 0xf000, v122
	v_and_b32_e32 v128, 0x1f00, v1
	v_or3_b32 v124, v2, v124, v125
	v_add_nc_u16 v123, 0xf000, v123
	v_or3_b32 v2, v127, v2, v126
	v_lshlrev_b16 v1, 8, v1
	v_add_nc_u16 v125, 0xf000, v128
	v_lshrrev_b32_e32 v124, 16, v124
	s_waitcnt vmcnt(9)
	v_ashrrev_i32_e32 v126, v13, v137
	v_perm_b32 v122, v123, v122, 0xc0c0105
	v_lshlrev_b16 v123, 8, v2
	v_add_nc_u16 v1, 0xf000, v1
	v_and_b32_e32 v2, 0x1f00, v2
	v_lshlrev_b32_e32 v127, 4, v126
	v_lshlrev_b32_e32 v128, 11, v126
	v_add_nc_u16 v123, 0xf000, v123
	s_waitcnt vmcnt(8)
	v_and_b32_e32 v130, 0xf0f0f0f, v129
	v_lshlrev_b32_e32 v131, 18, v126
	v_and_b32_e32 v127, 16, v127
	v_lshlrev_b32_e32 v132, 25, v126
	v_and_b32_e32 v128, 0x1000, v128
	v_perm_b32 v1, v1, v125, 0xc0c0105
	v_and_b32_e32 v125, 0x1f00, v124
	v_lshlrev_b16 v124, 8, v124
	v_or_b32_sdwa v2, v2, v123 dst_sel:DWORD dst_unused:UNUSED_PAD src0_sel:DWORD src1_sel:BYTE_1
	v_and_b32_e32 v123, 0x100000, v131
	v_and_b32_e32 v131, 0x10000000, v132
	v_or3_b32 v127, v127, v130, v128
	v_add_nc_u16 v125, 0xf000, v125
	v_add_nc_u16 v124, 0xf000, v124
	v_lshl_or_b32 v1, v1, 16, v122
	v_or3_b32 v123, v130, v123, v131
	v_and_b32_e32 v128, 0x1f00, v127
	v_lshlrev_b32_e32 v130, 2, v126
	v_perm_b32 v122, v124, v125, 0xc0c0105
	v_lshlrev_b16 v125, 8, v127
	v_lshrrev_b32_e32 v123, 16, v123
	v_add_nc_u16 v124, 0xf000, v128
	v_lshrrev_b32_e32 v127, 4, v129
	v_lshrrev_b32_e32 v128, 12, v126
	;; [unrolled: 1-line block ×3, first 2 shown]
	v_lshlrev_b32_e32 v126, 9, v126
	v_add_nc_u16 v2, 0xf000, v2
	v_and_b32_e32 v127, 0xf0f0f0f, v127
	v_and_b32_e32 v128, 16, v128
	;; [unrolled: 1-line block ×6, first 2 shown]
	v_lshlrev_b16 v123, 8, v123
	v_and_b32_e32 v2, 0xffff, v2
	v_add_nc_u16 v125, 0xf000, v125
	v_or3_b32 v128, v128, v127, v129
	v_or3_b32 v126, v127, v130, v126
	v_add_nc_u16 v127, 0xf000, v131
	v_add_nc_u16 v123, 0xf000, v123
	v_lshl_or_b32 v2, v122, 16, v2
	v_lshlrev_b16 v122, 8, v128
	v_lshrrev_b32_e32 v126, 16, v126
	v_perm_b32 v124, v125, v124, 0xc0c0105
	v_perm_b32 v123, v123, v127, 0xc0c0105
	v_and_b32_e32 v125, 0x1f00, v128
	v_add_nc_u16 v122, 0xf000, v122
	v_and_b32_e32 v127, 0x1f00, v126
	s_waitcnt vmcnt(7)
	v_ashrrev_i32_e32 v128, v13, v140
	v_lshl_or_b32 v123, v123, 16, v124
	v_lshlrev_b16 v124, 8, v126
	v_or_b32_sdwa v122, v125, v122 dst_sel:DWORD dst_unused:UNUSED_PAD src0_sel:DWORD src1_sel:BYTE_1
	v_add_nc_u16 v125, 0xf000, v127
	v_lshlrev_b32_e32 v126, 4, v128
	v_lshlrev_b32_e32 v127, 11, v128
	v_add_nc_u16 v124, 0xf000, v124
	s_waitcnt vmcnt(6)
	v_and_b32_e32 v129, 0xf0f0f0f, v136
	v_lshlrev_b32_e32 v130, 25, v128
	v_and_b32_e32 v126, 16, v126
	v_and_b32_e32 v127, 0x1000, v127
	v_perm_b32 v124, v124, v125, 0xc0c0105
	v_lshlrev_b32_e32 v125, 18, v128
	v_and_b32_e32 v130, 0x10000000, v130
	v_lshlrev_b32_e32 v131, 2, v128
	v_or3_b32 v126, v126, v129, v127
	v_lshrrev_b32_e32 v127, 4, v136
	v_and_b32_e32 v125, 0x100000, v125
	v_lshlrev_b32_e32 v132, 9, v128
	v_lshrrev_b32_e32 v134, 12, v128
	v_lshrrev_b32_e32 v128, 5, v128
	v_and_b32_e32 v127, 0xf0f0f0f, v127
	v_and_b32_e32 v131, 0x100000, v131
	;; [unrolled: 1-line block ×3, first 2 shown]
	v_or3_b32 v125, v129, v125, v130
	v_and_b32_e32 v129, 16, v134
	v_and_b32_e32 v128, 0x1000, v128
	;; [unrolled: 1-line block ×3, first 2 shown]
	v_or3_b32 v131, v127, v131, v132
	v_lshrrev_b32_e32 v125, 16, v125
	v_lshlrev_b16 v126, 8, v126
	v_or3_b32 v127, v129, v127, v128
	v_add_nc_u16 v128, 0xf000, v130
	v_lshrrev_b32_e32 v129, 16, v131
	v_and_b32_e32 v130, 0x1f00, v125
	v_lshlrev_b16 v125, 8, v125
	v_lshlrev_b16 v131, 8, v127
	v_and_b32_e32 v127, 0x1f00, v127
	v_and_b32_e32 v132, 0x1f00, v129
	v_lshlrev_b16 v129, 8, v129
	v_add_nc_u16 v126, 0xf000, v126
	v_add_nc_u16 v131, 0xf000, v131
	v_add_nc_u16 v130, 0xf000, v130
	v_add_nc_u16 v125, 0xf000, v125
	v_add_nc_u16 v132, 0xf000, v132
	v_add_nc_u16 v129, 0xf000, v129
	v_or_b32_sdwa v127, v127, v131 dst_sel:DWORD dst_unused:UNUSED_PAD src0_sel:DWORD src1_sel:BYTE_1
	s_waitcnt vmcnt(5)
	v_ashrrev_i32_e32 v131, v13, v138
	v_perm_b32 v126, v126, v128, 0xc0c0105
	v_perm_b32 v125, v125, v130, 0xc0c0105
	;; [unrolled: 1-line block ×3, first 2 shown]
	s_waitcnt vmcnt(4)
	v_lshrrev_b32_e32 v136, 4, v143
	v_lshlrev_b32_e32 v129, 4, v131
	v_lshlrev_b32_e32 v130, 11, v131
	v_lshlrev_b32_e32 v134, 18, v131
	v_lshlrev_b32_e32 v135, 25, v131
	v_lshrrev_b32_e32 v137, 12, v131
	v_lshrrev_b32_e32 v138, 5, v131
	v_and_b32_e32 v132, 0xf0f0f0f, v143
	v_and_b32_e32 v129, 16, v129
	;; [unrolled: 1-line block ×6, first 2 shown]
	v_lshlrev_b32_e32 v139, 2, v131
	v_lshlrev_b32_e32 v131, 9, v131
	v_and_b32_e32 v137, 16, v137
	v_and_b32_e32 v138, 0x1000, v138
	v_or3_b32 v129, v129, v132, v130
	v_and_b32_e32 v130, 0x100000, v139
	v_and_b32_e32 v131, 0x10000000, v131
	v_or3_b32 v132, v132, v134, v135
	v_or3_b32 v134, v137, v136, v138
	v_and_b32_e32 v135, 0x1f00, v129
	v_lshlrev_b16 v129, 8, v129
	v_or3_b32 v130, v136, v130, v131
	v_lshrrev_b32_e32 v131, 16, v132
	v_lshlrev_b16 v132, 8, v134
	v_and_b32_e32 v134, 0x1f00, v134
	v_add_nc_u16 v122, 0xf000, v122
	v_lshrrev_b32_e32 v130, 16, v130
	v_and_b32_e32 v136, 0x1f00, v131
	v_add_nc_u16 v132, 0xf000, v132
	v_lshlrev_b16 v131, 8, v131
	v_add_nc_u16 v127, 0xf000, v127
	v_and_b32_e32 v137, 0x1f00, v130
	v_lshlrev_b16 v130, 8, v130
	v_or_b32_sdwa v132, v134, v132 dst_sel:DWORD dst_unused:UNUSED_PAD src0_sel:DWORD src1_sel:BYTE_1
	v_add_nc_u16 v135, 0xf000, v135
	v_add_nc_u16 v129, 0xf000, v129
	;; [unrolled: 1-line block ×7, first 2 shown]
	v_and_b32_e32 v122, 0xffff, v122
	v_and_b32_e32 v127, 0xffff, v127
	v_perm_b32 v129, v129, v135, 0xc0c0105
	v_perm_b32 v131, v131, v134, 0xc0c0105
	;; [unrolled: 1-line block ×3, first 2 shown]
	v_and_b32_e32 v132, 0xffff, v132
	v_lshl_or_b32 v122, v124, 16, v122
	ds_write2_b32 v26, v1, v2 offset1:1
	s_waitcnt vmcnt(3)
	v_cvt_f32_f16_e32 v1, v133
	v_lshl_or_b32 v124, v125, 16, v126
	v_lshl_or_b32 v125, v128, 16, v127
	;; [unrolled: 1-line block ×4, first 2 shown]
	ds_write2_b32 v27, v123, v122 offset1:1
	ds_write2_b32 v28, v124, v125 offset1:1
	;; [unrolled: 1-line block ×3, first 2 shown]
	s_waitcnt vmcnt(2)
	v_cvt_f32_f16_e32 v2, v3
	ds_write_b32 v117, v1
	s_waitcnt vmcnt(1)
	v_cvt_f32_f16_e32 v1, v4
	s_waitcnt vmcnt(0)
	v_cvt_f32_f16_e32 v3, v121
	s_add_i32 s1, s14, 0xffffff80
	ds_write_b32 v118, v2
	s_cmp_lt_i32 s1, s13
	ds_write_b32 v119, v1
	ds_write_b32 v120, v3
	s_cbranch_scc0 .LBB181_5
; %bb.7:                                ;   in Loop: Header=BB181_6 Depth=1
	v_add_nc_u32_e32 v1, s4, v12
	v_cmp_gt_i32_e64 s1, s9, v1
	s_and_b32 s15, s0, s1
	s_and_saveexec_b32 s1, s15
	s_cbranch_execz .LBB181_9
; %bb.8:                                ;   in Loop: Header=BB181_6 Depth=1
	v_add_nc_u32_e32 v1, s4, v41
	v_mad_i64_i32 v[1:2], null, v1, 36, v[5:6]
	global_load_dword v1, v[1:2], off offset:4
	s_waitcnt vmcnt(0)
	ds_write_b32 v31, v1
.LBB181_9:                              ;   in Loop: Header=BB181_6 Depth=1
	s_or_b32 exec_lo, exec_lo, s1
	v_add_nc_u32_e32 v121, s4, v0
	v_cmp_gt_i32_e64 s1, s9, v121
	s_and_b32 s15, s5, s1
	s_and_saveexec_b32 s1, s15
	s_cbranch_execz .LBB181_11
; %bb.10:                               ;   in Loop: Header=BB181_6 Depth=1
	v_add_nc_u32_e32 v1, s4, v42
	v_mad_i64_i32 v[1:2], null, v1, 36, s[6:7]
	global_load_dword v1, v[1:2], off
	s_waitcnt vmcnt(0)
	v_cvt_f32_f16_e32 v1, v1
	ds_write_b32 v33, v1
.LBB181_11:                             ;   in Loop: Header=BB181_6 Depth=1
	s_or_b32 exec_lo, exec_lo, s1
	s_waitcnt lgkmcnt(0)
	s_barrier
	buffer_gl0_inv
	ds_read_b128 v[122:125], v30
	ds_read2_b32 v[130:131], v34 offset1:1
	v_add_nc_u32_e32 v1, 0x2080, v34
	ds_read_b128 v[126:129], v30 offset:16
	ds_read2_b32 v[132:133], v1 offset1:1
	ds_read_b128 v[1:4], v32
	ds_read2_b32 v[134:135], v34 offset0:2 offset1:3
	v_add_nc_u32_e32 v138, 0x2088, v34
	ds_read2_b32 v[136:137], v34 offset0:4 offset1:5
	v_mov_b32_e32 v168, 0
	v_add_nc_u32_e32 v140, 0x4100, v34
	v_mov_b32_e32 v169, 0
	ds_read2_b32 v[138:139], v138 offset1:1
	v_add_nc_u32_e32 v142, 0x2090, v34
	v_add_nc_u32_e32 v144, 0x2098, v34
	ds_read2_b32 v[140:141], v140 offset1:1
	ds_read2_b32 v[142:143], v142 offset1:1
	;; [unrolled: 1-line block ×4, first 2 shown]
	ds_read2_b32 v[148:149], v38 offset0:2 offset1:3
	ds_read2_b32 v[150:151], v34 offset0:6 offset1:7
	;; [unrolled: 1-line block ×3, first 2 shown]
	v_mov_b32_e32 v170, 0
	s_waitcnt lgkmcnt(13)
	v_dot4c_i32_i8 v168, v130, v122
	v_add_nc_u32_e32 v130, 0x4108, v34
	v_mov_b32_e32 v174, 0
	s_waitcnt lgkmcnt(11)
	v_dot4c_i32_i8 v169, v132, v122
	v_add_nc_u32_e32 v132, 0x4118, v34
	v_dot4c_i32_i8 v168, v131, v126
	ds_read2_b32 v[154:155], v130 offset1:1
	v_add_nc_u32_e32 v130, 0x6180, v34
	v_dot4c_i32_i8 v169, v133, v126
	v_add_nc_u32_e32 v131, 0x4110, v34
	s_waitcnt lgkmcnt(10)
	v_dot4c_i32_i8 v168, v134, v123
	v_add_nc_u32_e32 v160, 0x20a0, v34
	v_mov_b32_e32 v175, 0
	s_waitcnt lgkmcnt(8)
	v_dot4c_i32_i8 v169, v138, v123
	s_waitcnt lgkmcnt(7)
	v_dot4c_i32_i8 v170, v140, v122
	v_dot4c_i32_i8 v168, v135, v127
	v_add_nc_u32_e32 v140, 0x6188, v34
	v_add_nc_u32_e32 v172, 0x61a0, v34
	v_dot4c_i32_i8 v169, v139, v127
	ds_read2_b32 v[138:139], v130 offset1:1
	ds_read2_b32 v[156:157], v131 offset1:1
	;; [unrolled: 1-line block ×3, first 2 shown]
	v_dot4c_i32_i8 v168, v136, v124
	v_dot4c_i32_i8 v170, v141, v126
	v_mov_b32_e32 v176, 0
	s_waitcnt lgkmcnt(9)
	v_dot4c_i32_i8 v169, v142, v124
	v_mov_b32_e32 v177, 0
	v_dot4c_i32_i8 v168, v137, v128
	ds_read_b128 v[130:133], v30 offset:32
	ds_read_b128 v[134:137], v30 offset:48
	ds_read2_b32 v[140:141], v140 offset1:1
	s_waitcnt lgkmcnt(6)
	v_dot4c_i32_i8 v170, v154, v123
	v_dot4c_i32_i8 v169, v143, v128
	;; [unrolled: 1-line block ×3, first 2 shown]
	ds_read2_b32 v[142:143], v35 offset1:1
	v_mov_b32_e32 v178, 0
	v_dot4c_i32_i8 v170, v155, v127
	v_dot4c_i32_i8 v169, v144, v125
	v_add_nc_u32_e32 v144, 0x6198, v34
	v_dot4c_i32_i8 v168, v151, v129
	s_waitcnt lgkmcnt(6)
	v_dot4c_i32_i8 v174, v138, v122
	v_add_nc_u32_e32 v122, 0x6190, v34
	s_waitcnt lgkmcnt(5)
	v_dot4c_i32_i8 v170, v156, v124
	ds_read2_b32 v[150:151], v36 offset1:1
	ds_read2_b32 v[154:155], v37 offset1:1
	v_dot4c_i32_i8 v169, v145, v129
	v_dot4c_i32_i8 v174, v139, v126
	ds_read2_b32 v[138:139], v122 offset1:1
	v_dot4c_i32_i8 v170, v157, v128
	ds_read2_b32 v[156:157], v144 offset1:1
	ds_read2_b32 v[160:161], v160 offset1:1
	ds_read2_b32 v[162:163], v34 offset0:26 offset1:27
	ds_read2_b32 v[164:165], v34 offset0:28 offset1:29
	;; [unrolled: 1-line block ×3, first 2 shown]
	s_waitcnt lgkmcnt(9)
	v_dot4c_i32_i8 v174, v140, v123
	v_dot4c_i32_i8 v175, v152, v130
	;; [unrolled: 1-line block ×3, first 2 shown]
	v_cvt_f32_i32_e32 v168, v168
	s_waitcnt lgkmcnt(8)
	v_mul_f32_e32 v142, v1, v142
	v_dot4c_i32_i8 v174, v141, v127
	ds_read2_b32 v[122:123], v34 offset0:10 offset1:11
	ds_read2_b32 v[140:141], v36 offset0:2 offset1:3
	;; [unrolled: 1-line block ×4, first 2 shown]
	v_dot4c_i32_i8 v175, v153, v134
	v_dot4c_i32_i8 v170, v159, v129
	v_cvt_f32_i32_e32 v158, v169
	v_fmac_f32_e32 v11, v142, v168
	s_waitcnt lgkmcnt(11)
	v_mul_f32_e32 v150, v1, v150
	v_add_nc_u32_e32 v142, 0x20b8, v34
	s_cmp_ge_i32 s14, s13
	s_waitcnt lgkmcnt(9)
	v_dot4c_i32_i8 v174, v138, v124
	v_mul_f32_e32 v124, v1, v154
	v_cvt_f32_i32_e32 v138, v170
	v_fmac_f32_e32 v110, v150, v158
	v_add_nc_u32_e32 v150, 0x4120, v34
	v_dot4c_i32_i8 v174, v139, v128
	v_add_nc_u32_e32 v128, 0x20b0, v34
	v_fmac_f32_e32 v105, v124, v138
	s_waitcnt lgkmcnt(3)
	v_dot4c_i32_i8 v175, v122, v131
	v_add_nc_u32_e32 v122, 0x20a8, v34
	v_dot4c_i32_i8 v174, v156, v125
	ds_read2_b32 v[124:125], v34 offset0:14 offset1:15
	ds_read2_b32 v[138:139], v34 offset0:16 offset1:17
	v_add_nc_u32_e32 v154, 0x4138, v34
	v_dot4c_i32_i8 v175, v123, v135
	ds_read2_b32 v[122:123], v122 offset1:1
	ds_read2_b32 v[152:153], v128 offset1:1
	;; [unrolled: 1-line block ×4, first 2 shown]
	v_mov_b32_e32 v150, 0
	v_add_nc_u32_e32 v142, 0x4130, v34
	v_dot4c_i32_i8 v174, v157, v129
	s_waitcnt lgkmcnt(6)
	v_dot4c_i32_i8 v175, v126, v132
	v_add_nc_u32_e32 v126, 0x4128, v34
	v_dot4c_i32_i8 v150, v160, v130
	ds_read2_b32 v[128:129], v126 offset1:1
	ds_read2_b32 v[156:157], v142 offset1:1
	;; [unrolled: 1-line block ×4, first 2 shown]
	v_dot4c_i32_i8 v150, v161, v134
	v_add_nc_u32_e32 v126, 0x61a8, v34
	v_dot4c_i32_i8 v175, v127, v136
	v_mov_b32_e32 v154, 0
	ds_read2_b32 v[160:161], v37 offset0:2 offset1:3
	v_mul_f32_e32 v1, v1, v146
	s_waitcnt lgkmcnt(8)
	v_dot4c_i32_i8 v150, v122, v131
	ds_read2_b32 v[126:127], v126 offset1:1
	v_add_nc_u32_e32 v122, 0x61b0, v34
	s_waitcnt lgkmcnt(6)
	v_dot4c_i32_i8 v154, v168, v130
	v_cvt_f32_i32_e32 v146, v174
	v_dot4c_i32_i8 v150, v123, v135
	v_mul_f32_e32 v174, v2, v143
	ds_read2_b32 v[142:143], v122 offset1:1
	v_dot4c_i32_i8 v154, v169, v134
	v_dot4c_i32_i8 v175, v124, v133
	;; [unrolled: 1-line block ×3, first 2 shown]
	v_add_nc_u32_e32 v122, 0x61b8, v34
	v_add_nc_u32_e32 v123, 0x20c0, v34
	s_waitcnt lgkmcnt(3)
	v_dot4c_i32_i8 v176, v172, v130
	v_dot4c_i32_i8 v154, v128, v131
	;; [unrolled: 1-line block ×4, first 2 shown]
	ds_read2_b32 v[152:153], v122 offset1:1
	ds_read2_b32 v[168:169], v123 offset1:1
	v_dot4c_i32_i8 v176, v173, v134
	ds_read_b128 v[122:125], v30 offset:64
	v_dot4c_i32_i8 v150, v158, v133
	v_dot4c_i32_i8 v154, v129, v135
	v_cvt_f32_i32_e32 v130, v175
	s_waitcnt lgkmcnt(4)
	v_dot4c_i32_i8 v176, v126, v131
	v_mul_f32_e32 v131, v2, v151
	v_dot4c_i32_i8 v150, v159, v137
	v_dot4c_i32_i8 v154, v156, v132
	v_fmac_f32_e32 v11, v174, v130
	v_dot4c_i32_i8 v176, v127, v135
	ds_read_b128 v[126:129], v30 offset:80
	v_cvt_f32_i32_e32 v134, v150
	v_dot4c_i32_i8 v154, v157, v136
	v_add_nc_u32_e32 v172, 0x4158, v34
	s_waitcnt lgkmcnt(4)
	v_dot4c_i32_i8 v176, v142, v132
	v_add_nc_u32_e32 v132, 0x20c8, v34
	v_fmac_f32_e32 v110, v131, v134
	ds_read2_b32 v[130:131], v34 offset0:18 offset1:19
	v_dot4c_i32_i8 v154, v170, v133
	v_dot4c_i32_i8 v176, v143, v136
	v_mov_b32_e32 v136, 0
	v_add_nc_u32_e32 v134, 0x20d0, v34
	v_add_nc_u32_e32 v142, 0x4140, v34
	v_dot4c_i32_i8 v154, v171, v137
	s_waitcnt lgkmcnt(4)
	v_dot4c_i32_i8 v176, v152, v133
	s_waitcnt lgkmcnt(2)
	v_dot4c_i32_i8 v136, v138, v122
	v_add_nc_u32_e32 v138, 0x20d8, v34
	v_add_nc_u32_e32 v152, 0x4148, v34
	;; [unrolled: 1-line block ×4, first 2 shown]
	s_waitcnt lgkmcnt(1)
	v_dot4c_i32_i8 v136, v139, v126
	ds_read2_b32 v[132:133], v132 offset1:1
	ds_read2_b32 v[134:135], v134 offset1:1
	ds_read2_b32 v[138:139], v138 offset1:1
	ds_read2_b32 v[142:143], v142 offset1:1
	ds_read2_b32 v[150:151], v34 offset0:20 offset1:21
	v_fmac_f32_e32 v9, v1, v146
	v_mul_f32_e32 v1, v2, v155
	v_cvt_f32_i32_e32 v146, v154
	ds_read2_b32 v[154:155], v34 offset0:22 offset1:23
	ds_read2_b32 v[156:157], v34 offset0:24 offset1:25
	ds_read2_b32 v[158:159], v152 offset1:1
	ds_read2_b32 v[170:171], v170 offset1:1
	;; [unrolled: 1-line block ×4, first 2 shown]
	s_waitcnt lgkmcnt(11)
	v_dot4c_i32_i8 v136, v130, v123
	v_dot4c_i32_i8 v176, v153, v137
	v_fmac_f32_e32 v105, v1, v146
	v_add_nc_u32_e32 v1, 0x61c8, v34
	v_mul_f32_e32 v137, v2, v147
	v_dot4c_i32_i8 v177, v168, v122
	v_dot4c_i32_i8 v136, v131, v127
	v_mov_b32_e32 v168, 0
	ds_read2_b32 v[1:2], v1 offset1:1
	v_add_nc_u32_e32 v130, 0x61d0, v34
	v_dot4c_i32_i8 v177, v169, v126
	v_add_nc_u32_e32 v152, 0x4170, v34
	s_waitcnt lgkmcnt(8)
	v_dot4c_i32_i8 v178, v142, v122
	s_waitcnt lgkmcnt(7)
	v_dot4c_i32_i8 v136, v150, v124
	ds_read2_b32 v[130:131], v130 offset1:1
	v_dot4c_i32_i8 v177, v132, v123
	v_add_nc_u32_e32 v132, 0x20e0, v34
	v_dot4c_i32_i8 v178, v143, v126
	s_waitcnt lgkmcnt(2)
	v_dot4c_i32_i8 v168, v174, v122
	v_dot4c_i32_i8 v136, v151, v128
	;; [unrolled: 1-line block ×3, first 2 shown]
	v_add_nc_u32_e32 v122, 0x61d8, v34
	v_dot4c_i32_i8 v178, v158, v123
	v_dot4c_i32_i8 v168, v175, v126
	;; [unrolled: 1-line block ×4, first 2 shown]
	ds_read2_b32 v[142:143], v122 offset1:1
	ds_read2_b32 v[146:147], v132 offset1:1
	v_dot4c_i32_i8 v178, v159, v127
	s_waitcnt lgkmcnt(3)
	v_dot4c_i32_i8 v168, v1, v123
	v_dot4c_i32_i8 v136, v155, v129
	v_cvt_f32_i32_e32 v1, v176
	v_dot4c_i32_i8 v177, v135, v128
	v_dot4c_i32_i8 v178, v170, v124
	;; [unrolled: 1-line block ×3, first 2 shown]
	v_mul_f32_e32 v2, v3, v144
	v_cvt_f32_i32_e32 v122, v136
	v_dot4c_i32_i8 v177, v138, v125
	v_dot4c_i32_i8 v178, v171, v128
	s_waitcnt lgkmcnt(2)
	v_dot4c_i32_i8 v168, v130, v124
	v_fmac_f32_e32 v9, v137, v1
	v_add_nc_u32_e32 v1, 0x20e8, v34
	v_fmac_f32_e32 v11, v2, v122
	v_add_nc_u32_e32 v122, 0x20f0, v34
	v_add_nc_u32_e32 v124, 0x20f8, v34
	v_dot4c_i32_i8 v168, v131, v128
	v_add_nc_u32_e32 v128, 0x4160, v34
	v_add_nc_u32_e32 v144, 0x4168, v34
	;; [unrolled: 1-line block ×4, first 2 shown]
	v_dot4c_i32_i8 v178, v172, v125
	v_dot4c_i32_i8 v177, v139, v129
	ds_read_b128 v[130:133], v30 offset:96
	ds_read_b128 v[134:137], v30 offset:112
	ds_read2_b32 v[1:2], v1 offset1:1
	ds_read2_b32 v[122:123], v122 offset1:1
	;; [unrolled: 1-line block ×8, first 2 shown]
	v_mul_f32_e32 v124, v3, v140
	v_dot4c_i32_i8 v178, v173, v129
	v_cvt_f32_i32_e32 v128, v177
	s_waitcnt lgkmcnt(11)
	v_dot4c_i32_i8 v168, v142, v125
	v_add_nc_u32_e32 v125, 0x61e8, v34
	v_mul_f32_e32 v140, v3, v160
	v_cvt_f32_i32_e32 v144, v178
	v_fmac_f32_e32 v110, v124, v128
	v_mov_b32_e32 v142, 0
	ds_read2_b32 v[124:125], v125 offset1:1
	v_dot4c_i32_i8 v168, v143, v129
	v_fmac_f32_e32 v105, v140, v144
	v_mov_b32_e32 v140, 0
	v_mov_b32_e32 v143, 0
	;; [unrolled: 1-line block ×3, first 2 shown]
	v_add_nc_u32_e32 v128, 0x61f0, v34
	s_waitcnt lgkmcnt(10)
	v_dot4c_i32_i8 v142, v156, v130
	v_dot4c_i32_i8 v140, v146, v130
	s_waitcnt lgkmcnt(5)
	v_dot4c_i32_i8 v143, v138, v130
	s_waitcnt lgkmcnt(1)
	v_dot4c_i32_i8 v144, v158, v130
	ds_read2_b32 v[128:129], v128 offset1:1
	v_dot4c_i32_i8 v142, v157, v134
	v_dot4c_i32_i8 v140, v147, v134
	;; [unrolled: 1-line block ×3, first 2 shown]
	v_add_nc_u32_e32 v130, 0x61f8, v34
	v_dot4c_i32_i8 v144, v159, v134
	v_dot4c_i32_i8 v142, v162, v131
	;; [unrolled: 1-line block ×4, first 2 shown]
	ds_read2_b32 v[138:139], v130 offset1:1
	s_waitcnt lgkmcnt(2)
	v_dot4c_i32_i8 v144, v124, v131
	v_dot4c_i32_i8 v142, v163, v135
	;; [unrolled: 1-line block ×4, first 2 shown]
	v_mul_f32_e32 v1, v3, v148
	v_dot4c_i32_i8 v144, v125, v135
	v_dot4c_i32_i8 v142, v164, v132
	;; [unrolled: 1-line block ×4, first 2 shown]
	v_cvt_f32_i32_e32 v2, v168
	s_waitcnt lgkmcnt(1)
	v_dot4c_i32_i8 v144, v128, v132
	v_dot4c_i32_i8 v142, v165, v136
	;; [unrolled: 1-line block ×4, first 2 shown]
	v_fmac_f32_e32 v9, v1, v2
	v_dot4c_i32_i8 v144, v129, v136
	v_dot4c_i32_i8 v142, v166, v133
	;; [unrolled: 1-line block ×4, first 2 shown]
	v_mul_f32_e32 v1, v4, v145
	s_waitcnt lgkmcnt(0)
	v_dot4c_i32_i8 v144, v138, v133
	v_dot4c_i32_i8 v142, v167, v137
	;; [unrolled: 1-line block ×4, first 2 shown]
	v_mul_f32_e32 v3, v4, v141
	v_dot4c_i32_i8 v144, v139, v137
	v_cvt_f32_i32_e32 v2, v142
	v_cvt_f32_i32_e32 v122, v140
	v_mul_f32_e32 v123, v4, v161
	v_cvt_f32_i32_e32 v124, v143
	v_mul_f32_e32 v4, v4, v149
	v_cvt_f32_i32_e32 v125, v144
	v_fmac_f32_e32 v11, v1, v2
	v_fmac_f32_e32 v110, v3, v122
	;; [unrolled: 1-line block ×4, first 2 shown]
	s_barrier
	buffer_gl0_inv
	s_cbranch_scc1 .LBB181_5
; %bb.12:                               ;   in Loop: Header=BB181_6 Depth=1
	v_add_nc_u32_e32 v1, s4, v39
	v_cmp_gt_i32_e64 s1, s9, v1
	s_and_b32 s15, s0, s1
	s_and_saveexec_b32 s1, s15
	s_cbranch_execz .LBB181_14
; %bb.13:                               ;   in Loop: Header=BB181_6 Depth=1
	v_add_nc_u32_e32 v1, s4, v40
	v_mad_i64_i32 v[1:2], null, v1, 36, v[5:6]
	global_load_dword v1, v[1:2], off offset:4
	s_waitcnt vmcnt(0)
	ds_write_b32 v31, v1
.LBB181_14:                             ;   in Loop: Header=BB181_6 Depth=1
	s_or_b32 exec_lo, exec_lo, s1
	s_and_saveexec_b32 s15, vcc_lo
	s_cbranch_execz .LBB181_4
; %bb.15:                               ;   in Loop: Header=BB181_6 Depth=1
	v_add_nc_u32_e32 v1, 4, v121
	v_cmp_gt_i32_e64 s1, s9, v1
	s_and_b32 s1, s0, s1
	s_and_b32 exec_lo, exec_lo, s1
	s_cbranch_execz .LBB181_4
; %bb.16:                               ;   in Loop: Header=BB181_6 Depth=1
	global_load_dword v1, v[7:8], off
	s_waitcnt vmcnt(0)
	v_cvt_f32_f16_e32 v1, v1
	ds_write_b32 v33, v1
	s_branch .LBB181_4
.LBB181_17:
	s_mul_i32 s0, s11, s8
	s_waitcnt vmcnt(0)
	v_cmp_gt_i32_e32 vcc_lo, s0, v10
	s_and_saveexec_b32 s0, vcc_lo
	s_cbranch_execz .LBB181_26
; %bb.18:
	v_add_nc_u32_e32 v1, s16, v0
	v_mul_lo_u32 v0, v10, s10
	s_mov_b32 s0, exec_lo
	v_cmpx_gt_u32_e64 s10, v1
	s_cbranch_execz .LBB181_20
; %bb.19:
	v_add_nc_u32_e32 v2, v0, v1
	v_mov_b32_e32 v3, 0
	v_lshlrev_b64 v[2:3], 2, v[2:3]
	v_add_co_u32 v2, vcc_lo, s2, v2
	v_add_co_ci_u32_e64 v3, null, s3, v3, vcc_lo
	global_store_dword v[2:3], v11, off
.LBB181_20:
	s_or_b32 exec_lo, exec_lo, s0
	v_add_nc_u32_e32 v2, 32, v1
	s_mov_b32 s0, exec_lo
	v_cmpx_gt_u32_e64 s10, v2
	s_cbranch_execz .LBB181_22
; %bb.21:
	v_add_nc_u32_e32 v2, v0, v2
	v_mov_b32_e32 v3, 0
	v_lshlrev_b64 v[2:3], 2, v[2:3]
	v_add_co_u32 v2, vcc_lo, s2, v2
	v_add_co_ci_u32_e64 v3, null, s3, v3, vcc_lo
	global_store_dword v[2:3], v110, off
.LBB181_22:
	s_or_b32 exec_lo, exec_lo, s0
	v_add_nc_u32_e32 v2, 64, v1
	;; [unrolled: 13-line block ×3, first 2 shown]
	v_cmp_gt_u32_e32 vcc_lo, s10, v1
	s_and_b32 exec_lo, exec_lo, vcc_lo
	s_cbranch_execz .LBB181_26
; %bb.25:
	v_add_nc_u32_e32 v0, v0, v1
	v_mov_b32_e32 v1, 0
	v_lshlrev_b64 v[0:1], 2, v[0:1]
	v_add_co_u32 v0, vcc_lo, s2, v0
	v_add_co_ci_u32_e64 v1, null, s3, v1, vcc_lo
	global_store_dword v[0:1], v9, off
.LBB181_26:
	s_endpgm
	.section	.rodata,"a",@progbits
	.p2align	6, 0x0
	.amdhsa_kernel _ZL8moe_q5_0IfLb0EEvPKvS1_PT_PKiS5_S5_iiiiiii
		.amdhsa_group_segment_fixed_size 38656
		.amdhsa_private_segment_fixed_size 0
		.amdhsa_kernarg_size 76
		.amdhsa_user_sgpr_count 6
		.amdhsa_user_sgpr_private_segment_buffer 1
		.amdhsa_user_sgpr_dispatch_ptr 0
		.amdhsa_user_sgpr_queue_ptr 0
		.amdhsa_user_sgpr_kernarg_segment_ptr 1
		.amdhsa_user_sgpr_dispatch_id 0
		.amdhsa_user_sgpr_flat_scratch_init 0
		.amdhsa_user_sgpr_private_segment_size 0
		.amdhsa_wavefront_size32 1
		.amdhsa_uses_dynamic_stack 0
		.amdhsa_system_sgpr_private_segment_wavefront_offset 0
		.amdhsa_system_sgpr_workgroup_id_x 1
		.amdhsa_system_sgpr_workgroup_id_y 1
		.amdhsa_system_sgpr_workgroup_id_z 0
		.amdhsa_system_sgpr_workgroup_info 0
		.amdhsa_system_vgpr_workitem_id 1
		.amdhsa_next_free_vgpr 185
		.amdhsa_next_free_sgpr 21
		.amdhsa_reserve_vcc 1
		.amdhsa_reserve_flat_scratch 0
		.amdhsa_float_round_mode_32 0
		.amdhsa_float_round_mode_16_64 0
		.amdhsa_float_denorm_mode_32 3
		.amdhsa_float_denorm_mode_16_64 3
		.amdhsa_dx10_clamp 1
		.amdhsa_ieee_mode 1
		.amdhsa_fp16_overflow 0
		.amdhsa_workgroup_processor_mode 1
		.amdhsa_memory_ordered 1
		.amdhsa_forward_progress 1
		.amdhsa_shared_vgpr_count 0
		.amdhsa_exception_fp_ieee_invalid_op 0
		.amdhsa_exception_fp_denorm_src 0
		.amdhsa_exception_fp_ieee_div_zero 0
		.amdhsa_exception_fp_ieee_overflow 0
		.amdhsa_exception_fp_ieee_underflow 0
		.amdhsa_exception_fp_ieee_inexact 0
		.amdhsa_exception_int_div_zero 0
	.end_amdhsa_kernel
	.section	.text._ZL8moe_q5_0IfLb0EEvPKvS1_PT_PKiS5_S5_iiiiiii,"axG",@progbits,_ZL8moe_q5_0IfLb0EEvPKvS1_PT_PKiS5_S5_iiiiiii,comdat
.Lfunc_end181:
	.size	_ZL8moe_q5_0IfLb0EEvPKvS1_PT_PKiS5_S5_iiiiiii, .Lfunc_end181-_ZL8moe_q5_0IfLb0EEvPKvS1_PT_PKiS5_S5_iiiiiii
                                        ; -- End function
	.set _ZL8moe_q5_0IfLb0EEvPKvS1_PT_PKiS5_S5_iiiiiii.num_vgpr, 185
	.set _ZL8moe_q5_0IfLb0EEvPKvS1_PT_PKiS5_S5_iiiiiii.num_agpr, 0
	.set _ZL8moe_q5_0IfLb0EEvPKvS1_PT_PKiS5_S5_iiiiiii.numbered_sgpr, 21
	.set _ZL8moe_q5_0IfLb0EEvPKvS1_PT_PKiS5_S5_iiiiiii.num_named_barrier, 0
	.set _ZL8moe_q5_0IfLb0EEvPKvS1_PT_PKiS5_S5_iiiiiii.private_seg_size, 0
	.set _ZL8moe_q5_0IfLb0EEvPKvS1_PT_PKiS5_S5_iiiiiii.uses_vcc, 1
	.set _ZL8moe_q5_0IfLb0EEvPKvS1_PT_PKiS5_S5_iiiiiii.uses_flat_scratch, 0
	.set _ZL8moe_q5_0IfLb0EEvPKvS1_PT_PKiS5_S5_iiiiiii.has_dyn_sized_stack, 0
	.set _ZL8moe_q5_0IfLb0EEvPKvS1_PT_PKiS5_S5_iiiiiii.has_recursion, 0
	.set _ZL8moe_q5_0IfLb0EEvPKvS1_PT_PKiS5_S5_iiiiiii.has_indirect_call, 0
	.section	.AMDGPU.csdata,"",@progbits
; Kernel info:
; codeLenInByte = 15204
; TotalNumSgprs: 23
; NumVgprs: 185
; ScratchSize: 0
; MemoryBound: 0
; FloatMode: 240
; IeeeMode: 1
; LDSByteSize: 38656 bytes/workgroup (compile time only)
; SGPRBlocks: 0
; VGPRBlocks: 23
; NumSGPRsForWavesPerEU: 23
; NumVGPRsForWavesPerEU: 185
; Occupancy: 5
; WaveLimiterHint : 1
; COMPUTE_PGM_RSRC2:SCRATCH_EN: 0
; COMPUTE_PGM_RSRC2:USER_SGPR: 6
; COMPUTE_PGM_RSRC2:TRAP_HANDLER: 0
; COMPUTE_PGM_RSRC2:TGID_X_EN: 1
; COMPUTE_PGM_RSRC2:TGID_Y_EN: 1
; COMPUTE_PGM_RSRC2:TGID_Z_EN: 0
; COMPUTE_PGM_RSRC2:TIDIG_COMP_CNT: 1
	.section	.text._ZL8moe_q5_0IfLb1EEvPKvS1_PT_PKiS5_S5_iiiiiii,"axG",@progbits,_ZL8moe_q5_0IfLb1EEvPKvS1_PT_PKiS5_S5_iiiiiii,comdat
	.globl	_ZL8moe_q5_0IfLb1EEvPKvS1_PT_PKiS5_S5_iiiiiii ; -- Begin function _ZL8moe_q5_0IfLb1EEvPKvS1_PT_PKiS5_S5_iiiiiii
	.p2align	8
	.type	_ZL8moe_q5_0IfLb1EEvPKvS1_PT_PKiS5_S5_iiiiiii,@function
_ZL8moe_q5_0IfLb1EEvPKvS1_PT_PKiS5_S5_iiiiiii: ; @_ZL8moe_q5_0IfLb1EEvPKvS1_PT_PKiS5_S5_iiiiiii
; %bb.0:
	s_load_dwordx4 s[0:3], s[4:5], 0x18
	s_mov_b32 s8, s7
	s_mov_b32 s9, 0
	s_lshl_b64 s[10:11], s[8:9], 2
	s_waitcnt lgkmcnt(0)
	s_add_u32 s2, s2, s10
	s_addc_u32 s3, s3, s11
	s_load_dword s16, s[2:3], 0x0
	s_waitcnt lgkmcnt(0)
	s_cmpk_gt_u32 s16, 0xff
	s_cbranch_scc1 .LBB182_26
; %bb.1:
	s_load_dwordx2 s[2:3], s[4:5], 0x28
	s_waitcnt lgkmcnt(0)
	s_load_dword s3, s[2:3], 0x0
	s_lshl_b32 s2, s8, 3
	s_waitcnt lgkmcnt(0)
	s_cmp_gt_u32 s2, s3
	s_cbranch_scc1 .LBB182_26
; %bb.2:
	v_add_nc_u32_e32 v24, s2, v1
	v_mov_b32_e32 v25, 0
	v_lshlrev_b64 v[2:3], 2, v[24:25]
	v_mov_b32_e32 v105, v25
	v_mov_b32_e32 v110, v25
	;; [unrolled: 1-line block ×3, first 2 shown]
	v_add_co_u32 v2, vcc_lo, s0, v2
	v_add_co_ci_u32_e64 v3, null, s1, v3, vcc_lo
	global_load_dword v26, v[2:3], off
	s_clause 0x1
	s_load_dwordx8 s[8:15], s[4:5], 0x30
	s_load_dwordx2 s[2:3], s[4:5], 0x10
	s_waitcnt lgkmcnt(0)
	s_lshl_b32 s15, s6, 7
	s_cmp_lt_i32 s9, 32
	s_cbranch_scc1 .LBB182_17
; %bb.3:
	s_ashr_i32 s0, s9, 31
	s_ashr_i32 s1, s12, 31
	s_lshr_b32 s0, s0, 27
	s_lshr_b32 s1, s1, 27
	s_add_i32 s0, s9, s0
	v_add_nc_u32_e32 v6, 8, v1
	s_ashr_i32 s18, s0, 5
	s_add_i32 s0, s12, s1
	v_add_nc_u32_e32 v7, 16, v1
	s_ashr_i32 s12, s0, 5
	s_not_b32 s0, s15
	v_lshlrev_b32_e32 v3, 2, v0
	s_add_i32 s0, s10, s0
	v_lshlrev_b32_e32 v2, 3, v0
	v_min_i32_e32 v5, s0, v1
	v_min_i32_e32 v8, s0, v6
	;; [unrolled: 1-line block ×3, first 2 shown]
	v_add_nc_u32_e32 v9, 24, v1
	v_add_nc_u32_e32 v11, 32, v1
	v_mul_lo_u32 v23, v5, s18
	v_mad_u64_u32 v[5:6], null, 0x104, v5, v[2:3]
	v_mad_u64_u32 v[6:7], null, 0x104, v8, v[2:3]
	v_mul_lo_u32 v25, v8, s18
	v_mul_lo_u32 v47, v10, s18
	v_mad_u64_u32 v[7:8], null, 0x104, v10, v[2:3]
	v_add_nc_u32_e32 v10, 40, v1
	v_min_i32_e32 v9, s0, v9
	v_min_i32_e32 v11, s0, v11
	v_add_nc_u32_e32 v12, 48, v1
	v_add_nc_u32_e32 v14, 56, v1
	v_min_i32_e32 v13, s0, v10
	v_mul_lo_u32 v51, v9, s18
	v_mad_u64_u32 v[8:9], null, 0x104, v9, v[2:3]
	v_mad_u64_u32 v[9:10], null, 0x104, v11, v[2:3]
	v_mul_lo_u32 v55, v11, s18
	v_mul_lo_u32 v59, v13, s18
	v_mad_u64_u32 v[10:11], null, 0x104, v13, v[2:3]
	v_add_nc_u32_e32 v13, 64, v1
	v_min_i32_e32 v12, s0, v12
	v_min_i32_e32 v14, s0, v14
	v_add_nc_u32_e32 v15, 0x48, v1
	v_add_nc_u32_e32 v17, 0x50, v1
	v_min_i32_e32 v16, s0, v13
	v_mul_lo_u32 v63, v12, s18
	v_mad_u64_u32 v[11:12], null, 0x104, v12, v[2:3]
	v_mad_u64_u32 v[12:13], null, 0x104, v14, v[2:3]
	v_mul_lo_u32 v67, v14, s18
	v_mul_lo_u32 v71, v16, s18
	v_mad_u64_u32 v[13:14], null, 0x104, v16, v[2:3]
	v_add_nc_u32_e32 v16, 0x58, v1
	v_min_i32_e32 v15, s0, v15
	v_min_i32_e32 v17, s0, v17
	v_add_nc_u32_e32 v20, 0x68, v1
	s_abs_i32 s1, s14
	v_min_i32_e32 v19, s0, v16
	v_mul_lo_u32 v75, v15, s18
	v_mad_u64_u32 v[14:15], null, 0x104, v15, v[2:3]
	v_mad_u64_u32 v[15:16], null, 0x104, v17, v[2:3]
	v_mul_lo_u32 v79, v17, s18
	v_mul_lo_u32 v83, v19, s18
	v_mad_u64_u32 v[16:17], null, 0x104, v19, v[2:3]
	v_min_i32_e32 v19, s0, v20
	v_cvt_f32_u32_e32 v20, s1
	v_lshrrev_b32_e32 v29, 3, v0
	v_add_nc_u32_e32 v18, 0x60, v1
	v_add_nc_u32_e32 v21, 0x70, v1
	;; [unrolled: 1-line block ×3, first 2 shown]
	v_rcp_iflag_f32_e32 v20, v20
	v_lshl_add_u32 v22, v1, 2, v29
	v_min_i32_e32 v18, s0, v18
	v_min_i32_e32 v21, s0, v21
	v_min_i32_e32 v30, s0, v30
	v_mul_lo_u32 v91, v19, s18
	v_min_i32_e32 v24, s0, v22
	v_mul_lo_u32 v87, v18, s18
	v_mad_u64_u32 v[17:18], null, 0x104, v18, v[2:3]
	v_mul_f32_e32 v32, 0x4f7ffffe, v20
	v_ashrrev_i32_e32 v31, 31, v24
	v_mad_u64_u32 v[18:19], null, 0x104, v19, v[2:3]
	s_sub_i32 s10, 0, s1
	v_cvt_u32_f32_e32 v32, v32
	v_mad_u64_u32 v[19:20], null, 0x104, v21, v[2:3]
	v_lshrrev_b32_e32 v31, 30, v31
	v_mul_lo_u32 v95, v21, s18
	v_mul_lo_u32 v99, v30, s18
	v_mad_u64_u32 v[20:21], null, 0x104, v30, v[2:3]
	v_mul_lo_u32 v30, s10, v32
	v_add_nc_u32_e32 v2, v24, v31
	v_add_nc_u32_e32 v21, 32, v22
	;; [unrolled: 1-line block ×4, first 2 shown]
	s_waitcnt vmcnt(0)
	v_sub_nc_u32_e32 v34, 0, v26
	v_and_b32_e32 v105, 7, v0
	v_min_i32_e32 v21, s0, v21
	v_mul_hi_u32 v30, v32, v30
	v_min_i32_e32 v31, s0, v31
	v_min_i32_e32 v22, s0, v22
	v_max_i32_e32 v34, v26, v34
	v_ashrrev_i32_e32 v33, 31, v21
	v_and_b32_e32 v2, -4, v2
	v_ashrrev_i32_e32 v36, 31, v31
	v_lshlrev_b32_e32 v35, 2, v105
	v_add_nc_u32_e32 v30, v32, v30
	v_lshrrev_b32_e32 v33, 30, v33
	v_mul_lo_u32 v103, v24, s18
	v_lshrrev_b32_e32 v32, 30, v36
	v_ashrrev_i32_e32 v36, 31, v22
	v_mul_hi_u32 v30, v34, v30
	v_add3_u32 v110, v2, v35, 0x8200
	v_add_nc_u32_e32 v2, v21, v33
	v_add_nc_u32_e32 v32, v31, v32
	v_lshrrev_b32_e32 v33, 30, v36
	v_lshlrev_b32_e32 v117, 5, v24
	v_mul_lo_u32 v106, v21, s18
	v_and_b32_e32 v2, -4, v2
	v_and_b32_e32 v24, -4, v32
	v_add_nc_u32_e32 v32, v22, v33
	v_mul_lo_u32 v33, v30, s1
	v_lshlrev_b32_e32 v119, 5, v21
	v_add3_u32 v118, v2, v35, 0x8200
	v_add3_u32 v120, v24, v35, 0x8200
	v_and_b32_e32 v2, -4, v32
	v_lshl_add_u32 v32, v1, 4, 0x9680
	s_load_dwordx4 s[4:7], s[4:5], 0x0
	v_and_b32_e32 v28, 12, v3
	v_sub_nc_u32_e32 v21, v34, v33
	v_add3_u32 v122, v2, v35, 0x8200
	v_add_nc_u32_e32 v2, 1, v30
	v_xor_b32_e32 v33, s14, v26
	v_and_b32_e32 v40, 28, v3
	v_subrev_nc_u32_e32 v24, s1, v21
	v_cmp_le_u32_e32 vcc_lo, s1, v21
	v_add_nc_u32_e32 v34, 0x60, v0
	v_lshrrev_b32_e32 v4, 2, v0
	s_mul_i32 s8, s16, s8
	s_mul_i32 s16, s18, s15
	v_cndmask_b32_e32 v2, v30, v2, vcc_lo
	v_cndmask_b32_e32 v21, v21, v24, vcc_lo
	v_lshl_add_u32 v30, v1, 7, 0x9280
	v_ashrrev_i32_e32 v1, 31, v33
	v_add_nc_u32_e32 v33, v32, v3
	v_add_nc_u32_e32 v24, 1, v2
	v_cmp_le_u32_e32 vcc_lo, s1, v21
	v_add_nc_u32_e32 v3, 32, v0
	v_and_b32_e32 v38, 0x1fc, v34
	v_lshlrev_b32_e32 v39, 5, v34
	s_mul_hi_i32 s17, s16, 22
	v_cndmask_b32_e32 v2, v2, v24, vcc_lo
	v_add_nc_u32_e32 v24, 64, v0
	v_and_b32_e32 v36, 0x1fc, v3
	v_add3_u32 v38, v39, v38, 0x8200
	v_lshrrev_b32_e32 v39, 3, v3
	v_xor_b32_e32 v2, v2, v1
	v_and_b32_e32 v37, 0x1fc, v24
	v_lshlrev_b32_e32 v24, 5, v24
	s_mul_i32 s16, s16, 22
	v_mul_lo_u32 v112, v22, s18
	v_sub_nc_u32_e32 v1, v2, v1
	v_lshlrev_b32_e32 v2, 5, v3
	v_add3_u32 v37, v24, v37, 0x8200
	v_lshlrev_b32_e32 v123, 5, v22
	v_and_b32_e32 v22, 31, v0
	v_mul_lo_u32 v42, v1, s12
	v_add3_u32 v36, v2, v36, 0x8200
	v_cmp_gt_i32_e64 s0, s11, v1
	v_mul_lo_u32 v111, v31, s18
	v_lshlrev_b32_e32 v121, 5, v31
	v_lshl_or_b32 v31, v22, 2, v30
	v_and_b32_e32 v21, 0xfc, v0
	v_lshlrev_b32_e32 v22, 5, v0
	v_ashrrev_i32_e32 v2, 31, v42
	v_add_co_u32 v3, s1, v42, v0
	v_mul_hi_u32_u24_e32 v113, 22, v105
	v_add3_u32 v35, v22, v21, 0x8200
	v_add_co_ci_u32_e64 v24, null, 0, v2, s1
	v_mad_u64_u32 v[1:2], null, v4, 22, s[16:17]
	s_waitcnt lgkmcnt(0)
	v_mad_u64_u32 v[3:4], null, v3, 36, s[6:7]
	v_add_co_u32 v21, s1, s6, v40
	v_add_co_ci_u32_e64 v22, null, s7, 0, s1
	v_mad_i64_i32 v[45:46], null, v23, 22, v[1:2]
	v_mad_i32_i24 v4, v24, 36, v4
	v_add_co_u32 v23, s1, 0x90, v3
	v_mad_i64_i32 v[53:54], null, v47, 22, v[1:2]
	v_add_co_ci_u32_e64 v24, null, 0, v4, s1
	v_add_co_u32 v43, s1, v45, v28
	v_add_co_ci_u32_e64 v44, null, 0, v46, s1
	v_mad_i64_i32 v[3:4], null, v25, 22, v[1:2]
	v_add_co_u32 v25, s1, s4, v43
	v_add_co_ci_u32_e64 v44, null, s5, v44, s1
	v_mad_i64_i32 v[61:62], null, v55, 22, v[1:2]
	v_add_co_u32 v43, s1, v25, 6
	v_add_co_ci_u32_e64 v44, null, 0, v44, s1
	v_add_co_u32 v25, s1, v3, v28
	v_add_co_ci_u32_e64 v48, null, 0, v4, s1
	;; [unrolled: 2-line block ×4, first 2 shown]
	v_mad_i64_i32 v[69:70], null, v63, 22, v[1:2]
	v_add_co_u32 v47, s1, v25, 6
	v_add_co_ci_u32_e64 v48, null, 0, v48, s1
	v_add_co_u32 v3, s1, s4, v3
	v_add_co_ci_u32_e64 v4, null, s5, v4, s1
	;; [unrolled: 2-line block ×4, first 2 shown]
	v_add_co_u32 v25, s1, s4, v25
	v_mad_i64_i32 v[3:4], null, v51, 22, v[1:2]
	v_add_co_ci_u32_e64 v52, null, s5, v52, s1
	v_add_co_u32 v51, s1, v25, 6
	v_mad_i64_i32 v[77:78], null, v71, 22, v[1:2]
	v_add_co_ci_u32_e64 v52, null, 0, v52, s1
	v_add_co_u32 v25, s1, s4, v53
	v_add_co_ci_u32_e64 v54, null, s5, v54, s1
	v_add_co_u32 v56, s1, v3, v28
	;; [unrolled: 2-line block ×4, first 2 shown]
	v_add_co_ci_u32_e64 v56, null, s5, v57, s1
	v_mad_i64_i32 v[85:86], null, v79, 22, v[1:2]
	v_add_co_u32 v55, s1, v25, 6
	v_add_co_ci_u32_e64 v56, null, 0, v56, s1
	v_add_co_u32 v3, s1, s4, v3
	v_add_co_ci_u32_e64 v4, null, s5, v4, s1
	;; [unrolled: 2-line block ×4, first 2 shown]
	v_add_co_u32 v25, s1, s4, v25
	v_mad_i64_i32 v[3:4], null, v59, 22, v[1:2]
	v_add_co_ci_u32_e64 v60, null, s5, v60, s1
	v_add_co_u32 v59, s1, v25, 6
	v_mad_i64_i32 v[93:94], null, v87, 22, v[1:2]
	v_add_co_ci_u32_e64 v60, null, 0, v60, s1
	v_add_co_u32 v25, s1, s4, v61
	v_add_co_ci_u32_e64 v62, null, s5, v62, s1
	v_add_co_u32 v64, s1, v3, v28
	;; [unrolled: 2-line block ×4, first 2 shown]
	v_add_co_ci_u32_e64 v64, null, s5, v65, s1
	v_mad_i64_i32 v[101:102], null, v95, 22, v[1:2]
	v_add_co_u32 v63, s1, v25, 6
	v_add_co_ci_u32_e64 v64, null, 0, v64, s1
	v_add_co_u32 v3, s1, s4, v3
	v_add_co_ci_u32_e64 v4, null, s5, v4, s1
	;; [unrolled: 2-line block ×4, first 2 shown]
	v_add_co_u32 v25, s1, s4, v25
	v_mad_i64_i32 v[3:4], null, v67, 22, v[1:2]
	v_add_co_ci_u32_e64 v68, null, s5, v68, s1
	v_add_co_u32 v67, s1, v25, 6
	v_mul_u32_u24_e32 v105, 22, v105
	v_add_co_ci_u32_e64 v68, null, 0, v68, s1
	v_add_co_u32 v25, s1, s4, v69
	v_add_co_ci_u32_e64 v70, null, s5, v70, s1
	v_add_co_u32 v72, s1, v3, v28
	;; [unrolled: 2-line block ×4, first 2 shown]
	v_add_co_ci_u32_e64 v72, null, s5, v73, s1
	v_cmp_gt_u32_e32 vcc_lo, 4, v0
	v_add_co_u32 v71, s1, v25, 6
	v_add_co_ci_u32_e64 v72, null, 0, v72, s1
	v_add_co_u32 v3, s1, s4, v3
	v_add_co_ci_u32_e64 v4, null, s5, v4, s1
	;; [unrolled: 2-line block ×4, first 2 shown]
	v_add_co_u32 v25, s1, s4, v25
	v_mad_i64_i32 v[3:4], null, v75, 22, v[1:2]
	v_add_co_ci_u32_e64 v76, null, s5, v76, s1
	v_add_co_u32 v75, s1, v25, 6
	v_mov_b32_e32 v27, 0
	v_add_co_ci_u32_e64 v76, null, 0, v76, s1
	v_add_co_u32 v25, s1, s4, v77
	v_add_co_ci_u32_e64 v78, null, s5, v78, s1
	v_add_co_u32 v80, s1, v3, v28
	;; [unrolled: 2-line block ×4, first 2 shown]
	v_add_co_ci_u32_e64 v80, null, s5, v81, s1
	v_mul_u32_u24_e32 v34, 0x104, v0
	v_add_co_u32 v79, s1, v25, 6
	v_add_co_ci_u32_e64 v80, null, 0, v80, s1
	v_add_co_u32 v3, s1, s4, v3
	v_add_co_ci_u32_e64 v4, null, s5, v4, s1
	;; [unrolled: 2-line block ×4, first 2 shown]
	v_add_co_u32 v25, s1, s4, v25
	v_mad_i64_i32 v[3:4], null, v83, 22, v[1:2]
	v_add_co_ci_u32_e64 v84, null, s5, v84, s1
	v_add_co_u32 v83, s1, v25, 6
	v_add_nc_u32_e32 v40, v39, v42
	v_add_co_ci_u32_e64 v84, null, 0, v84, s1
	v_add_co_u32 v25, s1, s4, v85
	v_add_co_ci_u32_e64 v86, null, s5, v86, s1
	v_add_co_u32 v88, s1, v3, v28
	v_add_co_ci_u32_e64 v89, null, 0, v4, s1
	v_add_co_u32 v85, s1, v25, 2
	v_add_co_ci_u32_e64 v86, null, 0, v86, s1
	v_add_co_u32 v25, s1, s4, v88
	v_add_co_ci_u32_e64 v88, null, s5, v89, s1
	v_add_nc_u32_e32 v41, v29, v42
	v_add_co_u32 v87, s1, v25, 6
	v_add_co_ci_u32_e64 v88, null, 0, v88, s1
	v_add_co_u32 v3, s1, s4, v3
	v_add_co_ci_u32_e64 v4, null, s5, v4, s1
	;; [unrolled: 2-line block ×4, first 2 shown]
	v_add_co_u32 v25, s1, s4, v25
	v_mad_i64_i32 v[3:4], null, v91, 22, v[1:2]
	v_add_co_ci_u32_e64 v92, null, s5, v92, s1
	v_add_co_u32 v91, s1, v25, 6
	v_mad_i64_i32 v[1:2], null, v99, 22, v[1:2]
	v_add_co_ci_u32_e64 v92, null, 0, v92, s1
	v_add_co_u32 v25, s1, s4, v93
	v_add_co_ci_u32_e64 v94, null, s5, v94, s1
	v_add_co_u32 v96, s1, v3, v28
	;; [unrolled: 2-line block ×4, first 2 shown]
	v_add_co_ci_u32_e64 v96, null, s5, v97, s1
	v_add_nc_u32_e32 v42, v0, v42
	v_add_co_u32 v95, s1, v25, 6
	v_add_co_ci_u32_e64 v96, null, 0, v96, s1
	v_add_co_u32 v3, s1, s4, v3
	v_add_co_ci_u32_e64 v4, null, s5, v4, s1
	;; [unrolled: 2-line block ×5, first 2 shown]
	v_add_nc_u32_e32 v117, v110, v117
	v_add_co_u32 v99, s1, v3, 6
	v_add_co_ci_u32_e64 v100, null, 0, v4, s1
	v_add_co_u32 v3, s1, s4, v101
	v_add_co_ci_u32_e64 v4, null, s5, v102, s1
	;; [unrolled: 2-line block ×5, first 2 shown]
	v_mad_i64_i32 v[3:4], null, v103, 22, 0
	v_add_co_u32 v103, s1, v25, 6
	v_add_co_ci_u32_e64 v104, null, 0, v104, s1
	v_add_co_u32 v25, s1, s4, v1
	v_add_co_ci_u32_e64 v107, null, s5, v2, s1
	v_mad_i64_i32 v[1:2], null, v106, 22, 0
	v_add_co_u32 v3, s1, s16, v3
	v_add_co_ci_u32_e64 v4, null, s17, v4, s1
	v_add_co_u32 v106, s1, v25, 2
	v_add_co_ci_u32_e64 v107, null, 0, v107, s1
	;; [unrolled: 2-line block ×6, first 2 shown]
	v_mad_i64_i32 v[1:2], null, v111, 22, 0
	v_mad_i64_i32 v[3:4], null, v112, 22, 0
	v_add_co_u32 v111, s1, s4, v25
	v_add_co_ci_u32_e64 v112, null, s5, v114, s1
	v_add_co_u32 v1, s1, s16, v1
	v_add_co_ci_u32_e64 v2, null, s17, v2, s1
	;; [unrolled: 2-line block ×7, first 2 shown]
	v_add_nc_u32_e32 v118, v118, v119
	v_add_nc_u32_e32 v119, v120, v121
	;; [unrolled: 1-line block ×3, first 2 shown]
	v_mov_b32_e32 v110, 0
	v_mov_b32_e32 v105, 0
	v_mov_b32_e32 v25, 0
	s_ashr_i32 s19, s8, 31
	s_mov_b32 s4, 0
	s_and_b32 s5, vcc_lo, s0
	s_movk_i32 s10, 0x80
	s_branch .LBB182_6
.LBB182_4:                              ;   in Loop: Header=BB182_6 Depth=1
	s_or_b32 exec_lo, exec_lo, s16
	s_waitcnt lgkmcnt(0)
	s_barrier
	buffer_gl0_inv
	ds_read_b128 v[121:124], v30
	ds_read2_b32 v[129:130], v34 offset0:32 offset1:33
	v_add_nc_u32_e32 v1, 0x2100, v34
	ds_read_b128 v[125:128], v30 offset:16
	ds_read2_b32 v[131:132], v1 offset1:1
	ds_read_b128 v[1:4], v32
	ds_read2_b32 v[133:134], v34 offset0:34 offset1:35
	v_add_nc_u32_e32 v137, 0x2108, v34
	ds_read2_b32 v[135:136], v34 offset0:36 offset1:37
	v_mov_b32_e32 v167, 0
	v_add_nc_u32_e32 v139, 0x4180, v34
	v_mov_b32_e32 v168, 0
	ds_read2_b32 v[137:138], v137 offset1:1
	v_add_nc_u32_e32 v141, 0x2110, v34
	v_add_nc_u32_e32 v143, 0x2118, v34
	ds_read2_b32 v[139:140], v139 offset1:1
	ds_read2_b32 v[141:142], v141 offset1:1
	;; [unrolled: 1-line block ×3, first 2 shown]
	ds_read2_b32 v[145:146], v38 offset0:4 offset1:5
	ds_read2_b32 v[147:148], v38 offset0:6 offset1:7
	;; [unrolled: 1-line block ×4, first 2 shown]
	v_mov_b32_e32 v169, 0
	s_waitcnt lgkmcnt(13)
	v_dot4c_i32_i8 v167, v129, v121
	v_add_nc_u32_e32 v129, 0x4188, v34
	v_mov_b32_e32 v173, 0
	s_waitcnt lgkmcnt(11)
	v_dot4c_i32_i8 v168, v131, v121
	v_add_nc_u32_e32 v131, 0x4198, v34
	v_dot4c_i32_i8 v167, v130, v125
	ds_read2_b32 v[153:154], v129 offset1:1
	v_add_nc_u32_e32 v129, 0x6200, v34
	v_dot4c_i32_i8 v168, v132, v125
	v_add_nc_u32_e32 v130, 0x4190, v34
	s_waitcnt lgkmcnt(10)
	v_dot4c_i32_i8 v167, v133, v122
	v_add_nc_u32_e32 v159, 0x2120, v34
	v_mov_b32_e32 v174, 0
	s_waitcnt lgkmcnt(8)
	v_dot4c_i32_i8 v168, v137, v122
	s_waitcnt lgkmcnt(7)
	v_dot4c_i32_i8 v169, v139, v121
	v_dot4c_i32_i8 v167, v134, v126
	v_add_nc_u32_e32 v139, 0x6208, v34
	v_add_nc_u32_e32 v171, 0x6220, v34
	v_dot4c_i32_i8 v168, v138, v126
	ds_read2_b32 v[137:138], v129 offset1:1
	ds_read2_b32 v[155:156], v130 offset1:1
	;; [unrolled: 1-line block ×3, first 2 shown]
	v_dot4c_i32_i8 v167, v135, v123
	v_dot4c_i32_i8 v169, v140, v125
	v_mov_b32_e32 v175, 0
	s_waitcnt lgkmcnt(9)
	v_dot4c_i32_i8 v168, v141, v123
	v_mov_b32_e32 v176, 0
	v_dot4c_i32_i8 v167, v136, v127
	ds_read_b128 v[129:132], v30 offset:32
	ds_read_b128 v[133:136], v30 offset:48
	ds_read2_b32 v[139:140], v139 offset1:1
	s_waitcnt lgkmcnt(6)
	v_dot4c_i32_i8 v169, v153, v122
	v_dot4c_i32_i8 v168, v142, v127
	v_dot4c_i32_i8 v167, v149, v124
	ds_read2_b32 v[141:142], v35 offset0:4 offset1:5
	v_mov_b32_e32 v177, 0
	v_dot4c_i32_i8 v169, v154, v126
	v_dot4c_i32_i8 v168, v143, v124
	v_add_nc_u32_e32 v143, 0x6218, v34
	v_dot4c_i32_i8 v167, v150, v128
	s_waitcnt lgkmcnt(6)
	v_dot4c_i32_i8 v173, v137, v121
	v_add_nc_u32_e32 v121, 0x6210, v34
	s_waitcnt lgkmcnt(5)
	v_dot4c_i32_i8 v169, v155, v123
	ds_read2_b32 v[149:150], v36 offset0:4 offset1:5
	ds_read2_b32 v[153:154], v37 offset0:4 offset1:5
	v_dot4c_i32_i8 v168, v144, v128
	v_dot4c_i32_i8 v173, v138, v125
	ds_read2_b32 v[137:138], v121 offset1:1
	v_dot4c_i32_i8 v169, v156, v127
	ds_read2_b32 v[155:156], v143 offset1:1
	ds_read2_b32 v[159:160], v159 offset1:1
	ds_read2_b32 v[161:162], v34 offset0:58 offset1:59
	ds_read2_b32 v[163:164], v34 offset0:60 offset1:61
	;; [unrolled: 1-line block ×3, first 2 shown]
	s_waitcnt lgkmcnt(9)
	v_dot4c_i32_i8 v173, v139, v122
	v_dot4c_i32_i8 v174, v151, v129
	;; [unrolled: 1-line block ×3, first 2 shown]
	v_cvt_f32_i32_e32 v167, v167
	s_waitcnt lgkmcnt(8)
	v_mul_f32_e32 v141, v1, v141
	v_dot4c_i32_i8 v173, v140, v126
	ds_read2_b32 v[121:122], v34 offset0:42 offset1:43
	ds_read2_b32 v[139:140], v36 offset0:6 offset1:7
	ds_read2_b32 v[143:144], v35 offset0:6 offset1:7
	ds_read2_b32 v[125:126], v34 offset0:44 offset1:45
	v_dot4c_i32_i8 v174, v152, v133
	v_dot4c_i32_i8 v169, v158, v128
	v_cvt_f32_i32_e32 v157, v168
	v_fmac_f32_e32 v27, v141, v167
	s_waitcnt lgkmcnt(11)
	v_mul_f32_e32 v149, v1, v149
	v_add_nc_u32_e32 v141, 0x2138, v34
	s_waitcnt lgkmcnt(9)
	v_dot4c_i32_i8 v173, v137, v123
	v_mul_f32_e32 v123, v1, v153
	v_cvt_f32_i32_e32 v137, v169
	v_fmac_f32_e32 v110, v149, v157
	v_add_nc_u32_e32 v149, 0x41a0, v34
	v_dot4c_i32_i8 v173, v138, v127
	v_add_nc_u32_e32 v127, 0x2130, v34
	v_fmac_f32_e32 v105, v123, v137
	s_waitcnt lgkmcnt(3)
	v_dot4c_i32_i8 v174, v121, v130
	v_add_nc_u32_e32 v121, 0x2128, v34
	v_dot4c_i32_i8 v173, v155, v124
	ds_read2_b32 v[123:124], v34 offset0:46 offset1:47
	ds_read2_b32 v[137:138], v34 offset0:48 offset1:49
	v_add_nc_u32_e32 v153, 0x41b8, v34
	v_dot4c_i32_i8 v174, v122, v134
	ds_read2_b32 v[121:122], v121 offset1:1
	ds_read2_b32 v[151:152], v127 offset1:1
	;; [unrolled: 1-line block ×4, first 2 shown]
	v_mov_b32_e32 v149, 0
	v_add_nc_u32_e32 v141, 0x41b0, v34
	v_dot4c_i32_i8 v173, v156, v128
	s_waitcnt lgkmcnt(6)
	v_dot4c_i32_i8 v174, v125, v131
	v_add_nc_u32_e32 v125, 0x41a8, v34
	v_dot4c_i32_i8 v149, v159, v129
	ds_read2_b32 v[127:128], v125 offset1:1
	ds_read2_b32 v[155:156], v141 offset1:1
	;; [unrolled: 1-line block ×4, first 2 shown]
	v_dot4c_i32_i8 v149, v160, v133
	v_add_nc_u32_e32 v125, 0x6228, v34
	v_dot4c_i32_i8 v174, v126, v135
	v_mov_b32_e32 v153, 0
	ds_read2_b32 v[159:160], v37 offset0:6 offset1:7
	v_mul_f32_e32 v1, v1, v145
	s_waitcnt lgkmcnt(8)
	v_dot4c_i32_i8 v149, v121, v130
	ds_read2_b32 v[125:126], v125 offset1:1
	v_add_nc_u32_e32 v121, 0x6230, v34
	s_waitcnt lgkmcnt(6)
	v_dot4c_i32_i8 v153, v167, v129
	v_cvt_f32_i32_e32 v145, v173
	v_dot4c_i32_i8 v149, v122, v134
	v_mul_f32_e32 v173, v2, v142
	ds_read2_b32 v[141:142], v121 offset1:1
	v_dot4c_i32_i8 v153, v168, v133
	v_dot4c_i32_i8 v174, v123, v132
	;; [unrolled: 1-line block ×3, first 2 shown]
	v_add_nc_u32_e32 v121, 0x6238, v34
	v_add_nc_u32_e32 v122, 0x2140, v34
	s_waitcnt lgkmcnt(3)
	v_dot4c_i32_i8 v175, v171, v129
	v_dot4c_i32_i8 v153, v127, v130
	;; [unrolled: 1-line block ×4, first 2 shown]
	ds_read2_b32 v[151:152], v121 offset1:1
	ds_read2_b32 v[167:168], v122 offset1:1
	v_dot4c_i32_i8 v175, v172, v133
	ds_read_b128 v[121:124], v30 offset:64
	v_dot4c_i32_i8 v149, v157, v132
	v_dot4c_i32_i8 v153, v128, v134
	v_cvt_f32_i32_e32 v129, v174
	s_waitcnt lgkmcnt(4)
	v_dot4c_i32_i8 v175, v125, v130
	v_mul_f32_e32 v130, v2, v150
	v_dot4c_i32_i8 v149, v158, v136
	v_dot4c_i32_i8 v153, v155, v131
	v_fmac_f32_e32 v27, v173, v129
	v_dot4c_i32_i8 v175, v126, v134
	ds_read_b128 v[125:128], v30 offset:80
	v_cvt_f32_i32_e32 v133, v149
	v_dot4c_i32_i8 v153, v156, v135
	v_add_nc_u32_e32 v171, 0x41d8, v34
	s_waitcnt lgkmcnt(4)
	v_dot4c_i32_i8 v175, v141, v131
	v_add_nc_u32_e32 v131, 0x2148, v34
	v_fmac_f32_e32 v110, v130, v133
	ds_read2_b32 v[129:130], v34 offset0:50 offset1:51
	v_dot4c_i32_i8 v153, v169, v132
	v_dot4c_i32_i8 v175, v142, v135
	v_mov_b32_e32 v135, 0
	v_add_nc_u32_e32 v133, 0x2150, v34
	v_add_nc_u32_e32 v141, 0x41c0, v34
	v_dot4c_i32_i8 v153, v170, v136
	s_waitcnt lgkmcnt(4)
	v_dot4c_i32_i8 v175, v151, v132
	s_waitcnt lgkmcnt(2)
	v_dot4c_i32_i8 v135, v137, v121
	v_add_nc_u32_e32 v137, 0x2158, v34
	v_add_nc_u32_e32 v151, 0x41c8, v34
	v_add_nc_u32_e32 v169, 0x41d0, v34
	v_add_nc_u32_e32 v173, 0x6240, v34
	s_waitcnt lgkmcnt(1)
	v_dot4c_i32_i8 v135, v138, v125
	ds_read2_b32 v[131:132], v131 offset1:1
	ds_read2_b32 v[133:134], v133 offset1:1
	;; [unrolled: 1-line block ×4, first 2 shown]
	ds_read2_b32 v[149:150], v34 offset0:52 offset1:53
	v_fmac_f32_e32 v25, v1, v145
	v_mul_f32_e32 v1, v2, v154
	v_cvt_f32_i32_e32 v145, v153
	ds_read2_b32 v[153:154], v34 offset0:54 offset1:55
	ds_read2_b32 v[155:156], v34 offset0:56 offset1:57
	ds_read2_b32 v[157:158], v151 offset1:1
	ds_read2_b32 v[169:170], v169 offset1:1
	;; [unrolled: 1-line block ×4, first 2 shown]
	s_waitcnt lgkmcnt(11)
	v_dot4c_i32_i8 v135, v129, v122
	v_dot4c_i32_i8 v175, v152, v136
	v_fmac_f32_e32 v105, v1, v145
	v_add_nc_u32_e32 v1, 0x6248, v34
	v_mul_f32_e32 v136, v2, v146
	v_dot4c_i32_i8 v176, v167, v121
	v_dot4c_i32_i8 v135, v130, v126
	v_mov_b32_e32 v167, 0
	ds_read2_b32 v[1:2], v1 offset1:1
	v_add_nc_u32_e32 v129, 0x6250, v34
	v_dot4c_i32_i8 v176, v168, v125
	v_add_nc_u32_e32 v151, 0x41f0, v34
	s_waitcnt lgkmcnt(8)
	v_dot4c_i32_i8 v177, v141, v121
	s_waitcnt lgkmcnt(7)
	v_dot4c_i32_i8 v135, v149, v123
	ds_read2_b32 v[129:130], v129 offset1:1
	v_dot4c_i32_i8 v176, v131, v122
	v_add_nc_u32_e32 v131, 0x2160, v34
	v_dot4c_i32_i8 v177, v142, v125
	s_waitcnt lgkmcnt(2)
	v_dot4c_i32_i8 v167, v173, v121
	v_dot4c_i32_i8 v135, v150, v127
	;; [unrolled: 1-line block ×3, first 2 shown]
	v_add_nc_u32_e32 v121, 0x6258, v34
	v_dot4c_i32_i8 v177, v157, v122
	v_dot4c_i32_i8 v167, v174, v125
	;; [unrolled: 1-line block ×4, first 2 shown]
	ds_read2_b32 v[141:142], v121 offset1:1
	ds_read2_b32 v[145:146], v131 offset1:1
	v_dot4c_i32_i8 v177, v158, v126
	s_waitcnt lgkmcnt(3)
	v_dot4c_i32_i8 v167, v1, v122
	v_dot4c_i32_i8 v135, v154, v128
	v_cvt_f32_i32_e32 v1, v175
	v_dot4c_i32_i8 v176, v134, v127
	v_dot4c_i32_i8 v177, v169, v123
	;; [unrolled: 1-line block ×3, first 2 shown]
	v_mul_f32_e32 v2, v3, v143
	v_cvt_f32_i32_e32 v121, v135
	v_dot4c_i32_i8 v176, v137, v124
	v_dot4c_i32_i8 v177, v170, v127
	s_waitcnt lgkmcnt(2)
	v_dot4c_i32_i8 v167, v129, v123
	v_fmac_f32_e32 v25, v136, v1
	v_add_nc_u32_e32 v1, 0x2168, v34
	v_fmac_f32_e32 v27, v2, v121
	v_add_nc_u32_e32 v121, 0x2170, v34
	v_add_nc_u32_e32 v123, 0x2178, v34
	v_dot4c_i32_i8 v167, v130, v127
	v_add_nc_u32_e32 v127, 0x41e0, v34
	v_add_nc_u32_e32 v143, 0x41e8, v34
	;; [unrolled: 1-line block ×4, first 2 shown]
	v_dot4c_i32_i8 v177, v171, v124
	v_dot4c_i32_i8 v176, v138, v128
	ds_read_b128 v[129:132], v30 offset:96
	ds_read_b128 v[133:136], v30 offset:112
	ds_read2_b32 v[1:2], v1 offset1:1
	ds_read2_b32 v[121:122], v121 offset1:1
	;; [unrolled: 1-line block ×8, first 2 shown]
	v_mul_f32_e32 v123, v3, v139
	v_dot4c_i32_i8 v177, v172, v128
	v_cvt_f32_i32_e32 v127, v176
	s_waitcnt lgkmcnt(11)
	v_dot4c_i32_i8 v167, v141, v124
	v_add_nc_u32_e32 v124, 0x6268, v34
	v_mul_f32_e32 v139, v3, v159
	v_cvt_f32_i32_e32 v143, v177
	v_fmac_f32_e32 v110, v123, v127
	v_mov_b32_e32 v141, 0
	ds_read2_b32 v[123:124], v124 offset1:1
	v_dot4c_i32_i8 v167, v142, v128
	v_fmac_f32_e32 v105, v139, v143
	v_mov_b32_e32 v139, 0
	v_mov_b32_e32 v142, 0
	;; [unrolled: 1-line block ×3, first 2 shown]
	v_add_nc_u32_e32 v127, 0x6270, v34
	s_waitcnt lgkmcnt(10)
	v_dot4c_i32_i8 v141, v155, v129
	v_dot4c_i32_i8 v139, v145, v129
	s_waitcnt lgkmcnt(5)
	v_dot4c_i32_i8 v142, v137, v129
	s_waitcnt lgkmcnt(1)
	v_dot4c_i32_i8 v143, v157, v129
	ds_read2_b32 v[127:128], v127 offset1:1
	v_dot4c_i32_i8 v141, v156, v133
	v_dot4c_i32_i8 v139, v146, v133
	;; [unrolled: 1-line block ×3, first 2 shown]
	v_add_nc_u32_e32 v129, 0x6278, v34
	v_dot4c_i32_i8 v143, v158, v133
	v_dot4c_i32_i8 v141, v161, v130
	;; [unrolled: 1-line block ×4, first 2 shown]
	ds_read2_b32 v[137:138], v129 offset1:1
	s_waitcnt lgkmcnt(2)
	v_dot4c_i32_i8 v143, v123, v130
	v_dot4c_i32_i8 v141, v162, v134
	;; [unrolled: 1-line block ×4, first 2 shown]
	v_mul_f32_e32 v1, v3, v147
	v_dot4c_i32_i8 v143, v124, v134
	v_dot4c_i32_i8 v141, v163, v131
	;; [unrolled: 1-line block ×4, first 2 shown]
	v_cvt_f32_i32_e32 v2, v167
	s_waitcnt lgkmcnt(1)
	v_dot4c_i32_i8 v143, v127, v131
	v_dot4c_i32_i8 v141, v164, v135
	;; [unrolled: 1-line block ×4, first 2 shown]
	v_fmac_f32_e32 v25, v1, v2
	v_dot4c_i32_i8 v143, v128, v135
	v_dot4c_i32_i8 v141, v165, v132
	;; [unrolled: 1-line block ×4, first 2 shown]
	v_mul_f32_e32 v1, v4, v144
	s_waitcnt lgkmcnt(0)
	v_dot4c_i32_i8 v143, v137, v132
	v_dot4c_i32_i8 v141, v166, v136
	;; [unrolled: 1-line block ×4, first 2 shown]
	v_mul_f32_e32 v3, v4, v140
	v_dot4c_i32_i8 v143, v138, v136
	v_cvt_f32_i32_e32 v2, v141
	v_cvt_f32_i32_e32 v121, v139
	v_mul_f32_e32 v122, v4, v160
	v_cvt_f32_i32_e32 v123, v142
	v_mul_f32_e32 v4, v4, v148
	v_cvt_f32_i32_e32 v124, v143
	v_fmac_f32_e32 v27, v1, v2
	v_fmac_f32_e32 v110, v3, v121
	;; [unrolled: 1-line block ×4, first 2 shown]
	s_barrier
	buffer_gl0_inv
.LBB182_5:                              ;   in Loop: Header=BB182_6 Depth=1
	v_add_co_u32 v23, s1, 0x120, v23
	v_add_co_ci_u32_e64 v24, null, 0, v24, s1
	v_add_co_u32 v43, s1, 0xb0, v43
	v_add_co_ci_u32_e64 v44, null, 0, v44, s1
	;; [unrolled: 2-line block ×37, first 2 shown]
	s_add_i32 s4, s4, 8
	s_addk_i32 s10, 0x100
	s_cmp_ge_i32 s4, s18
	s_cbranch_scc1 .LBB182_17
.LBB182_6:                              ; =>This Inner Loop Header: Depth=1
	v_add_co_u32 v1, s1, v43, s8
	v_add_co_ci_u32_e64 v2, null, s19, v44, s1
	v_add_co_u32 v3, s1, v45, s8
	v_add_co_ci_u32_e64 v4, null, s19, v46, s1
	;; [unrolled: 2-line block ×3, first 2 shown]
	global_load_dword v127, v[1:2], off
	global_load_dword v130, v[3:4], off offset:2
	global_load_dword v129, v[121:122], off
	v_add_co_u32 v1, s1, v49, s8
	v_add_co_ci_u32_e64 v2, null, s19, v50, s1
	v_add_co_u32 v3, s1, v51, s8
	v_add_co_ci_u32_e64 v4, null, s19, v52, s1
	;; [unrolled: 2-line block ×5, first 2 shown]
	global_load_dword v145, v[1:2], off
	global_load_dword v146, v[3:4], off
	;; [unrolled: 1-line block ×5, first 2 shown]
	v_add_co_u32 v1, s1, v59, s8
	v_add_co_ci_u32_e64 v2, null, s19, v60, s1
	v_add_co_u32 v3, s1, v61, s8
	v_add_co_ci_u32_e64 v4, null, s19, v62, s1
	;; [unrolled: 2-line block ×4, first 2 shown]
	global_load_dword v150, v[3:4], off
	global_load_dword v151, v[1:2], off
	;; [unrolled: 1-line block ×4, first 2 shown]
	v_add_co_u32 v1, s1, v67, s8
	v_add_co_ci_u32_e64 v2, null, s19, v68, s1
	v_add_co_u32 v3, s1, v69, s8
	v_add_co_ci_u32_e64 v4, null, s19, v70, s1
	global_load_dword v125, v[1:2], off
	v_add_co_u32 v121, s1, v71, s8
	global_load_dword v126, v[3:4], off
	v_add_co_ci_u32_e64 v122, null, s19, v72, s1
	v_add_co_u32 v131, s1, v73, s8
	v_add_co_ci_u32_e64 v132, null, s19, v74, s1
	v_add_co_u32 v133, s1, v75, s8
	;; [unrolled: 2-line block ×7, first 2 shown]
	v_add_co_ci_u32_e64 v144, null, s19, v86, s1
	global_load_dword v123, v[121:122], off
	global_load_dword v124, v[131:132], off
	;; [unrolled: 1-line block ×8, first 2 shown]
	s_waitcnt vmcnt(21)
	v_lshrrev_b32_e32 v132, 4, v127
	s_waitcnt vmcnt(20)
	v_ashrrev_i32_e32 v130, v28, v130
	v_and_b32_e32 v131, 0xf0f0f0f, v127
	s_waitcnt vmcnt(19)
	v_and_b32_e32 v134, 0xf0f0f0f, v129
	v_lshrrev_b32_e32 v129, 4, v129
	v_and_b32_e32 v132, 0xf0f0f0f, v132
	v_and_b32_e32 v129, 0xf0f0f0f, v129
	s_waitcnt vmcnt(18)
	v_ashrrev_i32_e32 v133, v28, v145
	s_waitcnt vmcnt(17)
	v_and_b32_e32 v136, 0xf0f0f0f, v146
	s_waitcnt vmcnt(16)
	v_ashrrev_i32_e32 v135, v28, v147
	v_lshrrev_b32_e32 v137, 4, v146
	s_waitcnt vmcnt(14)
	v_ashrrev_i32_e32 v138, v28, v149
	v_and_b32_e32 v139, 0xf0f0f0f, v148
	v_lshrrev_b32_e32 v140, 4, v148
	v_lshlrev_b32_e32 v145, 4, v130
	v_lshlrev_b32_e32 v146, 11, v130
	;; [unrolled: 1-line block ×4, first 2 shown]
	v_lshrrev_b32_e32 v149, 12, v130
	v_lshlrev_b32_e32 v153, 11, v133
	v_lshlrev_b32_e32 v154, 18, v133
	;; [unrolled: 1-line block ×3, first 2 shown]
	v_lshrrev_b32_e32 v156, 12, v133
	v_lshrrev_b32_e32 v157, 5, v133
	v_lshlrev_b32_e32 v158, 2, v133
	s_waitcnt vmcnt(13)
	v_ashrrev_i32_e32 v141, v28, v150
	v_lshrrev_b32_e32 v150, 5, v130
	s_waitcnt vmcnt(12)
	v_and_b32_e32 v142, 0xf0f0f0f, v151
	v_lshrrev_b32_e32 v143, 4, v151
	s_waitcnt vmcnt(11)
	v_ashrrev_i32_e32 v127, v28, v152
	v_lshlrev_b32_e32 v151, 2, v130
	v_lshlrev_b32_e32 v130, 9, v130
	;; [unrolled: 1-line block ×8, first 2 shown]
	v_lshrrev_b32_e32 v163, 12, v135
	v_lshrrev_b32_e32 v164, 5, v135
	v_lshlrev_b32_e32 v165, 2, v135
	v_lshlrev_b32_e32 v135, 9, v135
	;; [unrolled: 1-line block ×6, first 2 shown]
	v_lshrrev_b32_e32 v170, 12, v138
	v_lshrrev_b32_e32 v171, 5, v138
	v_and_b32_e32 v145, 16, v145
	v_and_b32_e32 v146, 0x1000, v146
	v_and_b32_e32 v147, 0x100000, v147
	v_and_b32_e32 v148, 0x10000000, v148
	v_and_b32_e32 v149, 16, v149
	v_and_b32_e32 v150, 0x1000, v150
	v_and_b32_e32 v151, 0x100000, v151
	v_and_b32_e32 v130, 0x10000000, v130
	v_and_b32_e32 v152, 16, v152
	v_and_b32_e32 v153, 0x1000, v153
	v_and_b32_e32 v154, 0x100000, v154
	v_and_b32_e32 v155, 0x10000000, v155
	v_and_b32_e32 v156, 16, v156
	v_and_b32_e32 v157, 0x1000, v157
	v_and_b32_e32 v137, 0xf0f0f0f, v137
	v_and_b32_e32 v158, 0x100000, v158
	v_and_b32_e32 v133, 0x10000000, v133
	v_and_b32_e32 v159, 16, v159
	v_and_b32_e32 v160, 0x1000, v160
	v_and_b32_e32 v161, 0x100000, v161
	v_and_b32_e32 v162, 0x10000000, v162
	v_and_b32_e32 v163, 16, v163
	v_and_b32_e32 v164, 0x1000, v164
	v_and_b32_e32 v140, 0xf0f0f0f, v140
	v_lshlrev_b32_e32 v172, 2, v138
	v_lshlrev_b32_e32 v138, 9, v138
	v_and_b32_e32 v165, 0x100000, v165
	v_and_b32_e32 v135, 0x10000000, v135
	;; [unrolled: 1-line block ×8, first 2 shown]
	v_or3_b32 v145, v145, v131, v146
	v_or3_b32 v131, v131, v147, v148
	;; [unrolled: 1-line block ×11, first 2 shown]
	v_and_b32_e32 v172, 0x100000, v172
	v_and_b32_e32 v138, 0x10000000, v138
	v_or3_b32 v135, v137, v165, v135
	v_or3_b32 v137, v166, v139, v167
	;; [unrolled: 1-line block ×4, first 2 shown]
	v_lshrrev_b32_e32 v131, 16, v131
	v_and_b32_e32 v151, 0x1f00, v145
	v_lshlrev_b16 v145, 8, v145
	v_and_b32_e32 v152, 0x1f00, v146
	v_lshlrev_b16 v146, 8, v146
	v_lshrrev_b32_e32 v134, 16, v134
	v_and_b32_e32 v153, 0x1f00, v132
	v_lshlrev_b16 v132, 8, v132
	v_and_b32_e32 v154, 0x1f00, v147
	v_lshlrev_b16 v147, 8, v147
	;; [unrolled: 5-line block ×3, first 2 shown]
	v_or3_b32 v138, v140, v172, v138
	v_lshrrev_b32_e32 v139, 16, v139
	v_and_b32_e32 v157, 0x1f00, v137
	v_lshlrev_b16 v137, 8, v137
	v_and_b32_e32 v158, 0x1f00, v149
	v_lshlrev_b16 v149, 8, v149
	v_lshrrev_b32_e32 v130, 16, v130
	v_add_nc_u16 v151, 0xf000, v151
	v_add_nc_u16 v145, 0xf000, v145
	v_add_nc_u16 v146, 0xf000, v146
	v_and_b32_e32 v162, 0x1f00, v131
	v_lshlrev_b16 v131, 8, v131
	v_lshrrev_b32_e32 v129, 16, v129
	v_add_nc_u16 v153, 0xf000, v153
	v_add_nc_u16 v132, 0xf000, v132
	v_add_nc_u16 v147, 0xf000, v147
	;; [unrolled: 6-line block ×4, first 2 shown]
	v_and_b32_e32 v168, 0x1f00, v139
	v_lshlrev_b16 v139, 8, v139
	v_and_b32_e32 v163, 0x1f00, v130
	v_lshlrev_b16 v130, 8, v130
	v_perm_b32 v145, v145, v151, 0xc0c0105
	v_or_b32_sdwa v146, v152, v146 dst_sel:DWORD dst_unused:UNUSED_PAD src0_sel:DWORD src1_sel:BYTE_1
	v_add_nc_u16 v151, 0xf000, v162
	v_add_nc_u16 v131, 0xf000, v131
	v_and_b32_e32 v165, 0x1f00, v129
	v_lshlrev_b16 v129, 8, v129
	v_perm_b32 v132, v132, v153, 0xc0c0105
	v_or_b32_sdwa v147, v154, v147 dst_sel:DWORD dst_unused:UNUSED_PAD src0_sel:DWORD src1_sel:BYTE_1
	v_add_nc_u16 v153, 0xf000, v164
	v_add_nc_u16 v134, 0xf000, v134
	v_lshlrev_b32_e32 v173, 4, v141
	v_lshlrev_b32_e32 v174, 11, v141
	;; [unrolled: 1-line block ×4, first 2 shown]
	v_lshrrev_b32_e32 v177, 12, v141
	v_lshrrev_b32_e32 v178, 5, v141
	v_and_b32_e32 v167, 0x1f00, v135
	v_lshlrev_b16 v135, 8, v135
	v_perm_b32 v133, v133, v155, 0xc0c0105
	v_or_b32_sdwa v148, v156, v148 dst_sel:DWORD dst_unused:UNUSED_PAD src0_sel:DWORD src1_sel:BYTE_1
	v_add_nc_u16 v155, 0xf000, v166
	v_add_nc_u16 v136, 0xf000, v136
	v_and_b32_e32 v169, 0x1f00, v138
	v_lshlrev_b16 v138, 8, v138
	v_perm_b32 v137, v137, v157, 0xc0c0105
	v_or_b32_sdwa v149, v158, v149 dst_sel:DWORD dst_unused:UNUSED_PAD src0_sel:DWORD src1_sel:BYTE_1
	v_add_nc_u16 v157, 0xf000, v168
	v_add_nc_u16 v139, 0xf000, v139
	;; [unrolled: 1-line block ×4, first 2 shown]
	v_perm_b32 v131, v131, v151, 0xc0c0105
	v_add_nc_u16 v146, 0xf000, v146
	v_add_nc_u16 v154, 0xf000, v165
	;; [unrolled: 1-line block ×3, first 2 shown]
	v_perm_b32 v134, v134, v153, 0xc0c0105
	v_add_nc_u16 v147, 0xf000, v147
	v_and_b32_e32 v143, 0xf0f0f0f, v143
	v_lshlrev_b32_e32 v179, 2, v141
	v_lshlrev_b32_e32 v141, 9, v141
	v_and_b32_e32 v173, 16, v173
	v_and_b32_e32 v174, 0x1000, v174
	;; [unrolled: 1-line block ×6, first 2 shown]
	v_add_nc_u16 v156, 0xf000, v167
	v_add_nc_u16 v135, 0xf000, v135
	v_perm_b32 v136, v136, v155, 0xc0c0105
	v_add_nc_u16 v148, 0xf000, v148
	v_add_nc_u16 v158, 0xf000, v169
	;; [unrolled: 1-line block ×3, first 2 shown]
	v_perm_b32 v139, v139, v157, 0xc0c0105
	v_add_nc_u16 v149, 0xf000, v149
	v_perm_b32 v130, v130, v152, 0xc0c0105
	v_lshl_or_b32 v131, v131, 16, v145
	v_and_b32_e32 v145, 0xffff, v146
	v_perm_b32 v129, v129, v154, 0xc0c0105
	v_lshl_or_b32 v132, v134, 16, v132
	v_and_b32_e32 v134, 0xffff, v147
	v_and_b32_e32 v179, 0x100000, v179
	;; [unrolled: 1-line block ×3, first 2 shown]
	v_or3_b32 v140, v173, v142, v174
	v_or3_b32 v142, v142, v175, v176
	;; [unrolled: 1-line block ×3, first 2 shown]
	v_perm_b32 v135, v135, v156, 0xc0c0105
	v_lshl_or_b32 v133, v136, 16, v133
	v_and_b32_e32 v136, 0xffff, v148
	v_perm_b32 v138, v138, v158, 0xc0c0105
	v_lshl_or_b32 v137, v139, 16, v137
	v_and_b32_e32 v139, 0xffff, v149
	v_lshl_or_b32 v130, v130, 16, v145
	v_lshl_or_b32 v129, v129, 16, v134
	v_lshlrev_b32_e32 v180, 4, v127
	v_lshlrev_b32_e32 v181, 11, v127
	;; [unrolled: 1-line block ×4, first 2 shown]
	v_or3_b32 v141, v143, v179, v141
	v_lshrrev_b32_e32 v142, 16, v142
	v_and_b32_e32 v159, 0x1f00, v140
	v_lshlrev_b16 v140, 8, v140
	v_and_b32_e32 v160, 0x1f00, v150
	v_lshlrev_b16 v150, 8, v150
	v_lshl_or_b32 v134, v135, 16, v136
	v_lshl_or_b32 v135, v138, 16, v139
	s_waitcnt vmcnt(10)
	v_and_b32_e32 v144, 0xf0f0f0f, v128
	v_lshrrev_b32_e32 v128, 4, v128
	v_lshrrev_b32_e32 v184, 12, v127
	ds_write2_b32 v5, v131, v130 offset1:1
	ds_write2_b32 v6, v132, v129 offset1:1
	;; [unrolled: 1-line block ×4, first 2 shown]
	v_lshrrev_b32_e32 v129, 5, v127
	v_lshlrev_b32_e32 v130, 2, v127
	v_lshlrev_b32_e32 v127, 9, v127
	v_and_b32_e32 v180, 16, v180
	v_and_b32_e32 v181, 0x1000, v181
	;; [unrolled: 1-line block ×4, first 2 shown]
	v_lshrrev_b32_e32 v141, 16, v141
	v_add_nc_u16 v159, 0xf000, v159
	v_add_nc_u16 v140, 0xf000, v140
	v_add_nc_u16 v150, 0xf000, v150
	v_and_b32_e32 v170, 0x1f00, v142
	v_lshlrev_b16 v142, 8, v142
	v_and_b32_e32 v128, 0xf0f0f0f, v128
	v_and_b32_e32 v130, 0x100000, v130
	;; [unrolled: 1-line block ×3, first 2 shown]
	v_or3_b32 v143, v180, v144, v181
	v_or3_b32 v144, v144, v182, v183
	v_and_b32_e32 v171, 0x1f00, v141
	v_lshlrev_b16 v141, 8, v141
	v_perm_b32 v140, v140, v159, 0xc0c0105
	v_or_b32_sdwa v150, v160, v150 dst_sel:DWORD dst_unused:UNUSED_PAD src0_sel:DWORD src1_sel:BYTE_1
	v_add_nc_u16 v159, 0xf000, v170
	v_add_nc_u16 v142, 0xf000, v142
	v_and_b32_e32 v131, 16, v184
	v_and_b32_e32 v129, 0x1000, v129
	v_or3_b32 v130, v128, v130, v127
	v_add_co_u32 v127, s1, v89, s8
	v_lshrrev_b32_e32 v144, 16, v144
	v_add_nc_u16 v160, 0xf000, v171
	v_add_nc_u16 v141, 0xf000, v141
	v_perm_b32 v142, v142, v159, 0xc0c0105
	v_add_nc_u16 v150, 0xf000, v150
	v_or3_b32 v129, v131, v128, v129
	v_add_co_ci_u32_e64 v128, null, s19, v90, s1
	v_perm_b32 v141, v141, v160, 0xc0c0105
	v_lshl_or_b32 v140, v142, 16, v140
	v_and_b32_e32 v142, 0xffff, v150
	v_and_b32_e32 v133, 0x1f00, v144
	v_lshlrev_b16 v135, 8, v129
	global_load_dword v128, v[127:128], off
	v_and_b32_e32 v134, 0x1f00, v129
	v_add_co_u32 v129, s1, v87, s8
	v_lshl_or_b32 v136, v141, 16, v142
	v_add_nc_u16 v131, 0xf000, v133
	v_lshrrev_b32_e32 v133, 16, v130
	v_add_co_ci_u32_e64 v130, null, s19, v88, s1
	v_add_nc_u16 v135, 0xf000, v135
	v_and_b32_e32 v161, 0x1f00, v143
	v_lshlrev_b16 v143, 8, v143
	ds_write2_b32 v9, v140, v136 offset1:1
	v_lshlrev_b16 v136, 8, v144
	v_and_b32_e32 v137, 0x1f00, v133
	v_lshlrev_b16 v133, 8, v133
	global_load_dword v127, v[129:130], off
	v_or_b32_sdwa v129, v134, v135 dst_sel:DWORD dst_unused:UNUSED_PAD src0_sel:DWORD src1_sel:BYTE_1
	v_add_nc_u16 v161, 0xf000, v161
	v_add_nc_u16 v143, 0xf000, v143
	s_waitcnt vmcnt(10)
	v_ashrrev_i32_e32 v126, v28, v126
	v_add_nc_u16 v130, 0xf000, v136
	v_add_nc_u16 v134, 0xf000, v137
	;; [unrolled: 1-line block ×4, first 2 shown]
	v_perm_b32 v132, v143, v161, 0xc0c0105
	v_lshlrev_b32_e32 v135, 4, v126
	v_lshlrev_b32_e32 v136, 18, v126
	;; [unrolled: 1-line block ×4, first 2 shown]
	v_perm_b32 v130, v130, v131, 0xc0c0105
	v_perm_b32 v131, v133, v134, 0xc0c0105
	v_and_b32_e32 v129, 0xffff, v129
	v_and_b32_e32 v139, 0xf0f0f0f, v125
	;; [unrolled: 1-line block ×6, first 2 shown]
	v_lshrrev_b32_e32 v125, 4, v125
	v_lshl_or_b32 v132, v130, 16, v132
	v_lshl_or_b32 v131, v131, 16, v129
	v_lshrrev_b32_e32 v129, 12, v126
	v_lshrrev_b32_e32 v130, 5, v126
	v_or3_b32 v133, v139, v136, v137
	v_or3_b32 v134, v135, v139, v138
	v_and_b32_e32 v136, 0xf0f0f0f, v125
	v_and_b32_e32 v139, 16, v129
	;; [unrolled: 1-line block ×3, first 2 shown]
	v_add_co_u32 v125, s1, v93, s8
	v_lshlrev_b32_e32 v137, 2, v126
	v_lshlrev_b32_e32 v138, 9, v126
	v_add_co_ci_u32_e64 v126, null, s19, v94, s1
	v_add_co_u32 v129, s1, v91, s8
	v_add_co_ci_u32_e64 v130, null, s19, v92, s1
	v_or3_b32 v139, v139, v136, v140
	v_lshrrev_b32_e32 v133, 16, v133
	v_and_b32_e32 v135, 0x1f00, v134
	v_lshlrev_b16 v134, 8, v134
	v_and_b32_e32 v137, 0x100000, v137
	v_and_b32_e32 v138, 0x10000000, v138
	global_load_dword v126, v[125:126], off
	global_load_dword v125, v[129:130], off
	v_lshlrev_b16 v130, 8, v139
	v_add_nc_u16 v129, 0xf000, v134
	v_and_b32_e32 v134, 0x1f00, v133
	v_lshlrev_b16 v133, 8, v133
	v_or3_b32 v136, v136, v137, v138
	v_and_b32_e32 v137, 0x1f00, v139
	v_add_nc_u16 v130, 0xf000, v130
	v_add_nc_u16 v135, 0xf000, v135
	;; [unrolled: 1-line block ×4, first 2 shown]
	v_lshrrev_b32_e32 v136, 16, v136
	v_or_b32_sdwa v130, v137, v130 dst_sel:DWORD dst_unused:UNUSED_PAD src0_sel:DWORD src1_sel:BYTE_1
	v_perm_b32 v129, v129, v135, 0xc0c0105
	s_waitcnt vmcnt(10)
	v_ashrrev_i32_e32 v124, v28, v124
	v_perm_b32 v133, v133, v134, 0xc0c0105
	v_and_b32_e32 v138, 0x1f00, v136
	v_lshlrev_b16 v136, 8, v136
	v_add_nc_u16 v130, 0xf000, v130
	ds_write2_b32 v10, v132, v131 offset1:1
	v_lshl_or_b32 v131, v133, 16, v129
	v_lshlrev_b32_e32 v129, 18, v124
	v_add_nc_u16 v134, 0xf000, v138
	v_add_nc_u16 v135, 0xf000, v136
	v_and_b32_e32 v133, 0xffff, v130
	v_lshlrev_b32_e32 v130, 25, v124
	v_and_b32_e32 v137, 0x100000, v129
	v_add_co_u32 v129, s1, v97, s8
	v_perm_b32 v132, v135, v134, 0xc0c0105
	v_and_b32_e32 v134, 0xf0f0f0f, v123
	v_lshlrev_b32_e32 v135, 4, v124
	v_lshlrev_b32_e32 v136, 11, v124
	v_and_b32_e32 v138, 0x10000000, v130
	v_add_co_ci_u32_e64 v130, null, s19, v98, s1
	v_lshl_or_b32 v132, v132, 16, v133
	v_and_b32_e32 v133, 16, v135
	v_and_b32_e32 v135, 0x1000, v136
	v_or3_b32 v136, v134, v137, v138
	global_load_dword v137, v[129:130], off
	v_add_co_u32 v129, s1, v95, s8
	v_add_co_ci_u32_e64 v130, null, s19, v96, s1
	ds_write2_b32 v11, v131, v132 offset1:1
	v_or3_b32 v131, v133, v134, v135
	v_lshrrev_b32_e32 v132, 16, v136
	global_load_dword v129, v[129:130], off
	v_lshrrev_b32_e32 v123, 4, v123
	v_lshlrev_b32_e32 v130, 2, v124
	v_lshlrev_b32_e32 v133, 9, v124
	v_and_b32_e32 v135, 0x1f00, v132
	v_lshlrev_b16 v132, 8, v132
	v_and_b32_e32 v123, 0xf0f0f0f, v123
	v_and_b32_e32 v130, 0x100000, v130
	;; [unrolled: 1-line block ×4, first 2 shown]
	v_lshlrev_b16 v131, 8, v131
	v_add_nc_u16 v132, 0xf000, v132
	s_waitcnt vmcnt(11)
	v_and_b32_e32 v136, 0xf0f0f0f, v121
	v_or3_b32 v130, v123, v130, v133
	v_add_nc_u16 v133, 0xf000, v135
	v_lshrrev_b32_e32 v135, 12, v124
	v_lshrrev_b32_e32 v124, 5, v124
	v_add_nc_u16 v134, 0xf000, v134
	v_add_nc_u16 v131, 0xf000, v131
	v_lshrrev_b32_e32 v130, 16, v130
	v_perm_b32 v132, v132, v133, 0xc0c0105
	v_and_b32_e32 v133, 16, v135
	v_and_b32_e32 v124, 0x1000, v124
	v_perm_b32 v131, v131, v134, 0xc0c0105
	s_waitcnt vmcnt(10)
	v_ashrrev_i32_e32 v135, v28, v122
	v_and_b32_e32 v134, 0x1f00, v130
	v_lshrrev_b32_e32 v121, 4, v121
	v_or3_b32 v122, v133, v123, v124
	v_lshl_or_b32 v131, v132, 16, v131
	v_lshlrev_b32_e32 v123, 4, v135
	v_lshlrev_b32_e32 v132, 11, v135
	v_add_nc_u16 v124, 0xf000, v134
	v_and_b32_e32 v133, 0x1f00, v122
	v_lshlrev_b16 v134, 8, v122
	v_add_co_u32 v122, s1, v101, s8
	v_and_b32_e32 v138, 16, v123
	v_and_b32_e32 v132, 0x1000, v132
	v_lshlrev_b32_e32 v139, 18, v135
	v_lshlrev_b32_e32 v140, 25, v135
	v_add_co_ci_u32_e64 v123, null, s19, v102, s1
	v_or3_b32 v132, v138, v136, v132
	v_and_b32_e32 v138, 0x100000, v139
	v_and_b32_e32 v139, 0x10000000, v140
	global_load_dword v140, v[122:123], off
	v_add_nc_u16 v134, 0xf000, v134
	v_add_co_u32 v122, s1, v99, s8
	v_add_co_ci_u32_e64 v123, null, s19, v100, s1
	v_or_b32_sdwa v133, v133, v134 dst_sel:DWORD dst_unused:UNUSED_PAD src0_sel:DWORD src1_sel:BYTE_1
	v_or3_b32 v134, v136, v138, v139
	v_lshrrev_b32_e32 v138, 12, v135
	global_load_dword v136, v[122:123], off
	v_and_b32_e32 v121, 0xf0f0f0f, v121
	v_add_nc_u16 v122, 0xf000, v133
	v_lshrrev_b32_e32 v123, 16, v134
	v_lshlrev_b32_e32 v133, 2, v135
	v_lshlrev_b32_e32 v134, 9, v135
	v_lshrrev_b32_e32 v135, 5, v135
	v_and_b32_e32 v138, 16, v138
	v_and_b32_e32 v139, 0x1f00, v123
	;; [unrolled: 1-line block ×5, first 2 shown]
	v_lshlrev_b16 v123, 8, v123
	v_lshlrev_b16 v130, 8, v130
	s_waitcnt vmcnt(10)
	v_ashrrev_i32_e32 v4, v28, v4
	v_or3_b32 v133, v121, v133, v134
	v_or3_b32 v121, v138, v121, v135
	v_add_nc_u16 v134, 0xf000, v139
	v_add_nc_u16 v123, 0xf000, v123
	v_and_b32_e32 v135, 0xffff, v122
	v_add_nc_u16 v130, 0xf000, v130
	v_lshlrev_b16 v122, 8, v121
	v_lshrrev_b32_e32 v133, 16, v133
	v_perm_b32 v123, v123, v134, 0xc0c0105
	v_and_b32_e32 v134, 0x1f00, v121
	v_add_co_u32 v121, s1, v106, s8
	v_add_nc_u16 v138, 0xf000, v122
	v_add_co_ci_u32_e64 v122, null, s19, v107, s1
	v_perm_b32 v124, v130, v124, 0xc0c0105
	v_and_b32_e32 v130, 0x1f00, v132
	v_or_b32_sdwa v134, v134, v138 dst_sel:DWORD dst_unused:UNUSED_PAD src0_sel:DWORD src1_sel:BYTE_1
	global_load_dword v138, v[121:122], off
	v_add_co_u32 v121, s1, v103, s8
	v_lshlrev_b16 v132, 8, v132
	v_add_co_ci_u32_e64 v122, null, s19, v104, s1
	v_add_nc_u16 v130, 0xf000, v130
	v_lshlrev_b32_e32 v139, 4, v4
	v_add_nc_u16 v132, 0xf000, v132
	global_load_dword v143, v[121:122], off
	v_lshlrev_b32_e32 v141, 11, v4
	v_add_nc_u16 v134, 0xf000, v134
	v_lshlrev_b32_e32 v142, 18, v4
	v_perm_b32 v130, v132, v130, 0xc0c0105
	v_and_b32_e32 v132, 0x1f00, v133
	v_lshlrev_b16 v133, 8, v133
	v_lshlrev_b32_e32 v121, 25, v4
	v_and_b32_e32 v122, 0xf0f0f0f, v3
	v_and_b32_e32 v139, 16, v139
	v_add_nc_u16 v132, 0xf000, v132
	v_add_nc_u16 v133, 0xf000, v133
	v_and_b32_e32 v141, 0x1000, v141
	v_and_b32_e32 v142, 0x100000, v142
	;; [unrolled: 1-line block ×3, first 2 shown]
	v_lshl_or_b32 v124, v124, 16, v135
	v_perm_b32 v132, v133, v132, 0xc0c0105
	v_and_b32_e32 v133, 0xffff, v134
	v_or3_b32 v134, v139, v122, v141
	v_or3_b32 v121, v122, v142, v121
	v_lshl_or_b32 v122, v123, 16, v130
	v_lshrrev_b32_e32 v3, 4, v3
	v_lshl_or_b32 v123, v132, 16, v133
	v_lshlrev_b16 v132, 8, v134
	ds_write2_b32 v12, v131, v124 offset1:1
	ds_write2_b32 v13, v122, v123 offset1:1
	v_lshrrev_b32_e32 v123, 12, v4
	v_add_nc_u16 v131, 0xf000, v132
	v_lshrrev_b32_e32 v124, 5, v4
	v_lshlrev_b32_e32 v132, 2, v4
	v_lshlrev_b32_e32 v4, 9, v4
	v_lshrrev_b32_e32 v121, 16, v121
	v_and_b32_e32 v133, 0xf0f0f0f, v3
	v_add_co_u32 v3, s1, v108, s8
	v_and_b32_e32 v130, 0x1f00, v134
	v_and_b32_e32 v123, 16, v123
	;; [unrolled: 1-line block ×5, first 2 shown]
	v_add_co_ci_u32_e64 v4, null, s19, v109, s1
	v_and_b32_e32 v122, 0x1f00, v121
	v_lshlrev_b16 v121, 8, v121
	v_or3_b32 v141, v123, v133, v124
	v_or3_b32 v132, v133, v132, v134
	global_load_ushort v133, v[3:4], off
	v_add_co_u32 v3, s1, v111, s8
	v_add_nc_u16 v139, 0xf000, v121
	v_add_co_ci_u32_e64 v4, null, s19, v112, s1
	v_add_co_u32 v121, s1, v113, s8
	v_add_nc_u16 v135, 0xf000, v122
	v_add_co_ci_u32_e64 v122, null, s19, v114, s1
	v_add_co_u32 v123, s1, v115, s8
	v_add_co_ci_u32_e64 v124, null, s19, v116, s1
	global_load_ushort v3, v[3:4], off
	global_load_ushort v4, v[121:122], off
	global_load_ushort v121, v[123:124], off
	v_add_nc_u16 v130, 0xf000, v130
	s_waitcnt vmcnt(14)
	v_ashrrev_i32_e32 v2, v28, v2
	v_lshlrev_b16 v123, 8, v141
	v_perm_b32 v124, v139, v135, 0xc0c0105
	v_lshrrev_b32_e32 v132, 16, v132
	v_perm_b32 v122, v131, v130, 0xc0c0105
	v_lshlrev_b32_e32 v131, 4, v2
	v_lshlrev_b32_e32 v135, 11, v2
	v_and_b32_e32 v134, 0x1f00, v141
	v_add_nc_u16 v123, 0xf000, v123
	v_and_b32_e32 v139, 0xf0f0f0f, v1
	v_and_b32_e32 v131, 16, v131
	v_lshlrev_b32_e32 v141, 18, v2
	v_lshlrev_b32_e32 v142, 25, v2
	v_and_b32_e32 v135, 0x1000, v135
	v_and_b32_e32 v130, 0x1f00, v132
	v_lshlrev_b16 v132, 8, v132
	v_or_b32_sdwa v123, v134, v123 dst_sel:DWORD dst_unused:UNUSED_PAD src0_sel:DWORD src1_sel:BYTE_1
	v_and_b32_e32 v134, 0x100000, v141
	v_and_b32_e32 v141, 0x10000000, v142
	v_or3_b32 v131, v131, v139, v135
	v_add_nc_u16 v130, 0xf000, v130
	v_add_nc_u16 v132, 0xf000, v132
	v_lshl_or_b32 v122, v124, 16, v122
	v_or3_b32 v134, v139, v134, v141
	v_and_b32_e32 v135, 0x1f00, v131
	v_lshrrev_b32_e32 v1, 4, v1
	v_perm_b32 v124, v132, v130, 0xc0c0105
	v_lshlrev_b32_e32 v139, 2, v2
	v_lshrrev_b32_e32 v130, 16, v134
	v_add_nc_u16 v132, 0xf000, v135
	v_lshrrev_b32_e32 v134, 12, v2
	v_lshrrev_b32_e32 v135, 5, v2
	v_lshlrev_b32_e32 v2, 9, v2
	v_add_nc_u16 v123, 0xf000, v123
	v_and_b32_e32 v1, 0xf0f0f0f, v1
	v_and_b32_e32 v134, 16, v134
	;; [unrolled: 1-line block ×6, first 2 shown]
	v_lshlrev_b16 v131, 8, v131
	v_and_b32_e32 v141, 0x1f00, v130
	v_lshlrev_b16 v130, 8, v130
	v_or3_b32 v134, v134, v1, v135
	v_or3_b32 v1, v1, v139, v2
	v_add_nc_u16 v131, 0xf000, v131
	v_add_nc_u16 v2, 0xf000, v141
	;; [unrolled: 1-line block ×3, first 2 shown]
	v_lshl_or_b32 v123, v124, 16, v123
	v_lshlrev_b16 v124, 8, v134
	v_lshrrev_b32_e32 v1, 16, v1
	v_perm_b32 v131, v131, v132, 0xc0c0105
	v_perm_b32 v2, v130, v2, 0xc0c0105
	v_and_b32_e32 v130, 0x1f00, v134
	v_add_nc_u16 v124, 0xf000, v124
	v_and_b32_e32 v132, 0x1f00, v1
	s_waitcnt vmcnt(13)
	v_ashrrev_i32_e32 v128, v28, v128
	v_lshlrev_b16 v1, 8, v1
	v_lshl_or_b32 v2, v2, 16, v131
	v_or_b32_sdwa v124, v130, v124 dst_sel:DWORD dst_unused:UNUSED_PAD src0_sel:DWORD src1_sel:BYTE_1
	v_add_nc_u16 v130, 0xf000, v132
	v_lshlrev_b32_e32 v131, 4, v128
	v_lshlrev_b32_e32 v132, 11, v128
	v_add_nc_u16 v1, 0xf000, v1
	s_waitcnt vmcnt(12)
	v_and_b32_e32 v134, 0xf0f0f0f, v127
	v_lshlrev_b32_e32 v135, 25, v128
	v_and_b32_e32 v131, 16, v131
	v_and_b32_e32 v132, 0x1000, v132
	v_perm_b32 v1, v1, v130, 0xc0c0105
	v_lshlrev_b32_e32 v130, 18, v128
	v_lshrrev_b32_e32 v127, 4, v127
	v_lshlrev_b32_e32 v139, 9, v128
	v_or3_b32 v131, v131, v134, v132
	v_and_b32_e32 v132, 0x10000000, v135
	v_lshlrev_b32_e32 v135, 2, v128
	v_and_b32_e32 v130, 0x100000, v130
	v_lshrrev_b32_e32 v141, 12, v128
	v_lshrrev_b32_e32 v128, 5, v128
	v_and_b32_e32 v127, 0xf0f0f0f, v127
	v_and_b32_e32 v135, 0x100000, v135
	;; [unrolled: 1-line block ×3, first 2 shown]
	v_or3_b32 v130, v134, v130, v132
	v_and_b32_e32 v132, 16, v141
	v_and_b32_e32 v128, 0x1000, v128
	;; [unrolled: 1-line block ×3, first 2 shown]
	v_or3_b32 v135, v127, v135, v139
	v_lshrrev_b32_e32 v130, 16, v130
	v_lshlrev_b16 v131, 8, v131
	v_or3_b32 v127, v132, v127, v128
	v_add_nc_u16 v128, 0xf000, v134
	v_lshrrev_b32_e32 v132, 16, v135
	v_and_b32_e32 v134, 0x1f00, v130
	v_lshlrev_b16 v130, 8, v130
	v_lshlrev_b16 v135, 8, v127
	v_and_b32_e32 v127, 0x1f00, v127
	v_and_b32_e32 v139, 0x1f00, v132
	v_lshlrev_b16 v132, 8, v132
	v_add_nc_u16 v131, 0xf000, v131
	v_add_nc_u16 v135, 0xf000, v135
	;; [unrolled: 1-line block ×6, first 2 shown]
	v_or_b32_sdwa v127, v127, v135 dst_sel:DWORD dst_unused:UNUSED_PAD src0_sel:DWORD src1_sel:BYTE_1
	v_add_nc_u16 v124, 0xf000, v124
	v_perm_b32 v128, v131, v128, 0xc0c0105
	v_perm_b32 v130, v130, v134, 0xc0c0105
	;; [unrolled: 1-line block ×3, first 2 shown]
	v_add_nc_u16 v127, 0xf000, v127
	s_waitcnt vmcnt(11)
	v_ashrrev_i32_e32 v126, v28, v126
	v_and_b32_e32 v124, 0xffff, v124
	s_waitcnt vmcnt(10)
	v_and_b32_e32 v135, 0xf0f0f0f, v125
	v_lshl_or_b32 v128, v130, 16, v128
	v_and_b32_e32 v127, 0xffff, v127
	v_lshlrev_b32_e32 v132, 4, v126
	v_lshlrev_b32_e32 v134, 11, v126
	v_lshlrev_b32_e32 v139, 18, v126
	v_lshlrev_b32_e32 v141, 25, v126
	v_lshl_or_b32 v1, v1, 16, v124
	v_and_b32_e32 v132, 16, v132
	v_and_b32_e32 v134, 0x1000, v134
	;; [unrolled: 1-line block ×4, first 2 shown]
	v_lshl_or_b32 v127, v131, 16, v127
	ds_write2_b32 v14, v122, v123 offset1:1
	v_or3_b32 v124, v132, v135, v134
	ds_write2_b32 v15, v2, v1 offset1:1
	ds_write2_b32 v16, v128, v127 offset1:1
	v_or3_b32 v130, v135, v139, v141
	v_lshrrev_b32_e32 v2, 4, v125
	v_and_b32_e32 v122, 0x1f00, v124
	v_lshlrev_b16 v123, 8, v124
	v_lshlrev_b32_e32 v124, 2, v126
	v_lshlrev_b32_e32 v125, 9, v126
	v_lshrrev_b32_e32 v127, 12, v126
	v_lshrrev_b32_e32 v126, 5, v126
	;; [unrolled: 1-line block ×3, first 2 shown]
	v_and_b32_e32 v2, 0xf0f0f0f, v2
	v_and_b32_e32 v124, 0x100000, v124
	;; [unrolled: 1-line block ×5, first 2 shown]
	v_add_nc_u16 v122, 0xf000, v122
	v_and_b32_e32 v128, 0x1f00, v1
	v_or3_b32 v124, v2, v124, v125
	v_add_nc_u16 v123, 0xf000, v123
	v_or3_b32 v2, v127, v2, v126
	v_lshlrev_b16 v1, 8, v1
	v_add_nc_u16 v125, 0xf000, v128
	v_lshrrev_b32_e32 v124, 16, v124
	s_waitcnt vmcnt(9)
	v_ashrrev_i32_e32 v126, v28, v137
	v_perm_b32 v122, v123, v122, 0xc0c0105
	v_lshlrev_b16 v123, 8, v2
	v_add_nc_u16 v1, 0xf000, v1
	v_and_b32_e32 v2, 0x1f00, v2
	v_lshlrev_b32_e32 v127, 4, v126
	v_lshlrev_b32_e32 v128, 11, v126
	v_add_nc_u16 v123, 0xf000, v123
	s_waitcnt vmcnt(8)
	v_and_b32_e32 v130, 0xf0f0f0f, v129
	v_lshlrev_b32_e32 v131, 18, v126
	v_and_b32_e32 v127, 16, v127
	v_lshlrev_b32_e32 v132, 25, v126
	v_and_b32_e32 v128, 0x1000, v128
	v_perm_b32 v1, v1, v125, 0xc0c0105
	v_and_b32_e32 v125, 0x1f00, v124
	v_lshlrev_b16 v124, 8, v124
	v_or_b32_sdwa v2, v2, v123 dst_sel:DWORD dst_unused:UNUSED_PAD src0_sel:DWORD src1_sel:BYTE_1
	v_and_b32_e32 v123, 0x100000, v131
	v_and_b32_e32 v131, 0x10000000, v132
	v_or3_b32 v127, v127, v130, v128
	v_add_nc_u16 v125, 0xf000, v125
	v_add_nc_u16 v124, 0xf000, v124
	v_lshl_or_b32 v1, v1, 16, v122
	v_or3_b32 v123, v130, v123, v131
	v_and_b32_e32 v128, 0x1f00, v127
	v_lshlrev_b32_e32 v130, 2, v126
	v_perm_b32 v122, v124, v125, 0xc0c0105
	v_lshlrev_b16 v125, 8, v127
	v_lshrrev_b32_e32 v123, 16, v123
	v_add_nc_u16 v124, 0xf000, v128
	v_lshrrev_b32_e32 v127, 4, v129
	v_lshrrev_b32_e32 v128, 12, v126
	v_lshrrev_b32_e32 v129, 5, v126
	v_lshlrev_b32_e32 v126, 9, v126
	v_add_nc_u16 v2, 0xf000, v2
	v_and_b32_e32 v127, 0xf0f0f0f, v127
	v_and_b32_e32 v128, 16, v128
	;; [unrolled: 1-line block ×6, first 2 shown]
	v_lshlrev_b16 v123, 8, v123
	v_and_b32_e32 v2, 0xffff, v2
	v_add_nc_u16 v125, 0xf000, v125
	v_or3_b32 v128, v128, v127, v129
	v_or3_b32 v126, v127, v130, v126
	v_add_nc_u16 v127, 0xf000, v131
	v_add_nc_u16 v123, 0xf000, v123
	v_lshl_or_b32 v2, v122, 16, v2
	v_lshlrev_b16 v122, 8, v128
	v_lshrrev_b32_e32 v126, 16, v126
	v_perm_b32 v124, v125, v124, 0xc0c0105
	v_perm_b32 v123, v123, v127, 0xc0c0105
	v_and_b32_e32 v125, 0x1f00, v128
	v_add_nc_u16 v122, 0xf000, v122
	v_and_b32_e32 v127, 0x1f00, v126
	s_waitcnt vmcnt(7)
	v_ashrrev_i32_e32 v128, v28, v140
	v_lshl_or_b32 v123, v123, 16, v124
	v_lshlrev_b16 v124, 8, v126
	v_or_b32_sdwa v122, v125, v122 dst_sel:DWORD dst_unused:UNUSED_PAD src0_sel:DWORD src1_sel:BYTE_1
	v_add_nc_u16 v125, 0xf000, v127
	v_lshlrev_b32_e32 v126, 4, v128
	v_lshlrev_b32_e32 v127, 11, v128
	v_add_nc_u16 v124, 0xf000, v124
	s_waitcnt vmcnt(6)
	v_and_b32_e32 v129, 0xf0f0f0f, v136
	v_lshlrev_b32_e32 v130, 25, v128
	v_and_b32_e32 v126, 16, v126
	v_and_b32_e32 v127, 0x1000, v127
	v_perm_b32 v124, v124, v125, 0xc0c0105
	v_lshlrev_b32_e32 v125, 18, v128
	v_and_b32_e32 v130, 0x10000000, v130
	v_lshlrev_b32_e32 v131, 2, v128
	v_or3_b32 v126, v126, v129, v127
	v_lshrrev_b32_e32 v127, 4, v136
	v_and_b32_e32 v125, 0x100000, v125
	v_lshlrev_b32_e32 v132, 9, v128
	v_lshrrev_b32_e32 v134, 12, v128
	v_lshrrev_b32_e32 v128, 5, v128
	v_and_b32_e32 v127, 0xf0f0f0f, v127
	v_and_b32_e32 v131, 0x100000, v131
	;; [unrolled: 1-line block ×3, first 2 shown]
	v_or3_b32 v125, v129, v125, v130
	v_and_b32_e32 v129, 16, v134
	v_and_b32_e32 v128, 0x1000, v128
	;; [unrolled: 1-line block ×3, first 2 shown]
	v_or3_b32 v131, v127, v131, v132
	v_lshrrev_b32_e32 v125, 16, v125
	v_lshlrev_b16 v126, 8, v126
	v_or3_b32 v127, v129, v127, v128
	v_add_nc_u16 v128, 0xf000, v130
	v_lshrrev_b32_e32 v129, 16, v131
	v_and_b32_e32 v130, 0x1f00, v125
	v_lshlrev_b16 v125, 8, v125
	v_lshlrev_b16 v131, 8, v127
	v_and_b32_e32 v127, 0x1f00, v127
	v_and_b32_e32 v132, 0x1f00, v129
	v_lshlrev_b16 v129, 8, v129
	v_add_nc_u16 v126, 0xf000, v126
	v_add_nc_u16 v131, 0xf000, v131
	;; [unrolled: 1-line block ×6, first 2 shown]
	v_or_b32_sdwa v127, v127, v131 dst_sel:DWORD dst_unused:UNUSED_PAD src0_sel:DWORD src1_sel:BYTE_1
	s_waitcnt vmcnt(5)
	v_ashrrev_i32_e32 v131, v28, v138
	v_perm_b32 v126, v126, v128, 0xc0c0105
	v_perm_b32 v125, v125, v130, 0xc0c0105
	;; [unrolled: 1-line block ×3, first 2 shown]
	s_waitcnt vmcnt(4)
	v_lshrrev_b32_e32 v136, 4, v143
	v_lshlrev_b32_e32 v129, 4, v131
	v_lshlrev_b32_e32 v130, 11, v131
	;; [unrolled: 1-line block ×4, first 2 shown]
	v_lshrrev_b32_e32 v137, 12, v131
	v_lshrrev_b32_e32 v138, 5, v131
	v_and_b32_e32 v132, 0xf0f0f0f, v143
	v_and_b32_e32 v129, 16, v129
	;; [unrolled: 1-line block ×6, first 2 shown]
	v_lshlrev_b32_e32 v139, 2, v131
	v_lshlrev_b32_e32 v131, 9, v131
	v_and_b32_e32 v137, 16, v137
	v_and_b32_e32 v138, 0x1000, v138
	v_or3_b32 v129, v129, v132, v130
	v_and_b32_e32 v130, 0x100000, v139
	v_and_b32_e32 v131, 0x10000000, v131
	v_or3_b32 v132, v132, v134, v135
	v_or3_b32 v134, v137, v136, v138
	v_and_b32_e32 v135, 0x1f00, v129
	v_lshlrev_b16 v129, 8, v129
	v_or3_b32 v130, v136, v130, v131
	v_lshrrev_b32_e32 v131, 16, v132
	v_lshlrev_b16 v132, 8, v134
	v_and_b32_e32 v134, 0x1f00, v134
	v_add_nc_u16 v122, 0xf000, v122
	v_lshrrev_b32_e32 v130, 16, v130
	v_and_b32_e32 v136, 0x1f00, v131
	v_add_nc_u16 v132, 0xf000, v132
	v_lshlrev_b16 v131, 8, v131
	v_add_nc_u16 v127, 0xf000, v127
	v_and_b32_e32 v137, 0x1f00, v130
	v_lshlrev_b16 v130, 8, v130
	v_or_b32_sdwa v132, v134, v132 dst_sel:DWORD dst_unused:UNUSED_PAD src0_sel:DWORD src1_sel:BYTE_1
	v_add_nc_u16 v135, 0xf000, v135
	v_add_nc_u16 v129, 0xf000, v129
	;; [unrolled: 1-line block ×7, first 2 shown]
	v_and_b32_e32 v122, 0xffff, v122
	v_and_b32_e32 v127, 0xffff, v127
	v_perm_b32 v129, v129, v135, 0xc0c0105
	v_perm_b32 v131, v131, v134, 0xc0c0105
	;; [unrolled: 1-line block ×3, first 2 shown]
	v_and_b32_e32 v132, 0xffff, v132
	v_lshl_or_b32 v122, v124, 16, v122
	ds_write2_b32 v17, v1, v2 offset1:1
	s_waitcnt vmcnt(3)
	v_cvt_f32_f16_e32 v1, v133
	v_lshl_or_b32 v124, v125, 16, v126
	v_lshl_or_b32 v125, v128, 16, v127
	;; [unrolled: 1-line block ×4, first 2 shown]
	ds_write2_b32 v18, v123, v122 offset1:1
	ds_write2_b32 v19, v124, v125 offset1:1
	;; [unrolled: 1-line block ×3, first 2 shown]
	s_waitcnt vmcnt(2)
	v_cvt_f32_f16_e32 v2, v3
	ds_write_b32 v117, v1
	s_waitcnt vmcnt(1)
	v_cvt_f32_f16_e32 v1, v4
	s_waitcnt vmcnt(0)
	v_cvt_f32_f16_e32 v3, v121
	s_add_i32 s1, s10, 0xffffff80
	ds_write_b32 v118, v2
	s_cmp_lt_i32 s1, s9
	ds_write_b32 v119, v1
	ds_write_b32 v120, v3
	s_cbranch_scc0 .LBB182_5
; %bb.7:                                ;   in Loop: Header=BB182_6 Depth=1
	v_add_nc_u32_e32 v1, s4, v29
	v_cmp_gt_i32_e64 s1, s12, v1
	s_and_b32 s16, s0, s1
	s_and_saveexec_b32 s1, s16
	s_cbranch_execz .LBB182_9
; %bb.8:                                ;   in Loop: Header=BB182_6 Depth=1
	v_add_nc_u32_e32 v1, s4, v41
	v_mad_i64_i32 v[1:2], null, v1, 36, v[21:22]
	global_load_dword v1, v[1:2], off offset:4
	s_waitcnt vmcnt(0)
	ds_write_b32 v31, v1
.LBB182_9:                              ;   in Loop: Header=BB182_6 Depth=1
	s_or_b32 exec_lo, exec_lo, s1
	v_add_nc_u32_e32 v121, s4, v0
	v_cmp_gt_i32_e64 s1, s12, v121
	s_and_b32 s16, s5, s1
	s_and_saveexec_b32 s1, s16
	s_cbranch_execz .LBB182_11
; %bb.10:                               ;   in Loop: Header=BB182_6 Depth=1
	v_add_nc_u32_e32 v1, s4, v42
	v_mad_i64_i32 v[1:2], null, v1, 36, s[6:7]
	global_load_dword v1, v[1:2], off
	s_waitcnt vmcnt(0)
	v_cvt_f32_f16_e32 v1, v1
	ds_write_b32 v33, v1
.LBB182_11:                             ;   in Loop: Header=BB182_6 Depth=1
	s_or_b32 exec_lo, exec_lo, s1
	v_add_nc_u32_e32 v1, 0x2080, v34
	s_waitcnt lgkmcnt(0)
	s_barrier
	buffer_gl0_inv
	ds_read_b128 v[122:125], v30
	ds_read2_b32 v[130:131], v34 offset1:1
	ds_read_b128 v[126:129], v30 offset:16
	ds_read2_b32 v[132:133], v1 offset1:1
	ds_read_b128 v[1:4], v32
	ds_read2_b32 v[134:135], v34 offset0:2 offset1:3
	v_add_nc_u32_e32 v138, 0x2088, v34
	v_add_nc_u32_e32 v146, 0x4100, v34
	ds_read2_b32 v[136:137], v34 offset0:4 offset1:5
	ds_read2_b32 v[138:139], v138 offset1:1
	ds_read2_b32 v[140:141], v38 offset1:1
	ds_read2_b32 v[142:143], v38 offset0:2 offset1:3
	ds_read2_b32 v[144:145], v34 offset0:6 offset1:7
	ds_read2_b32 v[146:147], v146 offset1:1
	ds_read2_b32 v[148:149], v34 offset0:8 offset1:9
	v_mov_b32_e32 v168, 0
	v_mov_b32_e32 v169, 0
	v_add_nc_u32_e32 v150, 0x2090, v34
	v_mov_b32_e32 v170, 0
	v_add_nc_u32_e32 v154, 0x2098, v34
	v_add_nc_u32_e32 v161, 0x6188, v34
	v_mov_b32_e32 v174, 0
	ds_read2_b32 v[150:151], v150 offset1:1
	v_add_nc_u32_e32 v160, 0x4118, v34
	ds_read2_b32 v[154:155], v154 offset1:1
	s_waitcnt lgkmcnt(11)
	v_dot4c_i32_i8 v169, v132, v122
	v_dot4c_i32_i8 v168, v130, v122
	v_add_nc_u32_e32 v130, 0x4108, v34
	v_add_nc_u32_e32 v132, 0x6180, v34
	v_mov_b32_e32 v175, 0
	v_dot4c_i32_i8 v169, v133, v126
	v_dot4c_i32_i8 v168, v131, v126
	ds_read2_b32 v[152:153], v130 offset1:1
	ds_read2_b32 v[156:157], v132 offset1:1
	v_add_nc_u32_e32 v131, 0x4110, v34
	s_waitcnt lgkmcnt(5)
	v_dot4c_i32_i8 v170, v146, v122
	v_dot4c_i32_i8 v168, v134, v123
	;; [unrolled: 1-line block ×3, first 2 shown]
	v_add_nc_u32_e32 v172, 0x61a0, v34
	ds_read2_b32 v[158:159], v131 offset1:1
	v_dot4c_i32_i8 v170, v147, v126
	ds_read2_b32 v[146:147], v161 offset1:1
	v_dot4c_i32_i8 v168, v135, v127
	v_dot4c_i32_i8 v169, v139, v127
	ds_read2_b32 v[138:139], v35 offset1:1
	ds_read_b128 v[130:133], v30 offset:32
	v_mov_b32_e32 v176, 0
	v_dot4c_i32_i8 v168, v136, v124
	s_waitcnt lgkmcnt(7)
	v_dot4c_i32_i8 v169, v150, v124
	v_mov_b32_e32 v177, 0
	v_mov_b32_e32 v178, 0
	s_cmp_ge_i32 s10, s9
	s_waitcnt lgkmcnt(5)
	v_dot4c_i32_i8 v170, v152, v123
	s_waitcnt lgkmcnt(4)
	v_dot4c_i32_i8 v174, v156, v122
	v_dot4c_i32_i8 v168, v137, v128
	v_dot4c_i32_i8 v169, v151, v128
	ds_read2_b32 v[150:151], v160 offset1:1
	v_dot4c_i32_i8 v170, v153, v127
	v_dot4c_i32_i8 v174, v157, v126
	;; [unrolled: 1-line block ×3, first 2 shown]
	v_add_nc_u32_e32 v122, 0x6190, v34
	ds_read_b128 v[134:137], v30 offset:48
	v_dot4c_i32_i8 v169, v154, v125
	s_waitcnt lgkmcnt(5)
	v_dot4c_i32_i8 v170, v158, v124
	v_add_nc_u32_e32 v154, 0x6198, v34
	s_waitcnt lgkmcnt(4)
	v_dot4c_i32_i8 v174, v146, v123
	v_dot4c_i32_i8 v168, v145, v129
	ds_read2_b32 v[144:145], v36 offset1:1
	ds_read2_b32 v[152:153], v37 offset1:1
	v_add_nc_u32_e32 v160, 0x20a0, v34
	ds_read2_b32 v[156:157], v122 offset1:1
	v_dot4c_i32_i8 v170, v159, v128
	ds_read2_b32 v[158:159], v154 offset1:1
	ds_read2_b32 v[160:161], v160 offset1:1
	ds_read2_b32 v[162:163], v34 offset0:26 offset1:27
	ds_read2_b32 v[164:165], v34 offset0:28 offset1:29
	;; [unrolled: 1-line block ×3, first 2 shown]
	v_dot4c_i32_i8 v169, v155, v129
	v_dot4c_i32_i8 v174, v147, v127
	ds_read2_b32 v[122:123], v34 offset0:10 offset1:11
	ds_read2_b32 v[146:147], v36 offset0:2 offset1:3
	;; [unrolled: 1-line block ×3, first 2 shown]
	s_waitcnt lgkmcnt(13)
	v_dot4c_i32_i8 v175, v148, v130
	ds_read2_b32 v[126:127], v34 offset0:12 offset1:13
	s_waitcnt lgkmcnt(13)
	v_dot4c_i32_i8 v170, v150, v125
	v_mul_f32_e32 v138, v1, v138
	v_cvt_f32_i32_e32 v168, v168
	s_waitcnt lgkmcnt(12)
	v_dot4c_i32_i8 v175, v149, v134
	v_cvt_f32_i32_e32 v150, v169
	v_dot4c_i32_i8 v170, v151, v129
	s_waitcnt lgkmcnt(11)
	v_mul_f32_e32 v144, v1, v144
	v_fmac_f32_e32 v27, v138, v168
	v_add_nc_u32_e32 v138, 0x20b8, v34
	s_waitcnt lgkmcnt(9)
	v_dot4c_i32_i8 v174, v156, v124
	v_mul_f32_e32 v124, v1, v152
	v_cvt_f32_i32_e32 v151, v170
	v_fmac_f32_e32 v110, v144, v150
	v_add_nc_u32_e32 v144, 0x4120, v34
	s_waitcnt lgkmcnt(3)
	v_dot4c_i32_i8 v175, v122, v131
	v_dot4c_i32_i8 v174, v157, v128
	v_add_nc_u32_e32 v122, 0x20a8, v34
	v_add_nc_u32_e32 v128, 0x20b0, v34
	v_fmac_f32_e32 v105, v124, v151
	v_dot4c_i32_i8 v175, v123, v135
	v_dot4c_i32_i8 v174, v158, v125
	ds_read2_b32 v[124:125], v34 offset0:14 offset1:15
	ds_read2_b32 v[148:149], v34 offset0:16 offset1:17
	ds_read2_b32 v[122:123], v122 offset1:1
	ds_read2_b32 v[150:151], v128 offset1:1
	;; [unrolled: 1-line block ×4, first 2 shown]
	v_mov_b32_e32 v144, 0
	s_waitcnt lgkmcnt(6)
	v_dot4c_i32_i8 v175, v126, v132
	v_add_nc_u32_e32 v126, 0x4128, v34
	v_add_nc_u32_e32 v138, 0x4130, v34
	;; [unrolled: 1-line block ×3, first 2 shown]
	v_dot4c_i32_i8 v174, v159, v129
	v_dot4c_i32_i8 v144, v160, v130
	ds_read2_b32 v[128:129], v126 offset1:1
	ds_read2_b32 v[158:159], v138 offset1:1
	;; [unrolled: 1-line block ×4, first 2 shown]
	v_add_nc_u32_e32 v126, 0x61a8, v34
	v_dot4c_i32_i8 v175, v127, v136
	v_mov_b32_e32 v152, 0
	v_dot4c_i32_i8 v144, v161, v134
	ds_read2_b32 v[160:161], v37 offset0:2 offset1:3
	ds_read2_b32 v[126:127], v126 offset1:1
	v_mul_f32_e32 v1, v1, v140
	v_cvt_f32_i32_e32 v140, v174
	s_waitcnt lgkmcnt(9)
	v_dot4c_i32_i8 v144, v122, v131
	v_add_nc_u32_e32 v122, 0x61b0, v34
	v_mul_f32_e32 v174, v2, v139
	s_waitcnt lgkmcnt(6)
	v_dot4c_i32_i8 v152, v168, v130
	v_dot4c_i32_i8 v175, v124, v133
	;; [unrolled: 1-line block ×3, first 2 shown]
	ds_read2_b32 v[138:139], v122 offset1:1
	v_add_nc_u32_e32 v122, 0x61b8, v34
	v_dot4c_i32_i8 v152, v169, v134
	v_add_nc_u32_e32 v123, 0x20c0, v34
	v_dot4c_i32_i8 v144, v150, v132
	s_waitcnt lgkmcnt(3)
	v_dot4c_i32_i8 v176, v172, v130
	v_dot4c_i32_i8 v175, v125, v137
	;; [unrolled: 1-line block ×3, first 2 shown]
	v_add_nc_u32_e32 v172, 0x4158, v34
	v_dot4c_i32_i8 v144, v151, v136
	v_dot4c_i32_i8 v176, v173, v134
	ds_read2_b32 v[150:151], v122 offset1:1
	ds_read2_b32 v[168:169], v123 offset1:1
	ds_read_b128 v[122:125], v30 offset:64
	v_dot4c_i32_i8 v152, v129, v135
	v_dot4c_i32_i8 v144, v156, v133
	s_waitcnt lgkmcnt(4)
	v_dot4c_i32_i8 v176, v126, v131
	v_cvt_f32_i32_e32 v130, v175
	v_mul_f32_e32 v131, v2, v145
	v_dot4c_i32_i8 v152, v158, v132
	v_dot4c_i32_i8 v144, v157, v137
	;; [unrolled: 1-line block ×3, first 2 shown]
	ds_read_b128 v[126:129], v30 offset:80
	v_fmac_f32_e32 v27, v174, v130
	v_dot4c_i32_i8 v152, v159, v136
	v_cvt_f32_i32_e32 v134, v144
	s_waitcnt lgkmcnt(4)
	v_dot4c_i32_i8 v176, v138, v132
	v_add_nc_u32_e32 v132, 0x20c8, v34
	v_add_nc_u32_e32 v138, 0x20d8, v34
	v_dot4c_i32_i8 v152, v170, v133
	v_fmac_f32_e32 v110, v131, v134
	v_dot4c_i32_i8 v176, v139, v136
	v_mov_b32_e32 v136, 0
	ds_read2_b32 v[130:131], v34 offset0:18 offset1:19
	v_add_nc_u32_e32 v134, 0x20d0, v34
	v_dot4c_i32_i8 v152, v171, v137
	s_waitcnt lgkmcnt(4)
	v_dot4c_i32_i8 v176, v150, v133
	s_waitcnt lgkmcnt(2)
	v_dot4c_i32_i8 v136, v148, v122
	v_add_nc_u32_e32 v150, 0x4148, v34
	v_add_nc_u32_e32 v144, 0x4140, v34
	;; [unrolled: 1-line block ×4, first 2 shown]
	s_waitcnt lgkmcnt(1)
	v_dot4c_i32_i8 v136, v149, v126
	ds_read2_b32 v[132:133], v132 offset1:1
	ds_read2_b32 v[134:135], v134 offset1:1
	;; [unrolled: 1-line block ×4, first 2 shown]
	ds_read2_b32 v[148:149], v34 offset0:20 offset1:21
	v_fmac_f32_e32 v25, v1, v140
	v_mul_f32_e32 v1, v2, v153
	v_cvt_f32_i32_e32 v140, v152
	ds_read2_b32 v[152:153], v34 offset0:22 offset1:23
	ds_read2_b32 v[156:157], v34 offset0:24 offset1:25
	ds_read2_b32 v[158:159], v150 offset1:1
	ds_read2_b32 v[170:171], v170 offset1:1
	;; [unrolled: 1-line block ×4, first 2 shown]
	v_dot4c_i32_i8 v176, v151, v137
	v_mul_f32_e32 v137, v2, v141
	v_fmac_f32_e32 v105, v1, v140
	v_add_nc_u32_e32 v1, 0x61c8, v34
	s_waitcnt lgkmcnt(11)
	v_dot4c_i32_i8 v136, v130, v123
	v_dot4c_i32_i8 v177, v168, v122
	v_mov_b32_e32 v168, 0
	v_add_nc_u32_e32 v130, 0x61d0, v34
	ds_read2_b32 v[1:2], v1 offset1:1
	v_dot4c_i32_i8 v136, v131, v127
	v_dot4c_i32_i8 v177, v169, v126
	v_add_nc_u32_e32 v150, 0x4170, v34
	ds_read2_b32 v[130:131], v130 offset1:1
	s_waitcnt lgkmcnt(9)
	v_dot4c_i32_i8 v178, v144, v122
	s_waitcnt lgkmcnt(8)
	v_dot4c_i32_i8 v136, v148, v124
	v_dot4c_i32_i8 v177, v132, v123
	v_add_nc_u32_e32 v132, 0x20e0, v34
	v_add_nc_u32_e32 v148, 0x4168, v34
	v_dot4c_i32_i8 v178, v145, v126
	s_waitcnt lgkmcnt(2)
	v_dot4c_i32_i8 v168, v174, v122
	v_dot4c_i32_i8 v136, v149, v128
	;; [unrolled: 1-line block ×3, first 2 shown]
	v_add_nc_u32_e32 v122, 0x61d8, v34
	v_dot4c_i32_i8 v178, v158, v123
	v_dot4c_i32_i8 v168, v175, v126
	;; [unrolled: 1-line block ×4, first 2 shown]
	ds_read2_b32 v[140:141], v122 offset1:1
	ds_read2_b32 v[144:145], v132 offset1:1
	v_dot4c_i32_i8 v178, v159, v127
	s_waitcnt lgkmcnt(3)
	v_dot4c_i32_i8 v168, v1, v123
	v_dot4c_i32_i8 v136, v153, v129
	v_cvt_f32_i32_e32 v1, v176
	v_dot4c_i32_i8 v177, v135, v128
	v_dot4c_i32_i8 v178, v170, v124
	;; [unrolled: 1-line block ×3, first 2 shown]
	v_mul_f32_e32 v2, v3, v154
	v_cvt_f32_i32_e32 v122, v136
	v_dot4c_i32_i8 v177, v138, v125
	v_dot4c_i32_i8 v178, v171, v128
	s_waitcnt lgkmcnt(2)
	v_dot4c_i32_i8 v168, v130, v124
	v_fmac_f32_e32 v25, v137, v1
	v_add_nc_u32_e32 v1, 0x20e8, v34
	v_fmac_f32_e32 v27, v2, v122
	v_add_nc_u32_e32 v122, 0x20f0, v34
	v_add_nc_u32_e32 v124, 0x20f8, v34
	v_dot4c_i32_i8 v168, v131, v128
	v_add_nc_u32_e32 v128, 0x4160, v34
	v_add_nc_u32_e32 v152, 0x4178, v34
	v_dot4c_i32_i8 v178, v172, v125
	v_dot4c_i32_i8 v177, v139, v129
	ds_read_b128 v[130:133], v30 offset:96
	ds_read_b128 v[134:137], v30 offset:112
	v_add_nc_u32_e32 v154, 0x61e0, v34
	ds_read2_b32 v[1:2], v1 offset1:1
	ds_read2_b32 v[122:123], v122 offset1:1
	;; [unrolled: 1-line block ×8, first 2 shown]
	v_dot4c_i32_i8 v178, v173, v129
	v_mul_f32_e32 v124, v3, v146
	v_cvt_f32_i32_e32 v128, v177
	s_waitcnt lgkmcnt(11)
	v_dot4c_i32_i8 v168, v140, v125
	v_add_nc_u32_e32 v125, 0x61e8, v34
	v_mul_f32_e32 v146, v3, v160
	v_cvt_f32_i32_e32 v154, v178
	v_fmac_f32_e32 v110, v124, v128
	v_mov_b32_e32 v140, 0
	ds_read2_b32 v[124:125], v125 offset1:1
	v_dot4c_i32_i8 v168, v141, v129
	v_fmac_f32_e32 v105, v146, v154
	v_mov_b32_e32 v141, 0
	v_mov_b32_e32 v146, 0
	;; [unrolled: 1-line block ×3, first 2 shown]
	v_add_nc_u32_e32 v128, 0x61f0, v34
	s_waitcnt lgkmcnt(10)
	v_dot4c_i32_i8 v140, v156, v130
	v_dot4c_i32_i8 v141, v144, v130
	s_waitcnt lgkmcnt(5)
	v_dot4c_i32_i8 v146, v138, v130
	s_waitcnt lgkmcnt(1)
	v_dot4c_i32_i8 v154, v158, v130
	ds_read2_b32 v[128:129], v128 offset1:1
	v_dot4c_i32_i8 v140, v157, v134
	v_dot4c_i32_i8 v141, v145, v134
	v_dot4c_i32_i8 v146, v139, v134
	v_add_nc_u32_e32 v130, 0x61f8, v34
	v_dot4c_i32_i8 v154, v159, v134
	v_dot4c_i32_i8 v140, v162, v131
	;; [unrolled: 1-line block ×4, first 2 shown]
	ds_read2_b32 v[138:139], v130 offset1:1
	s_waitcnt lgkmcnt(2)
	v_dot4c_i32_i8 v154, v124, v131
	v_dot4c_i32_i8 v140, v163, v135
	;; [unrolled: 1-line block ×4, first 2 shown]
	v_mul_f32_e32 v1, v3, v142
	v_dot4c_i32_i8 v154, v125, v135
	v_dot4c_i32_i8 v140, v164, v132
	;; [unrolled: 1-line block ×4, first 2 shown]
	v_cvt_f32_i32_e32 v2, v168
	s_waitcnt lgkmcnt(1)
	v_dot4c_i32_i8 v154, v128, v132
	v_dot4c_i32_i8 v140, v165, v136
	;; [unrolled: 1-line block ×4, first 2 shown]
	v_fmac_f32_e32 v25, v1, v2
	v_dot4c_i32_i8 v154, v129, v136
	v_dot4c_i32_i8 v140, v166, v133
	;; [unrolled: 1-line block ×4, first 2 shown]
	v_mul_f32_e32 v1, v4, v155
	s_waitcnt lgkmcnt(0)
	v_dot4c_i32_i8 v154, v138, v133
	v_dot4c_i32_i8 v140, v167, v137
	;; [unrolled: 1-line block ×4, first 2 shown]
	v_mul_f32_e32 v3, v4, v147
	v_dot4c_i32_i8 v154, v139, v137
	v_cvt_f32_i32_e32 v2, v140
	v_cvt_f32_i32_e32 v122, v141
	v_mul_f32_e32 v123, v4, v161
	v_cvt_f32_i32_e32 v124, v146
	v_mul_f32_e32 v4, v4, v143
	v_cvt_f32_i32_e32 v125, v154
	v_fmac_f32_e32 v27, v1, v2
	v_fmac_f32_e32 v110, v3, v122
	;; [unrolled: 1-line block ×4, first 2 shown]
	s_barrier
	buffer_gl0_inv
	s_cbranch_scc1 .LBB182_5
; %bb.12:                               ;   in Loop: Header=BB182_6 Depth=1
	v_add_nc_u32_e32 v1, s4, v39
	v_cmp_gt_i32_e64 s1, s12, v1
	s_and_b32 s16, s0, s1
	s_and_saveexec_b32 s1, s16
	s_cbranch_execz .LBB182_14
; %bb.13:                               ;   in Loop: Header=BB182_6 Depth=1
	v_add_nc_u32_e32 v1, s4, v40
	v_mad_i64_i32 v[1:2], null, v1, 36, v[21:22]
	global_load_dword v1, v[1:2], off offset:4
	s_waitcnt vmcnt(0)
	ds_write_b32 v31, v1
.LBB182_14:                             ;   in Loop: Header=BB182_6 Depth=1
	s_or_b32 exec_lo, exec_lo, s1
	s_and_saveexec_b32 s16, vcc_lo
	s_cbranch_execz .LBB182_4
; %bb.15:                               ;   in Loop: Header=BB182_6 Depth=1
	v_add_nc_u32_e32 v1, 4, v121
	v_cmp_gt_i32_e64 s1, s12, v1
	s_and_b32 s1, s0, s1
	s_and_b32 exec_lo, exec_lo, s1
	s_cbranch_execz .LBB182_4
; %bb.16:                               ;   in Loop: Header=BB182_6 Depth=1
	global_load_dword v1, v[23:24], off
	s_waitcnt vmcnt(0)
	v_cvt_f32_f16_e32 v1, v1
	ds_write_b32 v33, v1
	s_branch .LBB182_4
.LBB182_17:
	s_mul_i32 s0, s14, s11
	s_waitcnt vmcnt(0)
	v_cmp_gt_i32_e32 vcc_lo, s0, v26
	s_and_saveexec_b32 s0, vcc_lo
	s_cbranch_execz .LBB182_26
; %bb.18:
	v_add_nc_u32_e32 v1, s15, v0
	v_mul_lo_u32 v0, v26, s13
	s_mov_b32 s0, exec_lo
	v_cmpx_gt_u32_e64 s13, v1
	s_cbranch_execz .LBB182_20
; %bb.19:
	v_add_nc_u32_e32 v2, v0, v1
	v_mov_b32_e32 v3, 0
	v_lshlrev_b64 v[2:3], 2, v[2:3]
	v_add_co_u32 v2, vcc_lo, s2, v2
	v_add_co_ci_u32_e64 v3, null, s3, v3, vcc_lo
	global_store_dword v[2:3], v27, off
.LBB182_20:
	s_or_b32 exec_lo, exec_lo, s0
	v_add_nc_u32_e32 v2, 32, v1
	s_mov_b32 s0, exec_lo
	v_cmpx_gt_u32_e64 s13, v2
	s_cbranch_execz .LBB182_22
; %bb.21:
	v_add_nc_u32_e32 v2, v0, v2
	v_mov_b32_e32 v3, 0
	v_lshlrev_b64 v[2:3], 2, v[2:3]
	v_add_co_u32 v2, vcc_lo, s2, v2
	v_add_co_ci_u32_e64 v3, null, s3, v3, vcc_lo
	global_store_dword v[2:3], v110, off
.LBB182_22:
	s_or_b32 exec_lo, exec_lo, s0
	v_add_nc_u32_e32 v2, 64, v1
	;; [unrolled: 13-line block ×3, first 2 shown]
	v_cmp_gt_u32_e32 vcc_lo, s13, v1
	s_and_b32 exec_lo, exec_lo, vcc_lo
	s_cbranch_execz .LBB182_26
; %bb.25:
	v_add_nc_u32_e32 v0, v0, v1
	v_mov_b32_e32 v1, 0
	v_lshlrev_b64 v[0:1], 2, v[0:1]
	v_add_co_u32 v0, vcc_lo, s2, v0
	v_add_co_ci_u32_e64 v1, null, s3, v1, vcc_lo
	global_store_dword v[0:1], v25, off
.LBB182_26:
	s_endpgm
	.section	.rodata,"a",@progbits
	.p2align	6, 0x0
	.amdhsa_kernel _ZL8moe_q5_0IfLb1EEvPKvS1_PT_PKiS5_S5_iiiiiii
		.amdhsa_group_segment_fixed_size 38656
		.amdhsa_private_segment_fixed_size 0
		.amdhsa_kernarg_size 76
		.amdhsa_user_sgpr_count 6
		.amdhsa_user_sgpr_private_segment_buffer 1
		.amdhsa_user_sgpr_dispatch_ptr 0
		.amdhsa_user_sgpr_queue_ptr 0
		.amdhsa_user_sgpr_kernarg_segment_ptr 1
		.amdhsa_user_sgpr_dispatch_id 0
		.amdhsa_user_sgpr_flat_scratch_init 0
		.amdhsa_user_sgpr_private_segment_size 0
		.amdhsa_wavefront_size32 1
		.amdhsa_uses_dynamic_stack 0
		.amdhsa_system_sgpr_private_segment_wavefront_offset 0
		.amdhsa_system_sgpr_workgroup_id_x 1
		.amdhsa_system_sgpr_workgroup_id_y 1
		.amdhsa_system_sgpr_workgroup_id_z 0
		.amdhsa_system_sgpr_workgroup_info 0
		.amdhsa_system_vgpr_workitem_id 1
		.amdhsa_next_free_vgpr 185
		.amdhsa_next_free_sgpr 20
		.amdhsa_reserve_vcc 1
		.amdhsa_reserve_flat_scratch 0
		.amdhsa_float_round_mode_32 0
		.amdhsa_float_round_mode_16_64 0
		.amdhsa_float_denorm_mode_32 3
		.amdhsa_float_denorm_mode_16_64 3
		.amdhsa_dx10_clamp 1
		.amdhsa_ieee_mode 1
		.amdhsa_fp16_overflow 0
		.amdhsa_workgroup_processor_mode 1
		.amdhsa_memory_ordered 1
		.amdhsa_forward_progress 1
		.amdhsa_shared_vgpr_count 0
		.amdhsa_exception_fp_ieee_invalid_op 0
		.amdhsa_exception_fp_denorm_src 0
		.amdhsa_exception_fp_ieee_div_zero 0
		.amdhsa_exception_fp_ieee_overflow 0
		.amdhsa_exception_fp_ieee_underflow 0
		.amdhsa_exception_fp_ieee_inexact 0
		.amdhsa_exception_int_div_zero 0
	.end_amdhsa_kernel
	.section	.text._ZL8moe_q5_0IfLb1EEvPKvS1_PT_PKiS5_S5_iiiiiii,"axG",@progbits,_ZL8moe_q5_0IfLb1EEvPKvS1_PT_PKiS5_S5_iiiiiii,comdat
.Lfunc_end182:
	.size	_ZL8moe_q5_0IfLb1EEvPKvS1_PT_PKiS5_S5_iiiiiii, .Lfunc_end182-_ZL8moe_q5_0IfLb1EEvPKvS1_PT_PKiS5_S5_iiiiiii
                                        ; -- End function
	.set _ZL8moe_q5_0IfLb1EEvPKvS1_PT_PKiS5_S5_iiiiiii.num_vgpr, 185
	.set _ZL8moe_q5_0IfLb1EEvPKvS1_PT_PKiS5_S5_iiiiiii.num_agpr, 0
	.set _ZL8moe_q5_0IfLb1EEvPKvS1_PT_PKiS5_S5_iiiiiii.numbered_sgpr, 20
	.set _ZL8moe_q5_0IfLb1EEvPKvS1_PT_PKiS5_S5_iiiiiii.num_named_barrier, 0
	.set _ZL8moe_q5_0IfLb1EEvPKvS1_PT_PKiS5_S5_iiiiiii.private_seg_size, 0
	.set _ZL8moe_q5_0IfLb1EEvPKvS1_PT_PKiS5_S5_iiiiiii.uses_vcc, 1
	.set _ZL8moe_q5_0IfLb1EEvPKvS1_PT_PKiS5_S5_iiiiiii.uses_flat_scratch, 0
	.set _ZL8moe_q5_0IfLb1EEvPKvS1_PT_PKiS5_S5_iiiiiii.has_dyn_sized_stack, 0
	.set _ZL8moe_q5_0IfLb1EEvPKvS1_PT_PKiS5_S5_iiiiiii.has_recursion, 0
	.set _ZL8moe_q5_0IfLb1EEvPKvS1_PT_PKiS5_S5_iiiiiii.has_indirect_call, 0
	.section	.AMDGPU.csdata,"",@progbits
; Kernel info:
; codeLenInByte = 15524
; TotalNumSgprs: 22
; NumVgprs: 185
; ScratchSize: 0
; MemoryBound: 0
; FloatMode: 240
; IeeeMode: 1
; LDSByteSize: 38656 bytes/workgroup (compile time only)
; SGPRBlocks: 0
; VGPRBlocks: 23
; NumSGPRsForWavesPerEU: 22
; NumVGPRsForWavesPerEU: 185
; Occupancy: 5
; WaveLimiterHint : 1
; COMPUTE_PGM_RSRC2:SCRATCH_EN: 0
; COMPUTE_PGM_RSRC2:USER_SGPR: 6
; COMPUTE_PGM_RSRC2:TRAP_HANDLER: 0
; COMPUTE_PGM_RSRC2:TGID_X_EN: 1
; COMPUTE_PGM_RSRC2:TGID_Y_EN: 1
; COMPUTE_PGM_RSRC2:TGID_Z_EN: 0
; COMPUTE_PGM_RSRC2:TIDIG_COMP_CNT: 1
	.section	.text._ZL8moe_q5_1IfLb0EEvPKvS1_PT_PKiS5_S5_iiiiiii,"axG",@progbits,_ZL8moe_q5_1IfLb0EEvPKvS1_PT_PKiS5_S5_iiiiiii,comdat
	.globl	_ZL8moe_q5_1IfLb0EEvPKvS1_PT_PKiS5_S5_iiiiiii ; -- Begin function _ZL8moe_q5_1IfLb0EEvPKvS1_PT_PKiS5_S5_iiiiiii
	.p2align	8
	.type	_ZL8moe_q5_1IfLb0EEvPKvS1_PT_PKiS5_S5_iiiiiii,@function
_ZL8moe_q5_1IfLb0EEvPKvS1_PT_PKiS5_S5_iiiiiii: ; @_ZL8moe_q5_1IfLb0EEvPKvS1_PT_PKiS5_S5_iiiiiii
; %bb.0:
	s_load_dwordx4 s[0:3], s[4:5], 0x18
	s_mov_b32 s8, s7
	s_mov_b32 s9, 0
	s_lshl_b64 s[10:11], s[8:9], 2
	s_waitcnt lgkmcnt(0)
	s_add_u32 s2, s2, s10
	s_addc_u32 s3, s3, s11
	s_load_dword s7, s[2:3], 0x0
	s_waitcnt lgkmcnt(0)
	s_cmpk_gt_u32 s7, 0xff
	s_cbranch_scc1 .LBB183_30
; %bb.1:
	s_load_dwordx2 s[2:3], s[4:5], 0x28
	s_waitcnt lgkmcnt(0)
	s_load_dword s3, s[2:3], 0x0
	s_lshl_b32 s2, s8, 3
	s_waitcnt lgkmcnt(0)
	s_cmp_gt_u32 s2, s3
	s_cbranch_scc1 .LBB183_30
; %bb.2:
	v_add_nc_u32_e32 v2, s2, v1
	v_mov_b32_e32 v3, 0
	s_lshl_b32 s6, s6, 7
	v_lshlrev_b64 v[4:5], 2, v[2:3]
	v_mov_b32_e32 v40, v3
	v_mov_b32_e32 v47, v3
	;; [unrolled: 1-line block ×3, first 2 shown]
	v_add_co_u32 v4, vcc_lo, s0, v4
	v_add_co_ci_u32_e64 v5, null, s1, v5, vcc_lo
	global_load_dword v6, v[4:5], off
	s_clause 0x2
	s_load_dwordx2 s[14:15], s[4:5], 0x30
	s_load_dwordx2 s[12:13], s[4:5], 0x10
	s_load_dwordx4 s[8:11], s[4:5], 0x3c
	s_waitcnt lgkmcnt(0)
	s_cmp_lt_i32 s15, 32
	s_cbranch_scc1 .LBB183_21
; %bb.3:
	s_load_dwordx4 s[0:3], s[4:5], 0x0
	s_ashr_i32 s4, s15, 31
	s_ashr_i32 s5, s9, 31
	s_lshr_b32 s4, s4, 27
	s_lshr_b32 s5, s5, 27
	s_add_i32 s4, s15, s4
	s_mul_i32 s14, s7, s14
	s_add_i32 s5, s9, s5
	s_ashr_i32 s7, s4, 5
	s_ashr_i32 s9, s5, 5
	s_mul_i32 s5, s7, s6
	s_ashr_i32 s16, s14, 31
	s_mul_hi_i32 s17, s5, 24
	s_mul_i32 s5, s5, 24
	v_mul_lo_u32 v9, s7, v1
	s_waitcnt vmcnt(0)
	v_sub_nc_u32_e32 v18, 0, v6
	v_lshlrev_b32_e32 v3, 3, v0
	v_lshrrev_b32_e32 v11, 3, v0
	v_and_b32_e32 v10, 7, v0
	v_xor_b32_e32 v17, s11, v6
	s_waitcnt lgkmcnt(0)
	s_add_u32 s0, s0, s14
	s_addc_u32 s1, s1, s16
	s_add_u32 s14, s0, s5
	s_addc_u32 s16, s1, s17
	s_abs_i32 s0, s11
	s_lshl_b32 s1, s7, 3
	v_cvt_f32_u32_e32 v4, s0
	s_sub_i32 s5, 0, s0
	v_add_nc_u32_e32 v12, s1, v9
	v_max_i32_e32 v43, v6, v18
	v_mad_u32_u24 v15, 0x104, v1, v3
	v_rcp_iflag_f32_e32 v4, v4
	v_lshl_add_u32 v3, v1, 2, v11
	v_add_nc_u32_e32 v13, s1, v12
	v_lshlrev_b32_e32 v40, 2, v10
	v_ashrrev_i32_e32 v47, 31, v17
	v_lshlrev_b32_e32 v2, 2, v0
	v_add_nc_u32_e32 v42, 32, v3
	v_add_nc_u32_e32 v16, s1, v13
	v_and_b32_e32 v41, 0x7fc, v3
	v_and_b32_e32 v5, 31, v0
	v_mul_f32_e32 v4, 0x4f7ffffe, v4
	v_and_b32_e32 v45, 0xffc, v42
	v_add_nc_u32_e32 v18, s1, v16
	v_add3_u32 v68, v41, v40, 0x8200
	v_add_nc_u32_e32 v44, 64, v3
	v_cvt_u32_f32_e32 v4, v4
	v_add3_u32 v71, v45, v40, 0x8200
	v_add_nc_u32_e32 v21, s1, v18
	v_lshlrev_b32_e32 v69, 5, v42
	v_mul_lo_u32 v37, s7, v3
	v_mul_lo_u32 v29, s5, v4
	v_and_b32_e32 v14, 12, v2
	v_add_nc_u32_e32 v26, s1, v21
	v_lshlrev_b32_e32 v67, 5, v3
	v_add_nc_u32_e32 v3, 0x60, v3
	v_and_b32_e32 v48, 0xffc, v44
	v_lshlrev_b32_e32 v70, 5, v44
	v_add_nc_u32_e32 v30, s1, v26
	v_mul_hi_u32 v36, v4, v29
	s_andn2_b32 s4, s4, 31
	v_and_b32_e32 v49, 0xffc, v3
	v_and_b32_e32 v58, 0xfc, v0
	v_add_nc_u32_e32 v35, s1, v30
	v_add3_u32 v72, v48, v40, 0x8200
	v_lshlrev_b32_e32 v3, 5, v3
	v_add3_u32 v40, v49, v40, 0x8200
	v_add_nc_u32_e32 v4, v4, v36
	v_add_nc_u32_e32 v38, s1, v35
	v_lshrrev_b32_e32 v8, 2, v0
	v_mov_b32_e32 v7, 0
	v_add_nc_u32_e32 v17, 0x820, v15
	v_mul_hi_u32 v4, v43, v4
	v_add_nc_u32_e32 v39, s1, v38
	v_add_nc_u32_e32 v19, 0x1040, v15
	;; [unrolled: 1-line block ×7, first 2 shown]
	v_mul_lo_u32 v46, v4, s0
	v_add_nc_u32_e32 v45, 1, v4
	v_add_nc_u32_e32 v25, 0x38e0, v15
	;; [unrolled: 1-line block ×7, first 2 shown]
	v_sub_nc_u32_e32 v50, v43, v46
	v_add_nc_u32_e32 v44, s1, v42
	v_add_nc_u32_e32 v43, s4, v37
	;; [unrolled: 1-line block ×4, first 2 shown]
	v_subrev_nc_u32_e32 v51, s0, v50
	v_cmp_le_u32_e32 vcc_lo, s0, v50
	v_add_nc_u32_e32 v46, s1, v44
	v_add_nc_u32_e32 v34, 0x71c0, v15
	v_add_nc_u32_e32 v36, 0x79e0, v15
	v_mul_u32_u24_e32 v54, 0x104, v0
	v_cndmask_b32_e32 v4, v4, v45, vcc_lo
	v_cndmask_b32_e32 v50, v50, v51, vcc_lo
	v_add_nc_u32_e32 v45, s4, v43
	v_add_nc_u32_e32 v49, s1, v46
	;; [unrolled: 1-line block ×4, first 2 shown]
	v_cmp_le_u32_e32 vcc_lo, s0, v50
	v_lshl_add_u32 v50, v1, 7, 0x9280
	v_add_nc_u32_e32 v48, s4, v45
	v_add_nc_u32_e32 v68, v71, v69
	;; [unrolled: 1-line block ×3, first 2 shown]
	v_cndmask_b32_e32 v4, v4, v51, vcc_lo
	v_lshl_add_u32 v51, v1, 4, 0x9680
	v_and_b32_e32 v1, 28, v2
	v_lshl_or_b32 v52, v5, 2, v50
	v_add_nc_u32_e32 v5, 64, v0
	v_xor_b32_e32 v4, v4, v47
	v_add_nc_u32_e32 v53, v51, v2
	v_add_nc_u32_e32 v2, 32, v0
	v_add_co_u32 v1, s1, s2, v1
	v_sub_nc_u32_e32 v4, v4, v47
	v_add_nc_u32_e32 v47, 0x60, v0
	v_and_b32_e32 v5, 0x1fc, v5
	v_and_b32_e32 v57, 0x1fc, v2
	v_cmp_gt_u32_e32 vcc_lo, 4, v0
	v_cmp_gt_i32_e64 s0, s8, v4
	v_mul_lo_u32 v56, v4, s9
	v_lshlrev_b32_e32 v4, 5, v0
	v_and_b32_e32 v47, 0x1fc, v47
	v_lshrrev_b32_e32 v55, 3, v2
	v_add_co_ci_u32_e64 v2, null, s3, 0, s1
	v_add_nc_u32_e32 v5, v4, v5
	v_add_nc_u32_e32 v47, v4, v47
	;; [unrolled: 1-line block ×4, first 2 shown]
	s_movk_i32 s1, 0x80
	v_ashrrev_i32_e32 v57, 31, v56
	v_add_nc_u32_e32 v58, 0x8e00, v47
	v_add_nc_u32_e32 v59, 0x8a00, v5
	;; [unrolled: 1-line block ×8, first 2 shown]
	v_mad_u32_u24 v66, 0x104, v0, s1
	v_add_nc_u32_e32 v70, v40, v3
	v_mov_b32_e32 v47, 0
	v_mov_b32_e32 v40, 0
	;; [unrolled: 1-line block ×3, first 2 shown]
	s_mov_b32 s17, 0
	s_and_b32 s18, vcc_lo, s0
	s_branch .LBB183_5
.LBB183_4:                              ;   in Loop: Header=BB183_5 Depth=1
	s_add_i32 s17, s17, 8
	s_cmp_ge_i32 s17, s7
	s_cbranch_scc1 .LBB183_21
.LBB183_5:                              ; =>This Loop Header: Depth=1
                                        ;     Child Loop BB183_11 Depth 2
                                        ;     Child Loop BB183_19 Depth 2
	s_mul_i32 s1, s17, 24
	s_mul_hi_u32 s5, s17, 24
	s_add_u32 s4, s14, s1
	s_addc_u32 s5, s16, s5
	v_mad_u64_u32 v[4:5], null, v8, 24, s[4:5]
	v_mad_u64_u32 v[71:72], null, v9, 24, v[4:5]
	;; [unrolled: 1-line block ×5, first 2 shown]
	v_add_co_u32 v79, s1, v71, v14
	v_add_co_ci_u32_e64 v80, null, 0, v72, s1
	v_add_co_u32 v81, s1, v73, v14
	v_add_co_ci_u32_e64 v82, null, 0, v74, s1
	;; [unrolled: 2-line block ×4, first 2 shown]
	v_mad_u64_u32 v[87:88], null, v18, 24, v[4:5]
	s_clause 0x7
	global_load_dword v95, v[79:80], off offset:8
	global_load_dword v96, v[81:82], off offset:8
	;; [unrolled: 1-line block ×8, first 2 shown]
	v_mad_u64_u32 v[71:72], null, v21, 24, v[4:5]
	v_mad_u64_u32 v[75:76], null, v26, 24, v[4:5]
	;; [unrolled: 1-line block ×3, first 2 shown]
	v_add_co_u32 v73, s1, v87, v14
	v_add_co_ci_u32_e64 v74, null, 0, v88, s1
	v_add_co_u32 v79, s1, v71, v14
	v_add_co_ci_u32_e64 v80, null, 0, v72, s1
	v_add_co_u32 v81, s1, v75, v14
	v_mad_u64_u32 v[85:86], null, v35, 24, v[4:5]
	v_add_co_ci_u32_e64 v82, null, 0, v76, s1
	v_add_co_u32 v83, s1, v77, v14
	v_add_co_ci_u32_e64 v84, null, 0, v78, s1
	v_mad_u64_u32 v[93:94], null, v41, 24, v[4:5]
	s_clause 0x7
	global_load_dword v103, v[77:78], off offset:4
	global_load_dword v104, v[75:76], off offset:4
	;; [unrolled: 1-line block ×8, first 2 shown]
	v_mad_u64_u32 v[91:92], null, v39, 24, v[4:5]
	v_mad_u64_u32 v[89:90], null, v38, 24, v[4:5]
	v_add_co_u32 v71, s1, v85, v14
	v_add_co_ci_u32_e64 v72, null, 0, v86, s1
	s_clause 0x4
	global_load_dword v84, v[93:94], off offset:4
	global_load_dword v108, v[91:92], off offset:4
	;; [unrolled: 1-line block ×5, first 2 shown]
	v_mad_u64_u32 v[75:76], null, v49, 24, v[4:5]
	v_add_co_u32 v71, s1, v89, v14
	v_add_co_ci_u32_e64 v72, null, 0, v90, s1
	v_mad_u64_u32 v[73:74], null, v44, 24, v[4:5]
	v_mad_u64_u32 v[77:78], null, v10, 24, s[4:5]
	global_load_dword v89, v[71:72], off offset:8
	v_add_co_u32 v71, s1, v91, v14
	v_add_co_ci_u32_e64 v72, null, 0, v92, s1
	s_lshl_b32 s4, s17, 5
	v_mad_u64_u32 v[81:82], null, v45, 24, v[77:78]
	global_load_dword v90, v[71:72], off offset:8
	v_add_co_u32 v71, s1, v93, v14
	v_add_co_ci_u32_e64 v72, null, 0, v94, s1
	s_cmp_lt_i32 s4, s15
	global_load_dword v91, v[71:72], off offset:8
	v_mad_u64_u32 v[71:72], null, v42, 24, v[4:5]
	v_mad_u64_u32 v[4:5], null, v46, 24, v[4:5]
	v_add_co_u32 v79, s1, v71, v14
	v_add_co_ci_u32_e64 v80, null, 0, v72, s1
	s_clause 0x4
	global_load_dword v92, v[75:76], off offset:4
	global_load_dword v93, v[4:5], off offset:4
	;; [unrolled: 1-line block ×5, first 2 shown]
	v_add_co_u32 v73, s1, v73, v14
	v_add_co_ci_u32_e64 v74, null, 0, v74, s1
	v_add_co_u32 v4, s1, v4, v14
	v_mad_u64_u32 v[71:72], null, v37, 24, v[77:78]
	v_add_co_ci_u32_e64 v5, null, 0, v5, s1
	v_add_co_u32 v75, s1, v75, v14
	v_mad_u64_u32 v[79:80], null, v43, 24, v[77:78]
	v_add_co_ci_u32_e64 v76, null, 0, v76, s1
	v_mad_u64_u32 v[77:78], null, v48, 24, v[77:78]
	s_clause 0x6
	global_load_dword v73, v[73:74], off offset:8
	global_load_dword v4, v[4:5], off offset:8
	;; [unrolled: 1-line block ×3, first 2 shown]
	global_load_dword v71, v[71:72], off
	global_load_dword v72, v[79:80], off
	;; [unrolled: 1-line block ×4, first 2 shown]
	s_waitcnt vmcnt(35)
	v_and_b32_e32 v77, 0xf0f0f0f, v95
	v_lshrrev_b32_e32 v78, 4, v95
	s_waitcnt vmcnt(34)
	v_and_b32_e32 v80, 0xf0f0f0f, v96
	v_lshrrev_b32_e32 v81, 4, v96
	s_waitcnt vmcnt(33)
	v_and_b32_e32 v95, 0xf0f0f0f, v97
	s_waitcnt vmcnt(30)
	v_ashrrev_i32_e32 v82, v14, v100
	s_waitcnt vmcnt(29)
	v_ashrrev_i32_e32 v79, v14, v101
	;; [unrolled: 2-line block ×3, first 2 shown]
	v_lshrrev_b32_e32 v96, 4, v97
	v_ashrrev_i32_e32 v97, v14, v99
	v_lshlrev_b32_e32 v128, 4, v82
	v_lshlrev_b32_e32 v121, 4, v79
	;; [unrolled: 1-line block ×4, first 2 shown]
	v_lshrrev_b32_e32 v118, 12, v76
	v_lshrrev_b32_e32 v119, 5, v76
	v_lshlrev_b32_e32 v122, 11, v79
	v_lshrrev_b32_e32 v125, 12, v79
	v_lshrrev_b32_e32 v126, 5, v79
	v_lshlrev_b32_e32 v129, 11, v82
	v_lshrrev_b32_e32 v132, 12, v82
	v_lshrrev_b32_e32 v133, 5, v82
	v_and_b32_e32 v99, 0xf0f0f0f, v98
	v_lshrrev_b32_e32 v98, 4, v98
	v_lshlrev_b32_e32 v135, 4, v97
	v_lshlrev_b32_e32 v136, 11, v97
	v_lshrrev_b32_e32 v139, 12, v97
	v_lshrrev_b32_e32 v140, 5, v97
	s_waitcnt vmcnt(26)
	v_ashrrev_i32_e32 v104, v14, v104
	s_waitcnt vmcnt(25)
	v_ashrrev_i32_e32 v101, v14, v105
	;; [unrolled: 2-line block ×3, first 2 shown]
	s_waitcnt vmcnt(23)
	v_and_b32_e32 v100, 0xf0f0f0f, v88
	v_lshrrev_b32_e32 v88, 4, v88
	s_waitcnt vmcnt(22)
	v_and_b32_e32 v102, 0xf0f0f0f, v106
	v_lshrrev_b32_e32 v105, 4, v106
	v_lshlrev_b32_e32 v142, 4, v87
	v_lshlrev_b32_e32 v143, 11, v87
	v_lshrrev_b32_e32 v146, 12, v87
	v_lshrrev_b32_e32 v147, 5, v87
	s_waitcnt vmcnt(21)
	v_and_b32_e32 v106, 0xf0f0f0f, v107
	v_lshrrev_b32_e32 v107, 4, v107
	v_lshlrev_b32_e32 v116, 18, v76
	v_lshlrev_b32_e32 v117, 25, v76
	v_and_b32_e32 v78, 0xf0f0f0f, v78
	v_lshlrev_b32_e32 v120, 2, v76
	v_lshlrev_b32_e32 v76, 9, v76
	;; [unrolled: 1-line block ×4, first 2 shown]
	v_lshrrev_b32_e32 v153, 12, v101
	v_lshrrev_b32_e32 v154, 5, v101
	v_lshlrev_b32_e32 v156, 4, v104
	v_lshlrev_b32_e32 v157, 11, v104
	v_lshrrev_b32_e32 v160, 12, v104
	v_lshrrev_b32_e32 v161, 5, v104
	v_and_b32_e32 v114, 16, v114
	v_and_b32_e32 v115, 0x1000, v115
	v_and_b32_e32 v118, 16, v118
	v_and_b32_e32 v119, 0x1000, v119
	v_lshlrev_b32_e32 v123, 18, v79
	v_lshlrev_b32_e32 v124, 25, v79
	v_and_b32_e32 v81, 0xf0f0f0f, v81
	v_lshlrev_b32_e32 v127, 2, v79
	v_lshlrev_b32_e32 v79, 9, v79
	v_and_b32_e32 v121, 16, v121
	v_and_b32_e32 v122, 0x1000, v122
	v_and_b32_e32 v125, 16, v125
	v_and_b32_e32 v126, 0x1000, v126
	v_lshlrev_b32_e32 v130, 18, v82
	v_lshlrev_b32_e32 v131, 25, v82
	v_and_b32_e32 v96, 0xf0f0f0f, v96
	v_lshlrev_b32_e32 v134, 2, v82
	v_lshlrev_b32_e32 v82, 9, v82
	;; [unrolled: 9-line block ×4, first 2 shown]
	v_and_b32_e32 v142, 16, v142
	v_and_b32_e32 v143, 0x1000, v143
	;; [unrolled: 1-line block ×4, first 2 shown]
	v_ashrrev_i32_e32 v103, v14, v103
	s_waitcnt vmcnt(16)
	v_ashrrev_i32_e32 v85, v14, v85
	v_ashrrev_i32_e32 v109, v14, v109
	v_lshlrev_b32_e32 v151, 18, v101
	v_lshlrev_b32_e32 v152, 25, v101
	v_and_b32_e32 v105, 0xf0f0f0f, v105
	v_lshlrev_b32_e32 v155, 2, v101
	v_lshlrev_b32_e32 v101, 9, v101
	;; [unrolled: 1-line block ×4, first 2 shown]
	v_and_b32_e32 v107, 0xf0f0f0f, v107
	v_lshlrev_b32_e32 v162, 2, v104
	v_lshlrev_b32_e32 v104, 9, v104
	v_and_b32_e32 v116, 0x100000, v116
	v_and_b32_e32 v117, 0x10000000, v117
	;; [unrolled: 1-line block ×12, first 2 shown]
	v_or3_b32 v77, v114, v77, v115
	v_or3_b32 v78, v118, v78, v119
	v_and_b32_e32 v123, 0x100000, v123
	v_and_b32_e32 v124, 0x10000000, v124
	v_and_b32_e32 v127, 0x100000, v127
	v_and_b32_e32 v79, 0x10000000, v79
	v_or3_b32 v80, v121, v80, v122
	v_or3_b32 v81, v125, v81, v126
	v_and_b32_e32 v130, 0x100000, v130
	v_and_b32_e32 v131, 0x10000000, v131
	v_and_b32_e32 v134, 0x100000, v134
	v_and_b32_e32 v82, 0x10000000, v82
	;; [unrolled: 6-line block ×4, first 2 shown]
	v_or3_b32 v100, v142, v100, v143
	v_or3_b32 v88, v146, v88, v147
	v_and_b32_e32 v112, 0xf0f0f0f, v83
	v_lshrrev_b32_e32 v83, 4, v83
	s_waitcnt vmcnt(15)
	v_and_b32_e32 v113, 0xf0f0f0f, v86
	v_lshrrev_b32_e32 v86, 4, v86
	v_lshlrev_b32_e32 v163, 4, v103
	v_lshlrev_b32_e32 v164, 11, v103
	v_lshrrev_b32_e32 v167, 12, v103
	v_lshrrev_b32_e32 v168, 5, v103
	;; [unrolled: 1-line block ×4, first 2 shown]
	v_lshlrev_b32_e32 v177, 4, v109
	v_lshlrev_b32_e32 v178, 11, v109
	v_and_b32_e32 v151, 0x100000, v151
	v_and_b32_e32 v152, 0x10000000, v152
	;; [unrolled: 1-line block ×8, first 2 shown]
	v_or3_b32 v102, v149, v102, v150
	v_or3_b32 v105, v153, v105, v154
	v_or3_b32 v106, v156, v106, v157
	v_or3_b32 v107, v160, v107, v161
	v_or3_b32 v77, v77, v116, v117
	v_or3_b32 v76, v78, v120, v76
	v_or3_b32 v78, v80, v123, v124
	v_or3_b32 v79, v81, v127, v79
	v_or3_b32 v80, v95, v130, v131
	v_or3_b32 v81, v96, v134, v82
	v_or3_b32 v82, v99, v137, v138
	v_or3_b32 v95, v98, v141, v97
	v_or3_b32 v96, v100, v144, v145
	v_or3_b32 v87, v88, v148, v87
	v_lshlrev_b32_e32 v165, 18, v103
	v_lshlrev_b32_e32 v166, 25, v103
	v_and_b32_e32 v83, 0xf0f0f0f, v83
	v_lshlrev_b32_e32 v169, 2, v103
	v_lshlrev_b32_e32 v103, 9, v103
	;; [unrolled: 1-line block ×6, first 2 shown]
	v_and_b32_e32 v86, 0xf0f0f0f, v86
	v_lshlrev_b32_e32 v176, 2, v85
	v_lshlrev_b32_e32 v85, 9, v85
	v_and_b32_e32 v163, 16, v163
	v_and_b32_e32 v164, 0x1000, v164
	;; [unrolled: 1-line block ×6, first 2 shown]
	v_or3_b32 v88, v102, v151, v152
	v_or3_b32 v97, v105, v155, v101
	;; [unrolled: 1-line block ×4, first 2 shown]
	ds_write2_b32 v15, v77, v76 offset1:1
	ds_write2_b32 v17, v78, v79 offset1:1
	;; [unrolled: 1-line block ×7, first 2 shown]
	s_waitcnt vmcnt(14)
	v_and_b32_e32 v76, 0xf0f0f0f, v89
	v_and_b32_e32 v77, 16, v177
	;; [unrolled: 1-line block ×9, first 2 shown]
	v_or3_b32 v112, v163, v112, v164
	v_or3_b32 v83, v167, v83, v168
	;; [unrolled: 1-line block ×4, first 2 shown]
	v_lshrrev_b32_e32 v77, 4, v89
	v_lshrrev_b32_e32 v78, 12, v109
	;; [unrolled: 1-line block ×3, first 2 shown]
	v_and_b32_e32 v170, 16, v170
	v_and_b32_e32 v171, 0x1000, v171
	v_or3_b32 v100, v112, v165, v166
	v_or3_b32 v83, v83, v169, v103
	;; [unrolled: 1-line block ×3, first 2 shown]
	v_and_b32_e32 v77, 0xf0f0f0f, v77
	v_and_b32_e32 v78, 16, v78
	v_and_b32_e32 v82, 0x1000, v82
	v_ashrrev_i32_e32 v85, v14, v108
	v_and_b32_e32 v172, 0x100000, v172
	v_and_b32_e32 v173, 0x10000000, v173
	v_or3_b32 v113, v170, v113, v171
	ds_write2_b32 v25, v100, v83 offset1:1
	v_lshlrev_b32_e32 v81, 18, v109
	v_lshlrev_b32_e32 v83, 25, v109
	v_or3_b32 v77, v78, v77, v82
	v_lshlrev_b32_e32 v78, 4, v85
	v_lshlrev_b32_e32 v82, 11, v85
	v_or3_b32 v79, v113, v172, v173
	v_and_b32_e32 v81, 0x100000, v81
	v_and_b32_e32 v83, 0x10000000, v83
	s_waitcnt vmcnt(13)
	v_and_b32_e32 v88, 0xf0f0f0f, v90
	v_and_b32_e32 v78, 16, v78
	;; [unrolled: 1-line block ×3, first 2 shown]
	v_lshlrev_b32_e32 v86, 2, v109
	v_lshlrev_b32_e32 v87, 9, v109
	ds_write2_b32 v27, v79, v80 offset1:1
	v_or3_b32 v76, v76, v81, v83
	v_or3_b32 v78, v78, v88, v82
	v_lshrrev_b32_e32 v80, 4, v90
	v_lshrrev_b32_e32 v81, 12, v85
	v_lshrrev_b32_e32 v82, 5, v85
	v_and_b32_e32 v86, 0x100000, v86
	v_and_b32_e32 v87, 0x10000000, v87
	;; [unrolled: 1-line block ×5, first 2 shown]
	v_ashrrev_i32_e32 v84, v14, v84
	v_or3_b32 v77, v77, v86, v87
	v_lshlrev_b32_e32 v79, 18, v85
	v_lshlrev_b32_e32 v83, 25, v85
	;; [unrolled: 1-line block ×4, first 2 shown]
	v_or3_b32 v80, v81, v80, v82
	v_lshlrev_b32_e32 v81, 4, v84
	v_lshlrev_b32_e32 v82, 11, v84
	v_and_b32_e32 v79, 0x100000, v79
	v_and_b32_e32 v83, 0x10000000, v83
	;; [unrolled: 1-line block ×4, first 2 shown]
	s_waitcnt vmcnt(12)
	v_and_b32_e32 v87, 0xf0f0f0f, v91
	v_and_b32_e32 v81, 16, v81
	;; [unrolled: 1-line block ×3, first 2 shown]
	ds_write2_b32 v28, v76, v77 offset1:1
	v_or3_b32 v76, v78, v79, v83
	v_or3_b32 v77, v80, v86, v85
	v_lshrrev_b32_e32 v80, 4, v91
	v_or3_b32 v79, v81, v87, v82
	v_lshrrev_b32_e32 v81, 12, v84
	v_lshrrev_b32_e32 v82, 5, v84
	s_waitcnt vmcnt(8)
	v_ashrrev_i32_e32 v85, v14, v110
	v_and_b32_e32 v80, 0xf0f0f0f, v80
	v_lshlrev_b32_e32 v78, 18, v84
	v_and_b32_e32 v81, 16, v81
	v_and_b32_e32 v82, 0x1000, v82
	v_lshlrev_b32_e32 v83, 25, v84
	v_lshlrev_b32_e32 v86, 2, v84
	;; [unrolled: 1-line block ×3, first 2 shown]
	v_and_b32_e32 v78, 0x100000, v78
	v_or3_b32 v80, v81, v80, v82
	v_lshlrev_b32_e32 v81, 4, v85
	v_lshlrev_b32_e32 v82, 11, v85
	v_and_b32_e32 v83, 0x10000000, v83
	v_and_b32_e32 v86, 0x100000, v86
	;; [unrolled: 1-line block ×3, first 2 shown]
	s_waitcnt vmcnt(7)
	v_and_b32_e32 v87, 0xf0f0f0f, v111
	v_and_b32_e32 v81, 16, v81
	;; [unrolled: 1-line block ×3, first 2 shown]
	ds_write2_b32 v29, v76, v77 offset1:1
	v_or3_b32 v76, v79, v78, v83
	v_or3_b32 v77, v80, v86, v84
	v_lshrrev_b32_e32 v80, 4, v111
	v_or3_b32 v79, v81, v87, v82
	v_lshrrev_b32_e32 v81, 12, v85
	v_lshrrev_b32_e32 v82, 5, v85
	v_ashrrev_i32_e32 v84, v14, v94
	v_and_b32_e32 v80, 0xf0f0f0f, v80
	v_lshlrev_b32_e32 v78, 18, v85
	v_and_b32_e32 v81, 16, v81
	v_and_b32_e32 v82, 0x1000, v82
	v_lshlrev_b32_e32 v83, 25, v85
	v_lshlrev_b32_e32 v86, 2, v85
	;; [unrolled: 1-line block ×3, first 2 shown]
	v_and_b32_e32 v78, 0x100000, v78
	v_or3_b32 v80, v81, v80, v82
	v_lshlrev_b32_e32 v81, 4, v84
	v_lshlrev_b32_e32 v82, 11, v84
	v_and_b32_e32 v83, 0x10000000, v83
	v_and_b32_e32 v86, 0x100000, v86
	;; [unrolled: 1-line block ×3, first 2 shown]
	s_waitcnt vmcnt(6)
	v_and_b32_e32 v87, 0xf0f0f0f, v73
	v_and_b32_e32 v81, 16, v81
	v_and_b32_e32 v82, 0x1000, v82
	v_lshlrev_b32_e32 v88, 18, v84
	v_lshlrev_b32_e32 v89, 25, v84
	v_or3_b32 v78, v79, v78, v83
	v_or3_b32 v79, v80, v86, v85
	;; [unrolled: 1-line block ×3, first 2 shown]
	v_and_b32_e32 v81, 0x100000, v88
	v_and_b32_e32 v82, 0x10000000, v89
	v_lshrrev_b32_e32 v83, 12, v84
	v_lshrrev_b32_e32 v85, 5, v84
	v_ashrrev_i32_e32 v86, v14, v93
	v_lshrrev_b32_e32 v73, 4, v73
	v_or3_b32 v80, v80, v81, v82
	v_and_b32_e32 v81, 16, v83
	v_and_b32_e32 v82, 0x1000, v85
	v_lshlrev_b32_e32 v83, 4, v86
	v_lshlrev_b32_e32 v85, 11, v86
	s_waitcnt vmcnt(5)
	v_and_b32_e32 v88, 0xf0f0f0f, v4
	v_and_b32_e32 v73, 0xf0f0f0f, v73
	v_lshlrev_b32_e32 v87, 2, v84
	v_and_b32_e32 v83, 16, v83
	v_and_b32_e32 v85, 0x1000, v85
	v_lshrrev_b32_e32 v4, 4, v4
	v_or3_b32 v73, v81, v73, v82
	v_and_b32_e32 v81, 0x100000, v87
	v_lshrrev_b32_e32 v87, 5, v86
	v_or3_b32 v83, v83, v88, v85
	v_ashrrev_i32_e32 v88, v14, v92
	v_lshrrev_b32_e32 v85, 12, v86
	v_and_b32_e32 v4, 0xf0f0f0f, v4
	v_and_b32_e32 v87, 0x1000, v87
	s_waitcnt vmcnt(4)
	v_and_b32_e32 v93, 0xf0f0f0f, v5
	v_lshlrev_b32_e32 v90, 4, v88
	v_lshlrev_b32_e32 v91, 11, v88
	v_and_b32_e32 v85, 16, v85
	v_lshlrev_b32_e32 v84, 9, v84
	v_lshlrev_b32_e32 v89, 18, v86
	v_and_b32_e32 v90, 16, v90
	v_and_b32_e32 v91, 0x1000, v91
	v_lshlrev_b32_e32 v92, 2, v86
	v_or3_b32 v4, v85, v4, v87
	v_lshrrev_b32_e32 v5, 4, v5
	v_and_b32_e32 v82, 0x10000000, v84
	v_or3_b32 v87, v90, v93, v91
	v_lshrrev_b32_e32 v90, 12, v88
	v_lshrrev_b32_e32 v91, 5, v88
	v_and_b32_e32 v84, 0x100000, v89
	v_lshlrev_b32_e32 v89, 25, v86
	v_lshlrev_b32_e32 v86, 9, v86
	v_and_b32_e32 v85, 0x100000, v92
	v_lshlrev_b32_e32 v92, 18, v88
	v_lshlrev_b32_e32 v93, 25, v88
	v_and_b32_e32 v5, 0xf0f0f0f, v5
	v_and_b32_e32 v90, 16, v90
	;; [unrolled: 1-line block ×3, first 2 shown]
	v_lshlrev_b32_e32 v94, 2, v88
	v_lshlrev_b32_e32 v88, 9, v88
	v_and_b32_e32 v89, 0x10000000, v89
	v_and_b32_e32 v86, 0x10000000, v86
	;; [unrolled: 1-line block ×4, first 2 shown]
	v_or3_b32 v5, v90, v5, v91
	v_and_b32_e32 v90, 0x100000, v94
	v_and_b32_e32 v88, 0x10000000, v88
	v_or3_b32 v73, v73, v81, v82
	v_or3_b32 v81, v83, v84, v89
	;; [unrolled: 1-line block ×5, first 2 shown]
	ds_write2_b32 v31, v76, v77 offset1:1
	ds_write2_b32 v32, v78, v79 offset1:1
	;; [unrolled: 1-line block ×5, first 2 shown]
	s_waitcnt vmcnt(3)
	ds_write_b32 v67, v71
	s_waitcnt vmcnt(2)
	ds_write_b32 v68, v72
	;; [unrolled: 2-line block ×4, first 2 shown]
	s_cbranch_scc0 .LBB183_4
; %bb.6:                                ;   in Loop: Header=BB183_5 Depth=1
	v_add_nc_u32_e32 v4, s17, v11
	v_cmp_gt_i32_e64 s1, s9, v4
	s_and_b32 s5, s0, s1
	s_and_saveexec_b32 s1, s5
	s_cbranch_execz .LBB183_8
; %bb.7:                                ;   in Loop: Header=BB183_5 Depth=1
	v_add_nc_u32_e32 v4, v56, v4
	v_mad_i64_i32 v[4:5], null, v4, 36, v[1:2]
	global_load_dword v4, v[4:5], off offset:4
	s_waitcnt vmcnt(0)
	ds_write_b32 v52, v4
.LBB183_8:                              ;   in Loop: Header=BB183_5 Depth=1
	s_or_b32 exec_lo, exec_lo, s1
	v_add_nc_u32_e32 v4, s17, v0
	v_cmp_gt_i32_e64 s1, s9, v4
	s_and_b32 s5, s18, s1
	s_and_saveexec_b32 s1, s5
	s_cbranch_execz .LBB183_10
; %bb.9:                                ;   in Loop: Header=BB183_5 Depth=1
	v_add_nc_u32_e32 v5, v56, v4
	v_mad_i64_i32 v[71:72], null, v5, 36, s[2:3]
	global_load_dword v5, v[71:72], off
	s_waitcnt vmcnt(0)
	ds_write_b32 v53, v5
.LBB183_10:                             ;   in Loop: Header=BB183_5 Depth=1
	s_or_b32 exec_lo, exec_lo, s1
	v_mov_b32_e32 v5, v50
	v_mov_b32_e32 v71, v54
	;; [unrolled: 1-line block ×7, first 2 shown]
	s_mov_b32 s1, -4
	s_waitcnt lgkmcnt(0)
	s_barrier
	buffer_gl0_inv
.LBB183_11:                             ;   Parent Loop BB183_5 Depth=1
                                        ; =>  This Inner Loop Header: Depth=2
	v_add_nc_u32_e32 v93, 0x2080, v71
	v_add_nc_u32_e32 v95, 0x4100, v71
	;; [unrolled: 1-line block ×3, first 2 shown]
	ds_read_b128 v[77:80], v5
	ds_read_b128 v[81:84], v5 offset:16
	ds_read2_b32 v[85:86], v71 offset1:1
	ds_read2_b32 v[87:88], v71 offset0:2 offset1:3
	ds_read2_b32 v[89:90], v71 offset0:4 offset1:5
	;; [unrolled: 1-line block ×3, first 2 shown]
	ds_read_b32 v119, v72
	ds_read_b32 v120, v73
	;; [unrolled: 1-line block ×4, first 2 shown]
	ds_read2_b32 v[93:94], v93 offset1:1
	ds_read2_b32 v[95:96], v95 offset1:1
	;; [unrolled: 1-line block ×3, first 2 shown]
	ds_read_b32 v124, v76
	v_add_nc_u32_e32 v99, 0x2088, v71
	v_add_nc_u32_e32 v101, 0x4108, v71
	;; [unrolled: 1-line block ×4, first 2 shown]
	v_mov_b32_e32 v117, 0
	v_mov_b32_e32 v118, 0
	v_add_nc_u32_e32 v107, 0x2098, v71
	v_mov_b32_e32 v123, 0
	v_add_nc_u32_e32 v109, 0x4110, v71
	v_add_nc_u32_e32 v111, 0x4118, v71
	v_mov_b32_e32 v125, 0
	v_add_nc_u32_e32 v113, 0x6190, v71
	v_add_nc_u32_e32 v115, 0x6198, v71
	ds_read2_b32 v[99:100], v99 offset1:1
	ds_read2_b32 v[101:102], v101 offset1:1
	;; [unrolled: 1-line block ×9, first 2 shown]
	v_add_nc_u32_e32 v76, 4, v76
	s_waitcnt lgkmcnt(20)
	v_dot4c_i32_i8 v117, v85, v77
	s_waitcnt lgkmcnt(12)
	v_dot4c_i32_i8 v118, v93, v77
	s_waitcnt lgkmcnt(11)
	v_dot4c_i32_i8 v123, v95, v77
	s_waitcnt lgkmcnt(10)
	v_dot4c_i32_i8 v125, v97, v77
	v_pk_mul_f16 v77, v119, v120
	v_dot4c_i32_i8 v117, v86, v81
	v_dot4c_i32_i8 v118, v94, v81
	v_dot4c_i32_i8 v123, v96, v81
	v_dot4c_i32_i8 v125, v98, v81
	v_add_nc_u32_e32 v75, 4, v75
	v_dot4c_i32_i8 v117, v87, v78
	s_waitcnt lgkmcnt(8)
	v_dot4c_i32_i8 v118, v99, v78
	s_waitcnt lgkmcnt(7)
	;; [unrolled: 2-line block ×3, first 2 shown]
	v_dot4c_i32_i8 v125, v103, v78
	v_pk_mul_f16 v78, v119, v121
	v_dot4c_i32_i8 v117, v88, v82
	v_dot4c_i32_i8 v118, v100, v82
	;; [unrolled: 1-line block ×4, first 2 shown]
	v_add_nc_u32_e32 v74, 4, v74
	v_dot4c_i32_i8 v117, v89, v79
	s_waitcnt lgkmcnt(5)
	v_dot4c_i32_i8 v118, v105, v79
	s_waitcnt lgkmcnt(3)
	;; [unrolled: 2-line block ×3, first 2 shown]
	v_dot4c_i32_i8 v125, v113, v79
	v_pk_mul_f16 v79, v119, v122
	v_dot4c_i32_i8 v117, v90, v83
	v_dot4c_i32_i8 v118, v106, v83
	;; [unrolled: 1-line block ×4, first 2 shown]
	v_add_nc_u32_e32 v73, 4, v73
	v_dot4c_i32_i8 v117, v91, v80
	v_dot4c_i32_i8 v118, v107, v80
	;; [unrolled: 1-line block ×3, first 2 shown]
	s_waitcnt lgkmcnt(0)
	v_dot4c_i32_i8 v125, v115, v80
	v_pk_mul_f16 v80, v119, v124
	v_dot4c_i32_i8 v117, v92, v84
	v_dot4c_i32_i8 v118, v108, v84
	;; [unrolled: 1-line block ×4, first 2 shown]
	v_add_nc_u32_e32 v72, 4, v72
	v_cvt_f32_i32_e32 v81, v117
	v_cvt_f32_i32_e32 v82, v118
	;; [unrolled: 1-line block ×4, first 2 shown]
	v_add_nc_u32_e32 v71, 32, v71
	v_fma_mix_f32 v77, v77, v81, v77 op_sel:[0,0,1] op_sel_hi:[1,0,1]
	v_fma_mix_f32 v78, v78, v82, v78 op_sel:[0,0,1] op_sel_hi:[1,0,1]
	;; [unrolled: 1-line block ×4, first 2 shown]
	v_add_nc_u32_e32 v5, 32, v5
	v_add_f32_e32 v7, v7, v77
	v_add_f32_e32 v47, v47, v78
	;; [unrolled: 1-line block ×4, first 2 shown]
	s_add_i32 s1, s1, 4
	s_cmp_lt_u32 s1, 12
	s_cbranch_scc1 .LBB183_11
; %bb.12:                               ;   in Loop: Header=BB183_5 Depth=1
	s_bitset1_b32 s4, 7
	s_cmp_ge_i32 s4, s15
	s_barrier
	buffer_gl0_inv
	s_cbranch_scc1 .LBB183_4
; %bb.13:                               ;   in Loop: Header=BB183_5 Depth=1
	v_add_nc_u32_e32 v5, s17, v55
	v_cmp_gt_i32_e64 s1, s9, v5
	s_and_b32 s4, s0, s1
	s_and_saveexec_b32 s1, s4
	s_cbranch_execz .LBB183_15
; %bb.14:                               ;   in Loop: Header=BB183_5 Depth=1
	v_add_nc_u32_e32 v5, v56, v5
	v_mad_i64_i32 v[71:72], null, v5, 36, v[1:2]
	global_load_dword v5, v[71:72], off offset:4
	s_waitcnt vmcnt(0)
	ds_write_b32 v52, v5
.LBB183_15:                             ;   in Loop: Header=BB183_5 Depth=1
	s_or_b32 exec_lo, exec_lo, s1
	s_and_saveexec_b32 s4, vcc_lo
	s_cbranch_execz .LBB183_18
; %bb.16:                               ;   in Loop: Header=BB183_5 Depth=1
	v_or_b32_e32 v5, 4, v4
	v_cmp_gt_i32_e64 s1, s9, v5
	s_and_b32 s1, s0, s1
	s_and_b32 exec_lo, exec_lo, s1
	s_cbranch_execz .LBB183_18
; %bb.17:                               ;   in Loop: Header=BB183_5 Depth=1
	v_ashrrev_i32_e32 v5, 31, v4
	v_add_co_u32 v4, s1, v56, v4
	v_add_co_ci_u32_e64 v71, null, v57, v5, s1
	v_mad_u64_u32 v[4:5], null, v4, 36, s[2:3]
	v_mad_i32_i24 v5, v71, 36, v5
	global_load_dword v4, v[4:5], off offset:144
	s_waitcnt vmcnt(0)
	ds_write_b32 v53, v4
.LBB183_18:                             ;   in Loop: Header=BB183_5 Depth=1
	s_or_b32 exec_lo, exec_lo, s4
	v_mov_b32_e32 v4, v51
	v_mov_b32_e32 v5, v50
	;; [unrolled: 1-line block ×7, first 2 shown]
	s_mov_b32 s1, 12
	s_waitcnt lgkmcnt(0)
	s_barrier
	buffer_gl0_inv
.LBB183_19:                             ;   Parent Loop BB183_5 Depth=1
                                        ; =>  This Inner Loop Header: Depth=2
	v_add_nc_u32_e32 v92, 0x2080, v71
	v_add_nc_u32_e32 v94, 0x4100, v71
	;; [unrolled: 1-line block ×3, first 2 shown]
	ds_read_b128 v[76:79], v5
	ds_read_b32 v116, v4
	ds_read_b128 v[80:83], v5 offset:16
	ds_read2_b32 v[84:85], v71 offset1:1
	ds_read_b32 v118, v72
	ds_read2_b32 v[86:87], v71 offset0:2 offset1:3
	ds_read2_b32 v[88:89], v71 offset0:4 offset1:5
	;; [unrolled: 1-line block ×3, first 2 shown]
	ds_read_b32 v120, v73
	ds_read_b32 v121, v74
	ds_read2_b32 v[92:93], v92 offset1:1
	ds_read2_b32 v[94:95], v94 offset1:1
	;; [unrolled: 1-line block ×3, first 2 shown]
	ds_read_b32 v123, v75
	v_add_nc_u32_e32 v98, 0x2088, v71
	v_add_nc_u32_e32 v100, 0x4108, v71
	;; [unrolled: 1-line block ×4, first 2 shown]
	v_mov_b32_e32 v117, 0
	v_mov_b32_e32 v119, 0
	v_add_nc_u32_e32 v106, 0x2098, v71
	v_mov_b32_e32 v122, 0
	v_add_nc_u32_e32 v108, 0x4110, v71
	v_add_nc_u32_e32 v110, 0x4118, v71
	v_mov_b32_e32 v124, 0
	v_add_nc_u32_e32 v112, 0x6190, v71
	v_add_nc_u32_e32 v114, 0x6198, v71
	ds_read2_b32 v[98:99], v98 offset1:1
	ds_read2_b32 v[100:101], v100 offset1:1
	;; [unrolled: 1-line block ×9, first 2 shown]
	v_add_nc_u32_e32 v75, 4, v75
	v_add_nc_u32_e32 v74, 4, v74
	s_waitcnt lgkmcnt(19)
	v_dot4c_i32_i8 v117, v84, v76
	s_waitcnt lgkmcnt(12)
	v_dot4c_i32_i8 v119, v92, v76
	;; [unrolled: 2-line block ×4, first 2 shown]
	v_pk_mul_f16 v76, v116, v118
	v_dot4c_i32_i8 v117, v85, v80
	v_dot4c_i32_i8 v119, v93, v80
	;; [unrolled: 1-line block ×4, first 2 shown]
	v_add_nc_u32_e32 v73, 4, v73
	v_dot4c_i32_i8 v117, v86, v77
	s_waitcnt lgkmcnt(8)
	v_dot4c_i32_i8 v119, v98, v77
	s_waitcnt lgkmcnt(7)
	;; [unrolled: 2-line block ×3, first 2 shown]
	v_dot4c_i32_i8 v124, v102, v77
	v_pk_mul_f16 v77, v116, v120
	v_dot4c_i32_i8 v117, v87, v81
	v_dot4c_i32_i8 v119, v99, v81
	;; [unrolled: 1-line block ×4, first 2 shown]
	v_add_nc_u32_e32 v72, 4, v72
	v_dot4c_i32_i8 v117, v88, v78
	s_waitcnt lgkmcnt(5)
	v_dot4c_i32_i8 v119, v104, v78
	s_waitcnt lgkmcnt(3)
	;; [unrolled: 2-line block ×3, first 2 shown]
	v_dot4c_i32_i8 v124, v112, v78
	v_pk_mul_f16 v78, v116, v121
	v_dot4c_i32_i8 v117, v89, v82
	v_dot4c_i32_i8 v119, v105, v82
	;; [unrolled: 1-line block ×4, first 2 shown]
	v_add_nc_u32_e32 v71, 32, v71
	v_dot4c_i32_i8 v117, v90, v79
	v_dot4c_i32_i8 v119, v106, v79
	;; [unrolled: 1-line block ×3, first 2 shown]
	s_waitcnt lgkmcnt(0)
	v_dot4c_i32_i8 v124, v114, v79
	v_pk_mul_f16 v79, v116, v123
	v_dot4c_i32_i8 v117, v91, v83
	v_dot4c_i32_i8 v119, v107, v83
	;; [unrolled: 1-line block ×4, first 2 shown]
	v_add_nc_u32_e32 v5, 32, v5
	v_cvt_f32_i32_e32 v80, v117
	v_cvt_f32_i32_e32 v81, v119
	v_cvt_f32_i32_e32 v82, v122
	v_cvt_f32_i32_e32 v83, v124
	v_add_nc_u32_e32 v4, 4, v4
	v_fma_mix_f32 v76, v76, v80, v76 op_sel:[0,0,1] op_sel_hi:[1,0,1]
	v_fma_mix_f32 v77, v77, v81, v77 op_sel:[0,0,1] op_sel_hi:[1,0,1]
	;; [unrolled: 1-line block ×4, first 2 shown]
	s_add_i32 s1, s1, 4
	v_add_f32_e32 v7, v7, v76
	v_add_f32_e32 v47, v47, v77
	;; [unrolled: 1-line block ×4, first 2 shown]
	s_cmp_lt_u32 s1, 28
	s_cbranch_scc1 .LBB183_19
; %bb.20:                               ;   in Loop: Header=BB183_5 Depth=1
	s_barrier
	buffer_gl0_inv
	s_branch .LBB183_4
.LBB183_21:
	s_mul_i32 s0, s11, s8
	s_waitcnt vmcnt(0)
	v_cmp_gt_i32_e32 vcc_lo, s0, v6
	s_and_saveexec_b32 s0, vcc_lo
	s_cbranch_execz .LBB183_30
; %bb.22:
	v_add_nc_u32_e32 v1, s6, v0
	v_mul_lo_u32 v0, v6, s10
	s_mov_b32 s0, exec_lo
	v_cmpx_gt_u32_e64 s10, v1
	s_cbranch_execz .LBB183_24
; %bb.23:
	v_add_nc_u32_e32 v4, v0, v1
	v_mov_b32_e32 v5, 0
	v_lshlrev_b64 v[4:5], 2, v[4:5]
	v_add_co_u32 v4, vcc_lo, s12, v4
	v_add_co_ci_u32_e64 v5, null, s13, v5, vcc_lo
	global_store_dword v[4:5], v7, off
.LBB183_24:
	s_or_b32 exec_lo, exec_lo, s0
	v_add_nc_u32_e32 v2, 32, v1
	s_mov_b32 s0, exec_lo
	v_cmpx_gt_u32_e64 s10, v2
	s_cbranch_execz .LBB183_26
; %bb.25:
	v_add_nc_u32_e32 v4, v0, v2
	v_mov_b32_e32 v5, 0
	v_lshlrev_b64 v[4:5], 2, v[4:5]
	v_add_co_u32 v4, vcc_lo, s12, v4
	v_add_co_ci_u32_e64 v5, null, s13, v5, vcc_lo
	global_store_dword v[4:5], v47, off
.LBB183_26:
	s_or_b32 exec_lo, exec_lo, s0
	v_add_nc_u32_e32 v2, 64, v1
	;; [unrolled: 13-line block ×3, first 2 shown]
	v_cmp_gt_u32_e32 vcc_lo, s10, v1
	s_and_b32 exec_lo, exec_lo, vcc_lo
	s_cbranch_execz .LBB183_30
; %bb.29:
	v_add_nc_u32_e32 v0, v0, v1
	v_mov_b32_e32 v1, 0
	v_lshlrev_b64 v[0:1], 2, v[0:1]
	v_add_co_u32 v0, vcc_lo, s12, v0
	v_add_co_ci_u32_e64 v1, null, s13, v1, vcc_lo
	global_store_dword v[0:1], v3, off
.LBB183_30:
	s_endpgm
	.section	.rodata,"a",@progbits
	.p2align	6, 0x0
	.amdhsa_kernel _ZL8moe_q5_1IfLb0EEvPKvS1_PT_PKiS5_S5_iiiiiii
		.amdhsa_group_segment_fixed_size 38656
		.amdhsa_private_segment_fixed_size 0
		.amdhsa_kernarg_size 76
		.amdhsa_user_sgpr_count 6
		.amdhsa_user_sgpr_private_segment_buffer 1
		.amdhsa_user_sgpr_dispatch_ptr 0
		.amdhsa_user_sgpr_queue_ptr 0
		.amdhsa_user_sgpr_kernarg_segment_ptr 1
		.amdhsa_user_sgpr_dispatch_id 0
		.amdhsa_user_sgpr_flat_scratch_init 0
		.amdhsa_user_sgpr_private_segment_size 0
		.amdhsa_wavefront_size32 1
		.amdhsa_uses_dynamic_stack 0
		.amdhsa_system_sgpr_private_segment_wavefront_offset 0
		.amdhsa_system_sgpr_workgroup_id_x 1
		.amdhsa_system_sgpr_workgroup_id_y 1
		.amdhsa_system_sgpr_workgroup_id_z 0
		.amdhsa_system_sgpr_workgroup_info 0
		.amdhsa_system_vgpr_workitem_id 1
		.amdhsa_next_free_vgpr 179
		.amdhsa_next_free_sgpr 19
		.amdhsa_reserve_vcc 1
		.amdhsa_reserve_flat_scratch 0
		.amdhsa_float_round_mode_32 0
		.amdhsa_float_round_mode_16_64 0
		.amdhsa_float_denorm_mode_32 3
		.amdhsa_float_denorm_mode_16_64 3
		.amdhsa_dx10_clamp 1
		.amdhsa_ieee_mode 1
		.amdhsa_fp16_overflow 0
		.amdhsa_workgroup_processor_mode 1
		.amdhsa_memory_ordered 1
		.amdhsa_forward_progress 1
		.amdhsa_shared_vgpr_count 0
		.amdhsa_exception_fp_ieee_invalid_op 0
		.amdhsa_exception_fp_denorm_src 0
		.amdhsa_exception_fp_ieee_div_zero 0
		.amdhsa_exception_fp_ieee_overflow 0
		.amdhsa_exception_fp_ieee_underflow 0
		.amdhsa_exception_fp_ieee_inexact 0
		.amdhsa_exception_int_div_zero 0
	.end_amdhsa_kernel
	.section	.text._ZL8moe_q5_1IfLb0EEvPKvS1_PT_PKiS5_S5_iiiiiii,"axG",@progbits,_ZL8moe_q5_1IfLb0EEvPKvS1_PT_PKiS5_S5_iiiiiii,comdat
.Lfunc_end183:
	.size	_ZL8moe_q5_1IfLb0EEvPKvS1_PT_PKiS5_S5_iiiiiii, .Lfunc_end183-_ZL8moe_q5_1IfLb0EEvPKvS1_PT_PKiS5_S5_iiiiiii
                                        ; -- End function
	.set _ZL8moe_q5_1IfLb0EEvPKvS1_PT_PKiS5_S5_iiiiiii.num_vgpr, 179
	.set _ZL8moe_q5_1IfLb0EEvPKvS1_PT_PKiS5_S5_iiiiiii.num_agpr, 0
	.set _ZL8moe_q5_1IfLb0EEvPKvS1_PT_PKiS5_S5_iiiiiii.numbered_sgpr, 19
	.set _ZL8moe_q5_1IfLb0EEvPKvS1_PT_PKiS5_S5_iiiiiii.num_named_barrier, 0
	.set _ZL8moe_q5_1IfLb0EEvPKvS1_PT_PKiS5_S5_iiiiiii.private_seg_size, 0
	.set _ZL8moe_q5_1IfLb0EEvPKvS1_PT_PKiS5_S5_iiiiiii.uses_vcc, 1
	.set _ZL8moe_q5_1IfLb0EEvPKvS1_PT_PKiS5_S5_iiiiiii.uses_flat_scratch, 0
	.set _ZL8moe_q5_1IfLb0EEvPKvS1_PT_PKiS5_S5_iiiiiii.has_dyn_sized_stack, 0
	.set _ZL8moe_q5_1IfLb0EEvPKvS1_PT_PKiS5_S5_iiiiiii.has_recursion, 0
	.set _ZL8moe_q5_1IfLb0EEvPKvS1_PT_PKiS5_S5_iiiiiii.has_indirect_call, 0
	.section	.AMDGPU.csdata,"",@progbits
; Kernel info:
; codeLenInByte = 6304
; TotalNumSgprs: 21
; NumVgprs: 179
; ScratchSize: 0
; MemoryBound: 0
; FloatMode: 240
; IeeeMode: 1
; LDSByteSize: 38656 bytes/workgroup (compile time only)
; SGPRBlocks: 0
; VGPRBlocks: 22
; NumSGPRsForWavesPerEU: 21
; NumVGPRsForWavesPerEU: 179
; Occupancy: 5
; WaveLimiterHint : 1
; COMPUTE_PGM_RSRC2:SCRATCH_EN: 0
; COMPUTE_PGM_RSRC2:USER_SGPR: 6
; COMPUTE_PGM_RSRC2:TRAP_HANDLER: 0
; COMPUTE_PGM_RSRC2:TGID_X_EN: 1
; COMPUTE_PGM_RSRC2:TGID_Y_EN: 1
; COMPUTE_PGM_RSRC2:TGID_Z_EN: 0
; COMPUTE_PGM_RSRC2:TIDIG_COMP_CNT: 1
	.section	.text._ZL8moe_q5_1IfLb1EEvPKvS1_PT_PKiS5_S5_iiiiiii,"axG",@progbits,_ZL8moe_q5_1IfLb1EEvPKvS1_PT_PKiS5_S5_iiiiiii,comdat
	.globl	_ZL8moe_q5_1IfLb1EEvPKvS1_PT_PKiS5_S5_iiiiiii ; -- Begin function _ZL8moe_q5_1IfLb1EEvPKvS1_PT_PKiS5_S5_iiiiiii
	.p2align	8
	.type	_ZL8moe_q5_1IfLb1EEvPKvS1_PT_PKiS5_S5_iiiiiii,@function
_ZL8moe_q5_1IfLb1EEvPKvS1_PT_PKiS5_S5_iiiiiii: ; @_ZL8moe_q5_1IfLb1EEvPKvS1_PT_PKiS5_S5_iiiiiii
; %bb.0:
	s_load_dwordx4 s[0:3], s[4:5], 0x18
	s_mov_b32 s8, s7
	s_mov_b32 s9, 0
	s_lshl_b64 s[10:11], s[8:9], 2
	s_waitcnt lgkmcnt(0)
	s_add_u32 s2, s2, s10
	s_addc_u32 s3, s3, s11
	s_load_dword s2, s[2:3], 0x0
	s_waitcnt lgkmcnt(0)
	s_cmpk_gt_u32 s2, 0xff
	s_cbranch_scc1 .LBB184_30
; %bb.1:
	s_load_dwordx2 s[10:11], s[4:5], 0x28
	s_lshl_b32 s3, s8, 3
	s_waitcnt lgkmcnt(0)
	s_load_dword s7, s[10:11], 0x0
	s_waitcnt lgkmcnt(0)
	s_cmp_gt_u32 s3, s7
	s_cbranch_scc1 .LBB184_30
; %bb.2:
	v_add_nc_u32_e32 v15, s3, v1
	v_mov_b32_e32 v16, 0
	v_lshlrev_b64 v[2:3], 2, v[15:16]
	v_mov_b32_e32 v46, v16
	v_mov_b32_e32 v50, v16
	;; [unrolled: 1-line block ×3, first 2 shown]
	v_add_co_u32 v2, vcc_lo, s0, v2
	v_add_co_ci_u32_e64 v3, null, s1, v3, vcc_lo
	global_load_dword v23, v[2:3], off
	s_clause 0x1
	s_load_dwordx8 s[8:15], s[4:5], 0x30
	s_load_dwordx2 s[16:17], s[4:5], 0x10
	s_waitcnt lgkmcnt(0)
	s_lshl_b32 s15, s6, 7
	s_cmp_lt_i32 s9, 32
	s_cbranch_scc1 .LBB184_21
; %bb.3:
	s_load_dwordx4 s[4:7], s[4:5], 0x0
	s_ashr_i32 s0, s9, 31
	s_ashr_i32 s1, s12, 31
	s_lshr_b32 s0, s0, 27
	s_lshr_b32 s1, s1, 27
	s_add_i32 s0, s9, s0
	s_mul_i32 s2, s2, s8
	s_ashr_i32 s8, s0, 5
	s_add_i32 s0, s12, s1
	s_mul_i32 s1, s8, s15
	s_ashr_i32 s3, s2, 31
	s_ashr_i32 s12, s0, 5
	s_mul_hi_i32 s0, s1, 24
	s_mul_i32 s1, s1, 24
	v_add_nc_u32_e32 v2, 8, v1
	v_add_nc_u32_e32 v3, 16, v1
	;; [unrolled: 1-line block ×4, first 2 shown]
	v_lshlrev_b32_e32 v20, 2, v0
	v_lshlrev_b32_e32 v19, 3, v0
	s_waitcnt lgkmcnt(0)
	s_add_u32 s2, s4, s2
	s_addc_u32 s3, s5, s3
	s_add_u32 s4, s2, s1
	s_addc_u32 s5, s3, s0
	s_abs_i32 s1, s14
	s_not_b32 s0, s15
	v_cvt_f32_u32_e32 v17, s1
	s_add_i32 s0, s10, s0
	v_add_nc_u32_e32 v9, 40, v1
	v_min_i32_e32 v4, s0, v1
	v_min_i32_e32 v5, s0, v2
	v_rcp_iflag_f32_e32 v17, v17
	v_add_nc_u32_e32 v10, 48, v1
	v_min_i32_e32 v6, s0, v3
	v_add_nc_u32_e32 v11, 56, v1
	v_min_i32_e32 v7, s0, v7
	;; [unrolled: 2-line block ×3, first 2 shown]
	v_add_nc_u32_e32 v13, 0x48, v1
	v_mad_u64_u32 v[2:3], null, 0x104, v4, v[19:20]
	v_min_i32_e32 v9, s0, v9
	v_add_nc_u32_e32 v14, 0x50, v1
	v_mul_lo_u32 v27, v4, s8
	v_mad_u64_u32 v[3:4], null, 0x104, v5, v[19:20]
	v_min_i32_e32 v10, s0, v10
	v_add_nc_u32_e32 v15, 0x58, v1
	v_mul_lo_u32 v28, v5, s8
	v_mad_u64_u32 v[4:5], null, 0x104, v6, v[19:20]
	v_min_i32_e32 v11, s0, v11
	v_add_nc_u32_e32 v16, 0x60, v1
	v_mul_f32_e32 v17, 0x4f7ffffe, v17
	v_mul_lo_u32 v29, v6, s8
	v_mad_u64_u32 v[5:6], null, 0x104, v7, v[19:20]
	v_min_i32_e32 v12, s0, v12
	v_add_nc_u32_e32 v18, 0x68, v1
	v_mul_lo_u32 v30, v7, s8
	v_mad_u64_u32 v[6:7], null, 0x104, v8, v[19:20]
	v_min_i32_e32 v13, s0, v13
	v_mul_lo_u32 v31, v8, s8
	v_mad_u64_u32 v[7:8], null, 0x104, v9, v[19:20]
	v_min_i32_e32 v14, s0, v14
	v_lshrrev_b32_e32 v40, 3, v0
	v_mul_lo_u32 v32, v9, s8
	v_mad_u64_u32 v[8:9], null, 0x104, v10, v[19:20]
	v_min_i32_e32 v15, s0, v15
	v_mul_lo_u32 v33, v10, s8
	v_mad_u64_u32 v[9:10], null, 0x104, v11, v[19:20]
	v_min_i32_e32 v16, s0, v16
	v_cvt_u32_f32_e32 v47, v17
	v_mul_lo_u32 v34, v11, s8
	v_mad_u64_u32 v[10:11], null, 0x104, v12, v[19:20]
	v_min_i32_e32 v18, s0, v18
	v_add_nc_u32_e32 v21, 0x70, v1
	v_mul_lo_u32 v35, v12, s8
	v_mad_u64_u32 v[11:12], null, 0x104, v13, v[19:20]
	v_add_nc_u32_e32 v22, 0x78, v1
	v_mul_lo_u32 v36, v13, s8
	v_mad_u64_u32 v[12:13], null, 0x104, v14, v[19:20]
	v_lshl_add_u32 v46, v1, 2, v40
	s_sub_i32 s2, 0, s1
	v_mul_lo_u32 v37, v14, s8
	v_mad_u64_u32 v[13:14], null, 0x104, v15, v[19:20]
	v_mul_lo_u32 v38, v15, s8
	v_mad_u64_u32 v[14:15], null, 0x104, v16, v[19:20]
	v_mul_lo_u32 v45, s2, v47
	v_mul_lo_u32 v39, v16, s8
	v_min_i32_e32 v21, s0, v21
	v_mad_u64_u32 v[15:16], null, 0x104, v18, v[19:20]
	v_min_i32_e32 v16, s0, v22
	v_add_nc_u32_e32 v48, 32, v46
	v_mul_lo_u32 v41, v18, s8
	v_mad_u64_u32 v[17:18], null, 0x104, v21, v[19:20]
	v_mad_u64_u32 v[18:19], null, 0x104, v16, v[19:20]
	v_min_i32_e32 v19, s0, v48
	v_mul_hi_u32 v48, v47, v45
	s_waitcnt vmcnt(0)
	v_sub_nc_u32_e32 v49, 0, v23
	v_min_i32_e32 v22, s0, v46
	v_mul_lo_u32 v42, v21, s8
	v_mul_lo_u32 v43, v16, s8
	v_ashrrev_i32_e32 v50, 31, v19
	v_max_i32_e32 v49, v23, v49
	v_ashrrev_i32_e32 v21, 31, v22
	v_add_nc_u32_e32 v47, v47, v48
	v_and_b32_e32 v44, 7, v0
	v_lshrrev_b32_e32 v48, 30, v50
	v_lshlrev_b32_e32 v68, 5, v19
	v_lshrrev_b32_e32 v16, 30, v21
	v_mul_hi_u32 v52, v49, v47
	v_add_nc_u32_e32 v21, 64, v46
	v_add_nc_u32_e32 v46, 0x60, v46
	;; [unrolled: 1-line block ×3, first 2 shown]
	v_lshlrev_b32_e32 v51, 2, v44
	v_add_nc_u32_e32 v16, v22, v16
	v_min_i32_e32 v21, s0, v21
	v_min_i32_e32 v46, s0, v46
	v_mul_lo_u32 v53, v52, s1
	v_add_nc_u32_e32 v58, 64, v0
	v_and_b32_e32 v16, -4, v16
	v_ashrrev_i32_e32 v50, 31, v21
	v_ashrrev_i32_e32 v54, 31, v46
	v_add_nc_u32_e32 v59, 0x60, v0
	v_and_b32_e32 v26, 12, v20
	v_add3_u32 v16, v16, v51, 0x8200
	v_lshrrev_b32_e32 v48, 30, v50
	v_sub_nc_u32_e32 v53, v49, v53
	v_and_b32_e32 v50, -4, v47
	v_mul_lo_u32 v47, v19, s8
	v_lshrrev_b32_e32 v19, 30, v54
	v_add_nc_u32_e32 v48, v21, v48
	v_add_nc_u32_e32 v49, 1, v52
	v_subrev_nc_u32_e32 v54, s1, v53
	v_cmp_le_u32_e32 vcc_lo, s1, v53
	v_add_nc_u32_e32 v19, v46, v19
	v_and_b32_e32 v55, -4, v48
	v_add3_u32 v50, v50, v51, 0x8200
	v_and_b32_e32 v57, 28, v20
	v_cndmask_b32_e32 v52, v52, v49, vcc_lo
	v_cndmask_b32_e32 v53, v53, v54, vcc_lo
	v_add3_u32 v69, v55, v51, 0x8200
	v_xor_b32_e32 v55, s14, v23
	v_and_b32_e32 v19, -4, v19
	v_add_nc_u32_e32 v54, 1, v52
	v_cmp_le_u32_e32 vcc_lo, s1, v53
	v_lshlrev_b32_e32 v60, 5, v0
	v_ashrrev_i32_e32 v55, 31, v55
	v_add3_u32 v70, v19, v51, 0x8200
	v_and_b32_e32 v19, 31, v0
	v_cndmask_b32_e32 v52, v52, v54, vcc_lo
	v_lshl_add_u32 v51, v1, 7, 0x9280
	v_lshl_add_u32 v1, v1, 4, 0x9680
	v_and_b32_e32 v59, 0x1fc, v59
	v_and_b32_e32 v58, 0x1fc, v58
	v_xor_b32_e32 v54, v52, v55
	v_lshl_or_b32 v52, v19, 2, v51
	v_add_nc_u32_e32 v19, 32, v0
	v_add_nc_u32_e32 v53, v1, v20
	v_and_b32_e32 v62, 0xfc, v0
	v_sub_nc_u32_e32 v20, v54, v55
	v_mul_lo_u32 v45, v22, s8
	v_and_b32_e32 v61, 0x1fc, v19
	v_lshlrev_b32_e32 v22, 5, v22
	v_mul_lo_u32 v48, v21, s8
	v_mul_lo_u32 v56, v20, s12
	v_lshlrev_b32_e32 v21, 5, v21
	v_mul_lo_u32 v49, v46, s8
	v_lshlrev_b32_e32 v46, 5, v46
	v_add_nc_u32_e32 v63, v60, v59
	v_add_nc_u32_e32 v64, v60, v58
	;; [unrolled: 1-line block ×4, first 2 shown]
	v_lshrrev_b32_e32 v55, 3, v19
	v_add_co_u32 v19, s1, s6, v57
	v_cmp_gt_u32_e32 vcc_lo, 4, v0
	v_cmp_gt_i32_e64 s0, s11, v20
	v_add_co_ci_u32_e64 v20, null, s7, 0, s1
	s_movk_i32 s1, 0x80
	v_lshrrev_b32_e32 v25, 2, v0
	v_mov_b32_e32 v24, 0
	v_mul_u32_u24_e32 v54, 0x104, v0
	v_ashrrev_i32_e32 v57, 31, v56
	v_add_nc_u32_e32 v58, 0x8e00, v63
	v_add_nc_u32_e32 v59, 0x8a00, v64
	;; [unrolled: 1-line block ×8, first 2 shown]
	v_mad_u32_u24 v66, 0x104, v0, s1
	v_add_nc_u32_e32 v67, v16, v22
	v_add_nc_u32_e32 v68, v50, v68
	;; [unrolled: 1-line block ×4, first 2 shown]
	v_mov_b32_e32 v50, 0
	v_mov_b32_e32 v46, 0
	;; [unrolled: 1-line block ×3, first 2 shown]
	s_mov_b32 s10, 0
	s_and_b32 s18, vcc_lo, s0
	s_branch .LBB184_5
.LBB184_4:                              ;   in Loop: Header=BB184_5 Depth=1
	s_add_i32 s10, s10, 8
	s_cmp_ge_i32 s10, s8
	s_cbranch_scc1 .LBB184_21
.LBB184_5:                              ; =>This Loop Header: Depth=1
                                        ;     Child Loop BB184_11 Depth 2
                                        ;     Child Loop BB184_19 Depth 2
	s_mul_i32 s1, s10, 24
	s_mul_hi_u32 s3, s10, 24
	s_add_u32 s2, s4, s1
	s_addc_u32 s3, s5, s3
	v_mad_u64_u32 v[21:22], null, v25, 24, s[2:3]
	v_mad_i64_i32 v[71:72], null, v27, 24, v[21:22]
	v_mad_i64_i32 v[73:74], null, v28, 24, v[21:22]
	;; [unrolled: 1-line block ×4, first 2 shown]
	s_clause 0x1
	global_load_dword v92, v[73:74], off offset:4
	global_load_dword v93, v[71:72], off offset:4
	v_add_co_u32 v71, s1, v71, v26
	v_add_co_ci_u32_e64 v72, null, 0, v72, s1
	v_add_co_u32 v73, s1, v73, v26
	v_mad_i64_i32 v[79:80], null, v31, 24, v[21:22]
	v_mad_i64_i32 v[81:82], null, v32, 24, v[21:22]
	v_add_co_ci_u32_e64 v74, null, 0, v74, s1
	v_mad_i64_i32 v[83:84], null, v33, 24, v[21:22]
	v_mad_i64_i32 v[85:86], null, v34, 24, v[21:22]
	;; [unrolled: 1-line block ×4, first 2 shown]
	s_clause 0x9
	global_load_dword v94, v[75:76], off offset:4
	global_load_dword v95, v[77:78], off offset:4
	;; [unrolled: 1-line block ×10, first 2 shown]
	v_add_co_u32 v71, s1, v75, v26
	v_add_co_ci_u32_e64 v72, null, 0, v76, s1
	v_add_co_u32 v73, s1, v77, v26
	v_add_co_ci_u32_e64 v74, null, 0, v78, s1
	global_load_dword v104, v[71:72], off offset:8
	v_mad_i64_i32 v[76:77], null, v38, 24, v[21:22]
	global_load_dword v105, v[73:74], off offset:8
	v_add_co_u32 v71, s1, v79, v26
	v_add_co_ci_u32_e64 v72, null, 0, v80, s1
	v_add_co_u32 v73, s1, v81, v26
	v_add_co_ci_u32_e64 v74, null, 0, v82, s1
	global_load_dword v106, v[71:72], off offset:8
	v_mad_i64_i32 v[78:79], null, v39, 24, v[21:22]
	global_load_dword v107, v[73:74], off offset:8
	v_add_co_u32 v71, s1, v83, v26
	v_add_co_ci_u32_e64 v72, null, 0, v84, s1
	v_add_co_u32 v73, s1, v85, v26
	v_add_co_ci_u32_e64 v74, null, 0, v86, s1
	s_clause 0x1
	global_load_dword v108, v[71:72], off offset:8
	global_load_dword v109, v[73:74], off offset:8
	v_add_co_u32 v71, s1, v87, v26
	v_add_co_ci_u32_e64 v72, null, 0, v88, s1
	global_load_dword v111, v[78:79], off offset:4
	v_mad_i64_i32 v[82:83], null, v43, 24, v[21:22]
	global_load_dword v110, v[71:72], off offset:8
	v_add_co_u32 v71, s1, v89, v26
	v_add_co_ci_u32_e64 v72, null, 0, v90, s1
	v_mad_i64_i32 v[84:85], null, v42, 24, v[21:22]
	v_mad_i64_i32 v[80:81], null, v41, 24, v[21:22]
	global_load_dword v75, v[71:72], off offset:8
	v_mad_i64_i32 v[71:72], null, v37, 24, v[21:22]
	global_load_dword v74, v[71:72], off offset:4
	v_add_co_u32 v71, s1, v71, v26
	v_add_co_ci_u32_e64 v72, null, 0, v72, s1
	s_clause 0x1
	global_load_dword v73, v[71:72], off offset:8
	global_load_dword v72, v[76:77], off offset:4
	v_add_co_u32 v76, s1, v76, v26
	v_add_co_ci_u32_e64 v77, null, 0, v77, s1
	v_add_co_u32 v78, s1, v78, v26
	v_add_co_ci_u32_e64 v79, null, 0, v79, s1
	s_clause 0x4
	global_load_dword v71, v[76:77], off offset:8
	global_load_dword v112, v[82:83], off offset:4
	global_load_dword v113, v[84:85], off offset:4
	global_load_dword v114, v[78:79], off offset:8
	global_load_dword v115, v[80:81], off offset:4
	v_mad_u64_u32 v[76:77], null, v44, 24, s[2:3]
	v_add_co_u32 v78, s1, v80, v26
	v_add_co_u32 v80, s2, v84, v26
	;; [unrolled: 1-line block ×3, first 2 shown]
	v_mad_i64_i32 v[21:22], null, v45, 24, v[76:77]
	v_mad_i64_i32 v[88:89], null, v48, 24, v[76:77]
	v_mad_i64_i32 v[86:87], null, v47, 24, v[76:77]
	v_mad_i64_i32 v[90:91], null, v49, 24, v[76:77]
	v_add_co_ci_u32_e64 v79, null, 0, v81, s1
	v_add_co_ci_u32_e64 v81, null, 0, v85, s2
	;; [unrolled: 1-line block ×3, first 2 shown]
	s_clause 0x6
	global_load_dword v22, v[21:22], off
	global_load_dword v21, v[86:87], off
	global_load_dword v76, v[88:89], off
	global_load_dword v77, v[90:91], off
	global_load_dword v78, v[78:79], off offset:8
	global_load_dword v79, v[80:81], off offset:8
	;; [unrolled: 1-line block ×3, first 2 shown]
	s_lshl_b32 s2, s10, 5
	s_cmp_lt_i32 s2, s9
	s_waitcnt vmcnt(35)
	v_ashrrev_i32_e32 v82, v26, v92
	s_waitcnt vmcnt(34)
	v_ashrrev_i32_e32 v81, v26, v93
	v_lshrrev_b32_e32 v116, 12, v82
	v_lshlrev_b32_e32 v91, 4, v81
	v_lshlrev_b32_e32 v92, 11, v81
	v_lshrrev_b32_e32 v117, 5, v82
	v_lshlrev_b32_e32 v93, 18, v81
	v_lshlrev_b32_e32 v118, 2, v82
	v_and_b32_e32 v91, 16, v91
	v_and_b32_e32 v92, 0x1000, v92
	;; [unrolled: 1-line block ×4, first 2 shown]
	s_waitcnt vmcnt(33)
	v_ashrrev_i32_e32 v83, v26, v94
	s_waitcnt vmcnt(32)
	v_ashrrev_i32_e32 v84, v26, v95
	;; [unrolled: 2-line block ×6, first 2 shown]
	v_lshlrev_b32_e32 v98, 4, v82
	v_lshlrev_b32_e32 v99, 11, v82
	;; [unrolled: 1-line block ×4, first 2 shown]
	s_waitcnt vmcnt(24)
	v_and_b32_e32 v158, 0xf0f0f0f, v103
	v_and_b32_e32 v98, 16, v98
	;; [unrolled: 1-line block ×3, first 2 shown]
	v_lshlrev_b32_e32 v133, 4, v85
	v_lshlrev_b32_e32 v134, 11, v85
	v_and_b32_e32 v126, 16, v126
	v_and_b32_e32 v127, 0x1000, v127
	v_or3_b32 v98, v98, v158, v99
	v_and_b32_e32 v156, 0xf0f0f0f, v102
	v_lshrrev_b32_e32 v95, 12, v81
	v_lshrrev_b32_e32 v96, 5, v81
	s_waitcnt vmcnt(22)
	v_and_b32_e32 v99, 0xf0f0f0f, v105
	v_lshrrev_b32_e32 v102, 4, v102
	v_lshrrev_b32_e32 v103, 4, v103
	v_lshlrev_b32_e32 v119, 4, v83
	v_lshlrev_b32_e32 v120, 11, v83
	v_or3_b32 v99, v126, v99, v127
	v_and_b32_e32 v127, 16, v133
	v_and_b32_e32 v133, 0x1000, v134
	v_lshrrev_b32_e32 v123, 12, v83
	s_waitcnt vmcnt(21)
	v_and_b32_e32 v126, 0xf0f0f0f, v106
	v_lshrrev_b32_e32 v124, 5, v83
	v_or3_b32 v91, v91, v156, v92
	v_and_b32_e32 v156, 0xf0f0f0f, v104
	v_lshrrev_b32_e32 v104, 4, v104
	v_lshrrev_b32_e32 v130, 12, v84
	;; [unrolled: 1-line block ×7, first 2 shown]
	v_lshlrev_b32_e32 v94, 25, v81
	v_lshlrev_b32_e32 v97, 2, v81
	v_lshlrev_b32_e32 v81, 9, v81
	v_lshlrev_b32_e32 v140, 4, v86
	v_lshlrev_b32_e32 v141, 11, v86
	v_lshrrev_b32_e32 v144, 12, v86
	v_lshrrev_b32_e32 v145, 5, v86
	v_lshlrev_b32_e32 v147, 4, v87
	v_lshlrev_b32_e32 v148, 11, v87
	v_lshrrev_b32_e32 v151, 12, v87
	v_lshrrev_b32_e32 v152, 5, v87
	s_waitcnt vmcnt(20)
	v_and_b32_e32 v134, 0xf0f0f0f, v107
	v_or3_b32 v126, v127, v126, v133
	s_waitcnt vmcnt(19)
	v_and_b32_e32 v133, 0xf0f0f0f, v108
	v_and_b32_e32 v95, 16, v95
	;; [unrolled: 1-line block ×4, first 2 shown]
	v_lshrrev_b32_e32 v107, 4, v107
	v_lshrrev_b32_e32 v108, 4, v108
	v_ashrrev_i32_e32 v89, v26, v100
	v_ashrrev_i32_e32 v90, v26, v101
	v_lshlrev_b32_e32 v100, 18, v82
	v_lshlrev_b32_e32 v101, 25, v82
	v_lshlrev_b32_e32 v82, 9, v82
	v_and_b32_e32 v103, 0xf0f0f0f, v103
	v_lshlrev_b32_e32 v121, 18, v83
	v_lshlrev_b32_e32 v122, 25, v83
	;; [unrolled: 1-line block ×4, first 2 shown]
	v_and_b32_e32 v119, 16, v119
	v_and_b32_e32 v120, 0x1000, v120
	;; [unrolled: 1-line block ×5, first 2 shown]
	v_lshlrev_b32_e32 v128, 18, v84
	v_lshlrev_b32_e32 v129, 25, v84
	;; [unrolled: 1-line block ×4, first 2 shown]
	v_and_b32_e32 v130, 16, v130
	v_and_b32_e32 v131, 0x1000, v131
	;; [unrolled: 1-line block ×3, first 2 shown]
	v_lshlrev_b32_e32 v135, 18, v85
	v_lshlrev_b32_e32 v136, 25, v85
	;; [unrolled: 1-line block ×4, first 2 shown]
	v_and_b32_e32 v137, 16, v137
	v_and_b32_e32 v138, 0x1000, v138
	;; [unrolled: 1-line block ×3, first 2 shown]
	v_lshlrev_b32_e32 v142, 18, v86
	v_lshlrev_b32_e32 v143, 25, v86
	;; [unrolled: 1-line block ×10, first 2 shown]
	v_and_b32_e32 v140, 16, v140
	v_and_b32_e32 v141, 0x1000, v141
	;; [unrolled: 1-line block ×4, first 2 shown]
	v_or3_b32 v95, v95, v102, v96
	v_and_b32_e32 v93, 0x100000, v93
	v_and_b32_e32 v94, 0x10000000, v94
	;; [unrolled: 1-line block ×14, first 2 shown]
	v_or3_b32 v103, v116, v103, v117
	v_or3_b32 v119, v119, v156, v120
	v_and_b32_e32 v121, 0x100000, v121
	v_and_b32_e32 v122, 0x10000000, v122
	v_and_b32_e32 v125, 0x100000, v125
	v_and_b32_e32 v83, 0x10000000, v83
	v_or3_b32 v104, v123, v104, v124
	v_and_b32_e32 v128, 0x100000, v128
	v_and_b32_e32 v129, 0x10000000, v129
	v_and_b32_e32 v132, 0x100000, v132
	v_and_b32_e32 v84, 0x10000000, v84
	;; [unrolled: 5-line block ×3, first 2 shown]
	v_or3_b32 v106, v137, v106, v138
	v_lshlrev_b32_e32 v127, 4, v89
	v_or3_b32 v134, v140, v134, v141
	v_lshlrev_b32_e32 v140, 11, v89
	s_waitcnt vmcnt(18)
	v_and_b32_e32 v141, 0xf0f0f0f, v109
	v_and_b32_e32 v154, 16, v154
	;; [unrolled: 1-line block ×3, first 2 shown]
	v_or3_b32 v133, v147, v133, v148
	v_lshlrev_b32_e32 v96, 4, v90
	v_lshlrev_b32_e32 v102, 11, v90
	v_and_b32_e32 v142, 0x100000, v142
	v_and_b32_e32 v143, 0x10000000, v143
	;; [unrolled: 1-line block ×8, first 2 shown]
	v_or3_b32 v107, v144, v107, v145
	v_or3_b32 v108, v151, v108, v152
	;; [unrolled: 1-line block ×12, first 2 shown]
	v_lshrrev_b32_e32 v158, 12, v88
	v_lshrrev_b32_e32 v120, 5, v88
	v_or3_b32 v141, v154, v141, v155
	s_waitcnt vmcnt(16)
	v_and_b32_e32 v154, 0xf0f0f0f, v110
	v_and_b32_e32 v127, 16, v127
	;; [unrolled: 1-line block ×3, first 2 shown]
	v_lshrrev_b32_e32 v109, 4, v109
	v_or3_b32 v100, v134, v142, v143
	v_or3_b32 v101, v133, v149, v150
	;; [unrolled: 1-line block ×4, first 2 shown]
	ds_write2_b32 v2, v91, v81 offset1:1
	ds_write2_b32 v3, v93, v82 offset1:1
	;; [unrolled: 1-line block ×7, first 2 shown]
	s_waitcnt vmcnt(15)
	v_and_b32_e32 v81, 0xf0f0f0f, v75
	v_and_b32_e32 v82, 16, v96
	v_and_b32_e32 v83, 0x1000, v102
	v_lshlrev_b32_e32 v157, 18, v88
	v_lshlrev_b32_e32 v92, 25, v88
	;; [unrolled: 1-line block ×4, first 2 shown]
	v_lshrrev_b32_e32 v155, 12, v89
	v_or3_b32 v127, v127, v154, v140
	v_lshrrev_b32_e32 v140, 5, v89
	v_lshrrev_b32_e32 v110, 4, v110
	v_and_b32_e32 v158, 16, v158
	v_and_b32_e32 v120, 0x1000, v120
	;; [unrolled: 1-line block ×3, first 2 shown]
	v_or3_b32 v81, v82, v81, v83
	v_lshrrev_b32_e32 v75, 4, v75
	v_lshrrev_b32_e32 v82, 12, v90
	;; [unrolled: 1-line block ×3, first 2 shown]
	v_lshlrev_b32_e32 v147, 18, v89
	v_lshlrev_b32_e32 v148, 25, v89
	;; [unrolled: 1-line block ×4, first 2 shown]
	v_and_b32_e32 v157, 0x100000, v157
	v_and_b32_e32 v92, 0x10000000, v92
	;; [unrolled: 1-line block ×7, first 2 shown]
	v_or3_b32 v109, v158, v109, v120
	v_and_b32_e32 v75, 0xf0f0f0f, v75
	v_and_b32_e32 v82, 16, v82
	v_and_b32_e32 v83, 0x1000, v83
	s_waitcnt vmcnt(14)
	v_ashrrev_i32_e32 v74, v26, v74
	v_and_b32_e32 v147, 0x100000, v147
	v_and_b32_e32 v148, 0x10000000, v148
	;; [unrolled: 1-line block ×4, first 2 shown]
	v_or3_b32 v110, v155, v110, v140
	v_or3_b32 v92, v141, v157, v92
	;; [unrolled: 1-line block ×4, first 2 shown]
	v_lshlrev_b32_e32 v82, 4, v74
	v_lshlrev_b32_e32 v83, 11, v74
	v_or3_b32 v84, v127, v147, v148
	ds_write2_b32 v9, v92, v88 offset1:1
	v_or3_b32 v85, v110, v154, v89
	v_lshlrev_b32_e32 v86, 18, v90
	v_lshlrev_b32_e32 v87, 25, v90
	;; [unrolled: 1-line block ×4, first 2 shown]
	s_waitcnt vmcnt(13)
	v_and_b32_e32 v90, 0xf0f0f0f, v73
	v_and_b32_e32 v82, 16, v82
	;; [unrolled: 1-line block ×3, first 2 shown]
	ds_write2_b32 v10, v84, v85 offset1:1
	v_lshrrev_b32_e32 v73, 4, v73
	v_lshrrev_b32_e32 v85, 5, v74
	v_and_b32_e32 v86, 0x100000, v86
	v_or3_b32 v82, v82, v90, v83
	v_lshrrev_b32_e32 v83, 12, v74
	v_and_b32_e32 v87, 0x10000000, v87
	v_and_b32_e32 v73, 0xf0f0f0f, v73
	;; [unrolled: 1-line block ×3, first 2 shown]
	s_waitcnt vmcnt(12)
	v_ashrrev_i32_e32 v72, v26, v72
	v_and_b32_e32 v83, 16, v83
	v_and_b32_e32 v88, 0x100000, v88
	;; [unrolled: 1-line block ×3, first 2 shown]
	v_or3_b32 v81, v81, v86, v87
	v_lshlrev_b32_e32 v84, 18, v74
	v_lshlrev_b32_e32 v86, 25, v74
	v_or3_b32 v73, v83, v73, v85
	v_lshlrev_b32_e32 v83, 4, v72
	v_lshlrev_b32_e32 v85, 11, v72
	v_or3_b32 v75, v75, v88, v89
	v_and_b32_e32 v84, 0x100000, v84
	v_and_b32_e32 v86, 0x10000000, v86
	s_waitcnt vmcnt(11)
	v_and_b32_e32 v88, 0xf0f0f0f, v71
	v_and_b32_e32 v83, 16, v83
	;; [unrolled: 1-line block ×3, first 2 shown]
	v_lshlrev_b32_e32 v87, 2, v74
	v_lshlrev_b32_e32 v74, 9, v74
	ds_write2_b32 v11, v81, v75 offset1:1
	v_or3_b32 v75, v82, v84, v86
	v_or3_b32 v81, v83, v88, v85
	v_lshrrev_b32_e32 v71, 4, v71
	v_lshrrev_b32_e32 v82, 12, v72
	;; [unrolled: 1-line block ×3, first 2 shown]
	v_and_b32_e32 v87, 0x100000, v87
	v_and_b32_e32 v74, 0x10000000, v74
	;; [unrolled: 1-line block ×5, first 2 shown]
	v_ashrrev_i32_e32 v85, v26, v111
	v_or3_b32 v73, v73, v87, v74
	v_lshlrev_b32_e32 v74, 18, v72
	v_lshlrev_b32_e32 v84, 25, v72
	v_or3_b32 v71, v82, v71, v83
	v_lshlrev_b32_e32 v82, 4, v85
	v_lshlrev_b32_e32 v83, 11, v85
	v_and_b32_e32 v74, 0x100000, v74
	v_and_b32_e32 v84, 0x10000000, v84
	s_waitcnt vmcnt(8)
	v_and_b32_e32 v87, 0xf0f0f0f, v114
	v_and_b32_e32 v82, 16, v82
	;; [unrolled: 1-line block ×3, first 2 shown]
	v_lshlrev_b32_e32 v86, 2, v72
	v_lshlrev_b32_e32 v72, 9, v72
	ds_write2_b32 v12, v75, v73 offset1:1
	v_or3_b32 v73, v81, v74, v84
	v_or3_b32 v74, v82, v87, v83
	v_lshrrev_b32_e32 v75, 4, v114
	v_lshrrev_b32_e32 v81, 12, v85
	;; [unrolled: 1-line block ×3, first 2 shown]
	v_and_b32_e32 v86, 0x100000, v86
	v_and_b32_e32 v72, 0x10000000, v72
	;; [unrolled: 1-line block ×5, first 2 shown]
	s_waitcnt vmcnt(7)
	v_ashrrev_i32_e32 v84, v26, v115
	v_or3_b32 v71, v71, v86, v72
	v_lshlrev_b32_e32 v72, 18, v85
	v_lshlrev_b32_e32 v83, 25, v85
	;; [unrolled: 1-line block ×4, first 2 shown]
	v_or3_b32 v75, v81, v75, v82
	v_lshlrev_b32_e32 v81, 4, v84
	v_lshlrev_b32_e32 v82, 11, v84
	v_and_b32_e32 v72, 0x100000, v72
	v_and_b32_e32 v83, 0x10000000, v83
	;; [unrolled: 1-line block ×4, first 2 shown]
	s_waitcnt vmcnt(2)
	v_and_b32_e32 v87, 0xf0f0f0f, v78
	v_and_b32_e32 v81, 16, v81
	;; [unrolled: 1-line block ×3, first 2 shown]
	v_lshlrev_b32_e32 v88, 18, v84
	v_lshlrev_b32_e32 v89, 25, v84
	v_or3_b32 v72, v74, v72, v83
	v_or3_b32 v74, v75, v86, v85
	;; [unrolled: 1-line block ×3, first 2 shown]
	v_and_b32_e32 v81, 0x100000, v88
	v_and_b32_e32 v82, 0x10000000, v89
	v_lshrrev_b32_e32 v83, 12, v84
	v_lshrrev_b32_e32 v85, 5, v84
	v_ashrrev_i32_e32 v86, v26, v113
	v_lshrrev_b32_e32 v78, 4, v78
	v_or3_b32 v75, v75, v81, v82
	v_and_b32_e32 v81, 16, v83
	v_and_b32_e32 v82, 0x1000, v85
	v_lshlrev_b32_e32 v83, 4, v86
	v_lshlrev_b32_e32 v85, 11, v86
	s_waitcnt vmcnt(1)
	v_and_b32_e32 v88, 0xf0f0f0f, v79
	v_and_b32_e32 v78, 0xf0f0f0f, v78
	v_lshlrev_b32_e32 v87, 2, v84
	v_and_b32_e32 v83, 16, v83
	v_and_b32_e32 v85, 0x1000, v85
	v_lshrrev_b32_e32 v79, 4, v79
	v_or3_b32 v78, v81, v78, v82
	v_and_b32_e32 v81, 0x100000, v87
	v_lshrrev_b32_e32 v87, 5, v86
	v_or3_b32 v83, v83, v88, v85
	v_ashrrev_i32_e32 v88, v26, v112
	v_lshrrev_b32_e32 v85, 12, v86
	v_and_b32_e32 v79, 0xf0f0f0f, v79
	v_and_b32_e32 v87, 0x1000, v87
	s_waitcnt vmcnt(0)
	v_and_b32_e32 v93, 0xf0f0f0f, v80
	v_lshlrev_b32_e32 v90, 4, v88
	v_lshlrev_b32_e32 v91, 11, v88
	v_and_b32_e32 v85, 16, v85
	v_lshlrev_b32_e32 v84, 9, v84
	v_lshlrev_b32_e32 v89, 18, v86
	v_and_b32_e32 v90, 16, v90
	v_and_b32_e32 v91, 0x1000, v91
	v_lshlrev_b32_e32 v92, 2, v86
	v_or3_b32 v79, v85, v79, v87
	v_lshrrev_b32_e32 v80, 4, v80
	v_and_b32_e32 v82, 0x10000000, v84
	v_or3_b32 v87, v90, v93, v91
	v_lshrrev_b32_e32 v90, 12, v88
	v_lshrrev_b32_e32 v91, 5, v88
	v_and_b32_e32 v84, 0x100000, v89
	v_lshlrev_b32_e32 v89, 25, v86
	v_lshlrev_b32_e32 v86, 9, v86
	v_and_b32_e32 v85, 0x100000, v92
	v_lshlrev_b32_e32 v92, 18, v88
	v_lshlrev_b32_e32 v93, 25, v88
	v_and_b32_e32 v80, 0xf0f0f0f, v80
	v_and_b32_e32 v90, 16, v90
	;; [unrolled: 1-line block ×3, first 2 shown]
	v_lshlrev_b32_e32 v94, 2, v88
	v_lshlrev_b32_e32 v88, 9, v88
	v_and_b32_e32 v89, 0x10000000, v89
	v_and_b32_e32 v86, 0x10000000, v86
	;; [unrolled: 1-line block ×4, first 2 shown]
	v_or3_b32 v80, v90, v80, v91
	v_and_b32_e32 v90, 0x100000, v94
	v_and_b32_e32 v88, 0x10000000, v88
	v_or3_b32 v78, v78, v81, v82
	v_or3_b32 v81, v83, v84, v89
	;; [unrolled: 1-line block ×5, first 2 shown]
	ds_write2_b32 v13, v73, v71 offset1:1
	ds_write2_b32 v14, v72, v74 offset1:1
	;; [unrolled: 1-line block ×5, first 2 shown]
	ds_write_b32 v67, v22
	ds_write_b32 v68, v21
	;; [unrolled: 1-line block ×4, first 2 shown]
	s_cbranch_scc0 .LBB184_4
; %bb.6:                                ;   in Loop: Header=BB184_5 Depth=1
	v_add_nc_u32_e32 v21, s10, v40
	v_cmp_gt_i32_e64 s1, s12, v21
	s_and_b32 s3, s0, s1
	s_and_saveexec_b32 s1, s3
	s_cbranch_execz .LBB184_8
; %bb.7:                                ;   in Loop: Header=BB184_5 Depth=1
	v_add_nc_u32_e32 v21, v56, v21
	v_mad_i64_i32 v[21:22], null, v21, 36, v[19:20]
	global_load_dword v21, v[21:22], off offset:4
	s_waitcnt vmcnt(0)
	ds_write_b32 v52, v21
.LBB184_8:                              ;   in Loop: Header=BB184_5 Depth=1
	s_or_b32 exec_lo, exec_lo, s1
	v_add_nc_u32_e32 v21, s10, v0
	v_cmp_gt_i32_e64 s1, s12, v21
	s_and_b32 s3, s18, s1
	s_and_saveexec_b32 s1, s3
	s_cbranch_execz .LBB184_10
; %bb.9:                                ;   in Loop: Header=BB184_5 Depth=1
	v_add_nc_u32_e32 v22, v56, v21
	v_mad_i64_i32 v[71:72], null, v22, 36, s[6:7]
	global_load_dword v22, v[71:72], off
	s_waitcnt vmcnt(0)
	ds_write_b32 v53, v22
.LBB184_10:                             ;   in Loop: Header=BB184_5 Depth=1
	s_or_b32 exec_lo, exec_lo, s1
	v_mov_b32_e32 v22, v51
	v_mov_b32_e32 v71, v54
	;; [unrolled: 1-line block ×7, first 2 shown]
	s_mov_b32 s1, -4
	s_waitcnt lgkmcnt(0)
	s_barrier
	buffer_gl0_inv
.LBB184_11:                             ;   Parent Loop BB184_5 Depth=1
                                        ; =>  This Inner Loop Header: Depth=2
	v_add_nc_u32_e32 v93, 0x2080, v71
	v_add_nc_u32_e32 v95, 0x4100, v71
	;; [unrolled: 1-line block ×3, first 2 shown]
	ds_read_b128 v[77:80], v22
	ds_read_b128 v[81:84], v22 offset:16
	ds_read2_b32 v[85:86], v71 offset1:1
	ds_read2_b32 v[87:88], v71 offset0:2 offset1:3
	ds_read2_b32 v[89:90], v71 offset0:4 offset1:5
	;; [unrolled: 1-line block ×3, first 2 shown]
	ds_read_b32 v119, v72
	ds_read_b32 v120, v73
	;; [unrolled: 1-line block ×4, first 2 shown]
	ds_read2_b32 v[93:94], v93 offset1:1
	ds_read2_b32 v[95:96], v95 offset1:1
	;; [unrolled: 1-line block ×3, first 2 shown]
	ds_read_b32 v124, v76
	v_add_nc_u32_e32 v99, 0x2088, v71
	v_add_nc_u32_e32 v101, 0x4108, v71
	;; [unrolled: 1-line block ×4, first 2 shown]
	v_mov_b32_e32 v117, 0
	v_mov_b32_e32 v118, 0
	v_add_nc_u32_e32 v107, 0x2098, v71
	v_mov_b32_e32 v123, 0
	v_add_nc_u32_e32 v109, 0x4110, v71
	v_add_nc_u32_e32 v111, 0x4118, v71
	v_mov_b32_e32 v125, 0
	v_add_nc_u32_e32 v113, 0x6190, v71
	v_add_nc_u32_e32 v115, 0x6198, v71
	ds_read2_b32 v[99:100], v99 offset1:1
	ds_read2_b32 v[101:102], v101 offset1:1
	;; [unrolled: 1-line block ×9, first 2 shown]
	v_add_nc_u32_e32 v76, 4, v76
	s_waitcnt lgkmcnt(20)
	v_dot4c_i32_i8 v117, v85, v77
	s_waitcnt lgkmcnt(12)
	v_dot4c_i32_i8 v118, v93, v77
	;; [unrolled: 2-line block ×4, first 2 shown]
	v_pk_mul_f16 v77, v119, v120
	v_dot4c_i32_i8 v117, v86, v81
	v_dot4c_i32_i8 v118, v94, v81
	v_dot4c_i32_i8 v123, v96, v81
	v_dot4c_i32_i8 v125, v98, v81
	v_add_nc_u32_e32 v75, 4, v75
	v_dot4c_i32_i8 v117, v87, v78
	s_waitcnt lgkmcnt(8)
	v_dot4c_i32_i8 v118, v99, v78
	s_waitcnt lgkmcnt(7)
	;; [unrolled: 2-line block ×3, first 2 shown]
	v_dot4c_i32_i8 v125, v103, v78
	v_pk_mul_f16 v78, v119, v121
	v_dot4c_i32_i8 v117, v88, v82
	v_dot4c_i32_i8 v118, v100, v82
	;; [unrolled: 1-line block ×4, first 2 shown]
	v_add_nc_u32_e32 v74, 4, v74
	v_dot4c_i32_i8 v117, v89, v79
	s_waitcnt lgkmcnt(5)
	v_dot4c_i32_i8 v118, v105, v79
	s_waitcnt lgkmcnt(3)
	;; [unrolled: 2-line block ×3, first 2 shown]
	v_dot4c_i32_i8 v125, v113, v79
	v_pk_mul_f16 v79, v119, v122
	v_dot4c_i32_i8 v117, v90, v83
	v_dot4c_i32_i8 v118, v106, v83
	;; [unrolled: 1-line block ×4, first 2 shown]
	v_add_nc_u32_e32 v73, 4, v73
	v_dot4c_i32_i8 v117, v91, v80
	v_dot4c_i32_i8 v118, v107, v80
	;; [unrolled: 1-line block ×3, first 2 shown]
	s_waitcnt lgkmcnt(0)
	v_dot4c_i32_i8 v125, v115, v80
	v_pk_mul_f16 v80, v119, v124
	v_dot4c_i32_i8 v117, v92, v84
	v_dot4c_i32_i8 v118, v108, v84
	;; [unrolled: 1-line block ×4, first 2 shown]
	v_add_nc_u32_e32 v72, 4, v72
	v_cvt_f32_i32_e32 v81, v117
	v_cvt_f32_i32_e32 v82, v118
	;; [unrolled: 1-line block ×4, first 2 shown]
	v_add_nc_u32_e32 v71, 32, v71
	v_fma_mix_f32 v77, v77, v81, v77 op_sel:[0,0,1] op_sel_hi:[1,0,1]
	v_fma_mix_f32 v78, v78, v82, v78 op_sel:[0,0,1] op_sel_hi:[1,0,1]
	;; [unrolled: 1-line block ×4, first 2 shown]
	v_add_nc_u32_e32 v22, 32, v22
	v_add_f32_e32 v24, v24, v77
	v_add_f32_e32 v50, v50, v78
	;; [unrolled: 1-line block ×4, first 2 shown]
	s_add_i32 s1, s1, 4
	s_cmp_lt_u32 s1, 12
	s_cbranch_scc1 .LBB184_11
; %bb.12:                               ;   in Loop: Header=BB184_5 Depth=1
	s_bitset1_b32 s2, 7
	s_cmp_ge_i32 s2, s9
	s_barrier
	buffer_gl0_inv
	s_cbranch_scc1 .LBB184_4
; %bb.13:                               ;   in Loop: Header=BB184_5 Depth=1
	v_add_nc_u32_e32 v22, s10, v55
	v_cmp_gt_i32_e64 s1, s12, v22
	s_and_b32 s2, s0, s1
	s_and_saveexec_b32 s1, s2
	s_cbranch_execz .LBB184_15
; %bb.14:                               ;   in Loop: Header=BB184_5 Depth=1
	v_add_nc_u32_e32 v22, v56, v22
	v_mad_i64_i32 v[71:72], null, v22, 36, v[19:20]
	global_load_dword v22, v[71:72], off offset:4
	s_waitcnt vmcnt(0)
	ds_write_b32 v52, v22
.LBB184_15:                             ;   in Loop: Header=BB184_5 Depth=1
	s_or_b32 exec_lo, exec_lo, s1
	s_and_saveexec_b32 s2, vcc_lo
	s_cbranch_execz .LBB184_18
; %bb.16:                               ;   in Loop: Header=BB184_5 Depth=1
	v_or_b32_e32 v22, 4, v21
	v_cmp_gt_i32_e64 s1, s12, v22
	s_and_b32 s1, s0, s1
	s_and_b32 exec_lo, exec_lo, s1
	s_cbranch_execz .LBB184_18
; %bb.17:                               ;   in Loop: Header=BB184_5 Depth=1
	v_ashrrev_i32_e32 v22, 31, v21
	v_add_co_u32 v21, s1, v56, v21
	v_add_co_ci_u32_e64 v71, null, v57, v22, s1
	v_mad_u64_u32 v[21:22], null, v21, 36, s[6:7]
	v_mad_i32_i24 v22, v71, 36, v22
	global_load_dword v21, v[21:22], off offset:144
	s_waitcnt vmcnt(0)
	ds_write_b32 v53, v21
.LBB184_18:                             ;   in Loop: Header=BB184_5 Depth=1
	s_or_b32 exec_lo, exec_lo, s2
	v_mov_b32_e32 v21, v1
	v_mov_b32_e32 v22, v51
	;; [unrolled: 1-line block ×7, first 2 shown]
	s_mov_b32 s1, 12
	s_waitcnt lgkmcnt(0)
	s_barrier
	buffer_gl0_inv
.LBB184_19:                             ;   Parent Loop BB184_5 Depth=1
                                        ; =>  This Inner Loop Header: Depth=2
	v_add_nc_u32_e32 v92, 0x2080, v71
	v_add_nc_u32_e32 v94, 0x4100, v71
	;; [unrolled: 1-line block ×3, first 2 shown]
	ds_read_b128 v[76:79], v22
	ds_read_b32 v116, v21
	ds_read_b128 v[80:83], v22 offset:16
	ds_read2_b32 v[84:85], v71 offset1:1
	ds_read_b32 v118, v72
	ds_read2_b32 v[86:87], v71 offset0:2 offset1:3
	ds_read2_b32 v[88:89], v71 offset0:4 offset1:5
	;; [unrolled: 1-line block ×3, first 2 shown]
	ds_read_b32 v120, v73
	ds_read_b32 v121, v74
	ds_read2_b32 v[92:93], v92 offset1:1
	ds_read2_b32 v[94:95], v94 offset1:1
	;; [unrolled: 1-line block ×3, first 2 shown]
	ds_read_b32 v123, v75
	v_add_nc_u32_e32 v98, 0x2088, v71
	v_add_nc_u32_e32 v100, 0x4108, v71
	;; [unrolled: 1-line block ×4, first 2 shown]
	v_mov_b32_e32 v117, 0
	v_mov_b32_e32 v119, 0
	v_add_nc_u32_e32 v106, 0x2098, v71
	v_mov_b32_e32 v122, 0
	v_add_nc_u32_e32 v108, 0x4110, v71
	v_add_nc_u32_e32 v110, 0x4118, v71
	v_mov_b32_e32 v124, 0
	v_add_nc_u32_e32 v112, 0x6190, v71
	v_add_nc_u32_e32 v114, 0x6198, v71
	ds_read2_b32 v[98:99], v98 offset1:1
	ds_read2_b32 v[100:101], v100 offset1:1
	;; [unrolled: 1-line block ×9, first 2 shown]
	v_add_nc_u32_e32 v75, 4, v75
	v_add_nc_u32_e32 v74, 4, v74
	s_waitcnt lgkmcnt(19)
	v_dot4c_i32_i8 v117, v84, v76
	s_waitcnt lgkmcnt(12)
	v_dot4c_i32_i8 v119, v92, v76
	;; [unrolled: 2-line block ×4, first 2 shown]
	v_pk_mul_f16 v76, v116, v118
	v_dot4c_i32_i8 v117, v85, v80
	v_dot4c_i32_i8 v119, v93, v80
	;; [unrolled: 1-line block ×4, first 2 shown]
	v_add_nc_u32_e32 v73, 4, v73
	v_dot4c_i32_i8 v117, v86, v77
	s_waitcnt lgkmcnt(8)
	v_dot4c_i32_i8 v119, v98, v77
	s_waitcnt lgkmcnt(7)
	;; [unrolled: 2-line block ×3, first 2 shown]
	v_dot4c_i32_i8 v124, v102, v77
	v_pk_mul_f16 v77, v116, v120
	v_dot4c_i32_i8 v117, v87, v81
	v_dot4c_i32_i8 v119, v99, v81
	;; [unrolled: 1-line block ×4, first 2 shown]
	v_add_nc_u32_e32 v72, 4, v72
	v_dot4c_i32_i8 v117, v88, v78
	s_waitcnt lgkmcnt(5)
	v_dot4c_i32_i8 v119, v104, v78
	s_waitcnt lgkmcnt(3)
	;; [unrolled: 2-line block ×3, first 2 shown]
	v_dot4c_i32_i8 v124, v112, v78
	v_pk_mul_f16 v78, v116, v121
	v_dot4c_i32_i8 v117, v89, v82
	v_dot4c_i32_i8 v119, v105, v82
	;; [unrolled: 1-line block ×4, first 2 shown]
	v_add_nc_u32_e32 v71, 32, v71
	v_dot4c_i32_i8 v117, v90, v79
	v_dot4c_i32_i8 v119, v106, v79
	v_dot4c_i32_i8 v122, v110, v79
	s_waitcnt lgkmcnt(0)
	v_dot4c_i32_i8 v124, v114, v79
	v_pk_mul_f16 v79, v116, v123
	v_dot4c_i32_i8 v117, v91, v83
	v_dot4c_i32_i8 v119, v107, v83
	;; [unrolled: 1-line block ×4, first 2 shown]
	v_add_nc_u32_e32 v22, 32, v22
	v_cvt_f32_i32_e32 v80, v117
	v_cvt_f32_i32_e32 v81, v119
	;; [unrolled: 1-line block ×4, first 2 shown]
	v_add_nc_u32_e32 v21, 4, v21
	v_fma_mix_f32 v76, v76, v80, v76 op_sel:[0,0,1] op_sel_hi:[1,0,1]
	v_fma_mix_f32 v77, v77, v81, v77 op_sel:[0,0,1] op_sel_hi:[1,0,1]
	;; [unrolled: 1-line block ×4, first 2 shown]
	s_add_i32 s1, s1, 4
	v_add_f32_e32 v24, v24, v76
	v_add_f32_e32 v50, v50, v77
	;; [unrolled: 1-line block ×4, first 2 shown]
	s_cmp_lt_u32 s1, 28
	s_cbranch_scc1 .LBB184_19
; %bb.20:                               ;   in Loop: Header=BB184_5 Depth=1
	s_barrier
	buffer_gl0_inv
	s_branch .LBB184_4
.LBB184_21:
	s_mul_i32 s0, s14, s11
	s_waitcnt vmcnt(0)
	v_cmp_gt_i32_e32 vcc_lo, s0, v23
	s_and_saveexec_b32 s0, vcc_lo
	s_cbranch_execz .LBB184_30
; %bb.22:
	v_add_nc_u32_e32 v1, s15, v0
	v_mul_lo_u32 v0, v23, s13
	s_mov_b32 s0, exec_lo
	v_cmpx_gt_u32_e64 s13, v1
	s_cbranch_execz .LBB184_24
; %bb.23:
	v_add_nc_u32_e32 v2, v0, v1
	v_mov_b32_e32 v3, 0
	v_lshlrev_b64 v[2:3], 2, v[2:3]
	v_add_co_u32 v2, vcc_lo, s16, v2
	v_add_co_ci_u32_e64 v3, null, s17, v3, vcc_lo
	global_store_dword v[2:3], v24, off
.LBB184_24:
	s_or_b32 exec_lo, exec_lo, s0
	v_add_nc_u32_e32 v2, 32, v1
	s_mov_b32 s0, exec_lo
	v_cmpx_gt_u32_e64 s13, v2
	s_cbranch_execz .LBB184_26
; %bb.25:
	v_add_nc_u32_e32 v2, v0, v2
	v_mov_b32_e32 v3, 0
	v_lshlrev_b64 v[2:3], 2, v[2:3]
	v_add_co_u32 v2, vcc_lo, s16, v2
	v_add_co_ci_u32_e64 v3, null, s17, v3, vcc_lo
	global_store_dword v[2:3], v50, off
.LBB184_26:
	s_or_b32 exec_lo, exec_lo, s0
	v_add_nc_u32_e32 v2, 64, v1
	;; [unrolled: 13-line block ×3, first 2 shown]
	v_cmp_gt_u32_e32 vcc_lo, s13, v1
	s_and_b32 exec_lo, exec_lo, vcc_lo
	s_cbranch_execz .LBB184_30
; %bb.29:
	v_add_nc_u32_e32 v0, v0, v1
	v_mov_b32_e32 v1, 0
	v_lshlrev_b64 v[0:1], 2, v[0:1]
	v_add_co_u32 v0, vcc_lo, s16, v0
	v_add_co_ci_u32_e64 v1, null, s17, v1, vcc_lo
	global_store_dword v[0:1], v16, off
.LBB184_30:
	s_endpgm
	.section	.rodata,"a",@progbits
	.p2align	6, 0x0
	.amdhsa_kernel _ZL8moe_q5_1IfLb1EEvPKvS1_PT_PKiS5_S5_iiiiiii
		.amdhsa_group_segment_fixed_size 38656
		.amdhsa_private_segment_fixed_size 0
		.amdhsa_kernarg_size 76
		.amdhsa_user_sgpr_count 6
		.amdhsa_user_sgpr_private_segment_buffer 1
		.amdhsa_user_sgpr_dispatch_ptr 0
		.amdhsa_user_sgpr_queue_ptr 0
		.amdhsa_user_sgpr_kernarg_segment_ptr 1
		.amdhsa_user_sgpr_dispatch_id 0
		.amdhsa_user_sgpr_flat_scratch_init 0
		.amdhsa_user_sgpr_private_segment_size 0
		.amdhsa_wavefront_size32 1
		.amdhsa_uses_dynamic_stack 0
		.amdhsa_system_sgpr_private_segment_wavefront_offset 0
		.amdhsa_system_sgpr_workgroup_id_x 1
		.amdhsa_system_sgpr_workgroup_id_y 1
		.amdhsa_system_sgpr_workgroup_id_z 0
		.amdhsa_system_sgpr_workgroup_info 0
		.amdhsa_system_vgpr_workitem_id 1
		.amdhsa_next_free_vgpr 159
		.amdhsa_next_free_sgpr 19
		.amdhsa_reserve_vcc 1
		.amdhsa_reserve_flat_scratch 0
		.amdhsa_float_round_mode_32 0
		.amdhsa_float_round_mode_16_64 0
		.amdhsa_float_denorm_mode_32 3
		.amdhsa_float_denorm_mode_16_64 3
		.amdhsa_dx10_clamp 1
		.amdhsa_ieee_mode 1
		.amdhsa_fp16_overflow 0
		.amdhsa_workgroup_processor_mode 1
		.amdhsa_memory_ordered 1
		.amdhsa_forward_progress 1
		.amdhsa_shared_vgpr_count 0
		.amdhsa_exception_fp_ieee_invalid_op 0
		.amdhsa_exception_fp_denorm_src 0
		.amdhsa_exception_fp_ieee_div_zero 0
		.amdhsa_exception_fp_ieee_overflow 0
		.amdhsa_exception_fp_ieee_underflow 0
		.amdhsa_exception_fp_ieee_inexact 0
		.amdhsa_exception_int_div_zero 0
	.end_amdhsa_kernel
	.section	.text._ZL8moe_q5_1IfLb1EEvPKvS1_PT_PKiS5_S5_iiiiiii,"axG",@progbits,_ZL8moe_q5_1IfLb1EEvPKvS1_PT_PKiS5_S5_iiiiiii,comdat
.Lfunc_end184:
	.size	_ZL8moe_q5_1IfLb1EEvPKvS1_PT_PKiS5_S5_iiiiiii, .Lfunc_end184-_ZL8moe_q5_1IfLb1EEvPKvS1_PT_PKiS5_S5_iiiiiii
                                        ; -- End function
	.set _ZL8moe_q5_1IfLb1EEvPKvS1_PT_PKiS5_S5_iiiiiii.num_vgpr, 159
	.set _ZL8moe_q5_1IfLb1EEvPKvS1_PT_PKiS5_S5_iiiiiii.num_agpr, 0
	.set _ZL8moe_q5_1IfLb1EEvPKvS1_PT_PKiS5_S5_iiiiiii.numbered_sgpr, 19
	.set _ZL8moe_q5_1IfLb1EEvPKvS1_PT_PKiS5_S5_iiiiiii.num_named_barrier, 0
	.set _ZL8moe_q5_1IfLb1EEvPKvS1_PT_PKiS5_S5_iiiiiii.private_seg_size, 0
	.set _ZL8moe_q5_1IfLb1EEvPKvS1_PT_PKiS5_S5_iiiiiii.uses_vcc, 1
	.set _ZL8moe_q5_1IfLb1EEvPKvS1_PT_PKiS5_S5_iiiiiii.uses_flat_scratch, 0
	.set _ZL8moe_q5_1IfLb1EEvPKvS1_PT_PKiS5_S5_iiiiiii.has_dyn_sized_stack, 0
	.set _ZL8moe_q5_1IfLb1EEvPKvS1_PT_PKiS5_S5_iiiiiii.has_recursion, 0
	.set _ZL8moe_q5_1IfLb1EEvPKvS1_PT_PKiS5_S5_iiiiiii.has_indirect_call, 0
	.section	.AMDGPU.csdata,"",@progbits
; Kernel info:
; codeLenInByte = 6628
; TotalNumSgprs: 21
; NumVgprs: 159
; ScratchSize: 0
; MemoryBound: 0
; FloatMode: 240
; IeeeMode: 1
; LDSByteSize: 38656 bytes/workgroup (compile time only)
; SGPRBlocks: 0
; VGPRBlocks: 19
; NumSGPRsForWavesPerEU: 21
; NumVGPRsForWavesPerEU: 159
; Occupancy: 6
; WaveLimiterHint : 1
; COMPUTE_PGM_RSRC2:SCRATCH_EN: 0
; COMPUTE_PGM_RSRC2:USER_SGPR: 6
; COMPUTE_PGM_RSRC2:TRAP_HANDLER: 0
; COMPUTE_PGM_RSRC2:TGID_X_EN: 1
; COMPUTE_PGM_RSRC2:TGID_Y_EN: 1
; COMPUTE_PGM_RSRC2:TGID_Z_EN: 0
; COMPUTE_PGM_RSRC2:TIDIG_COMP_CNT: 1
	.section	.text._ZL8moe_q8_0IfLb0EEvPKvS1_PT_PKiS5_S5_iiiiiii,"axG",@progbits,_ZL8moe_q8_0IfLb0EEvPKvS1_PT_PKiS5_S5_iiiiiii,comdat
	.globl	_ZL8moe_q8_0IfLb0EEvPKvS1_PT_PKiS5_S5_iiiiiii ; -- Begin function _ZL8moe_q8_0IfLb0EEvPKvS1_PT_PKiS5_S5_iiiiiii
	.p2align	8
	.type	_ZL8moe_q8_0IfLb0EEvPKvS1_PT_PKiS5_S5_iiiiiii,@function
_ZL8moe_q8_0IfLb0EEvPKvS1_PT_PKiS5_S5_iiiiiii: ; @_ZL8moe_q8_0IfLb0EEvPKvS1_PT_PKiS5_S5_iiiiiii
; %bb.0:
	s_load_dwordx4 s[0:3], s[4:5], 0x18
	s_mov_b32 s8, s7
	s_mov_b32 s9, 0
	s_lshl_b64 s[10:11], s[8:9], 2
	s_waitcnt lgkmcnt(0)
	s_add_u32 s2, s2, s10
	s_addc_u32 s3, s3, s11
	s_load_dword s7, s[2:3], 0x0
	s_waitcnt lgkmcnt(0)
	s_cmpk_gt_u32 s7, 0xff
	s_cbranch_scc1 .LBB185_22
; %bb.1:
	s_load_dwordx2 s[2:3], s[4:5], 0x28
	s_waitcnt lgkmcnt(0)
	s_load_dword s3, s[2:3], 0x0
	s_lshl_b32 s2, s8, 3
	s_waitcnt lgkmcnt(0)
	s_cmp_gt_u32 s2, s3
	s_cbranch_scc1 .LBB185_22
; %bb.2:
	v_add_nc_u32_e32 v2, s2, v1
	v_mov_b32_e32 v3, 0
	s_lshl_b32 s6, s6, 7
	v_lshlrev_b64 v[4:5], 2, v[2:3]
	v_mov_b32_e32 v16, v3
	v_mov_b32_e32 v19, v3
	v_add_co_u32 v4, vcc_lo, s0, v4
	v_add_co_ci_u32_e64 v5, null, s1, v5, vcc_lo
	global_load_dword v4, v[4:5], off
	s_clause 0x2
	s_load_dwordx2 s[14:15], s[4:5], 0x30
	s_load_dwordx2 s[12:13], s[4:5], 0x10
	s_load_dwordx4 s[8:11], s[4:5], 0x3c
	v_mov_b32_e32 v5, v3
	s_waitcnt lgkmcnt(0)
	s_cmp_lt_i32 s15, 32
	s_cbranch_scc1 .LBB185_13
; %bb.3:
	s_load_dwordx4 s[0:3], s[4:5], 0x0
	s_ashr_i32 s4, s15, 31
	s_ashr_i32 s5, s9, 31
	s_lshr_b32 s4, s4, 27
	s_lshr_b32 s5, s5, 27
	s_add_i32 s4, s15, s4
	s_mul_i32 s14, s7, s14
	s_ashr_i32 s7, s4, 5
	s_add_i32 s4, s9, s5
	s_mul_i32 s5, s7, s6
	s_ashr_i32 s16, s14, 31
	s_ashr_i32 s9, s4, 5
	s_mul_hi_i32 s4, s5, 34
	s_mul_i32 s5, s5, 34
	v_mul_lo_u32 v9, s7, v1
	v_lshlrev_b32_e32 v3, 2, v0
	v_lshlrev_b32_e32 v14, 3, v1
	v_lshrrev_b32_e32 v15, 2, v0
	v_and_b32_e32 v16, 31, v0
	v_lshl_add_u32 v8, v1, 7, 0x4a40
	s_waitcnt lgkmcnt(0)
	s_add_u32 s0, s0, s14
	s_addc_u32 s14, s1, s16
	s_add_u32 s1, s0, s5
	s_addc_u32 s14, s14, s4
	s_abs_i32 s4, s11
	s_lshl_b32 s5, s7, 3
	v_cvt_f32_u32_e32 v2, s4
	s_sub_i32 s16, 0, s4
	v_add_nc_u32_e32 v10, s5, v9
	v_lshlrev_b32_e32 v19, 4, v1
	v_mad_u32_u24 v13, 0x84, v1, v3
	v_rcp_iflag_f32_e32 v2, v2
	v_add_nc_u32_e32 v1, v15, v14
	v_add_nc_u16 v40, v15, v14
	v_lshl_add_u32 v15, v16, 2, v8
	v_add_nc_u32_e32 v12, s5, v10
	s_waitcnt vmcnt(0)
	v_sub_nc_u32_e32 v22, 0, v4
	v_xor_b32_e32 v17, s11, v4
	v_add_nc_u32_e32 v18, 32, v0
	v_add_nc_u32_e32 v21, 0x60, v0
	;; [unrolled: 1-line block ×3, first 2 shown]
	v_mul_f32_e32 v2, 0x4f7ffffe, v2
	v_max_i32_e32 v37, v4, v22
	v_ashrrev_i32_e32 v44, 31, v17
	v_lshrrev_b32_e32 v43, 1, v18
	v_add_nc_u32_e32 v17, s5, v14
	v_cvt_u32_f32_e32 v2, v2
	v_add_nc_u32_e32 v20, 64, v0
	v_lshrrev_b32_e32 v41, 1, v21
	v_lshlrev_b32_e32 v52, 4, v1
	v_add_nc_u32_e32 v18, s5, v17
	v_mul_lo_u32 v23, s16, v2
	v_and_b32_e32 v7, 3, v0
	v_lshrrev_b32_e32 v42, 1, v20
	v_and_b32_e32 v49, 0xfc, v41
	v_add_nc_u32_e32 v22, s5, v18
	v_and_b32_e32 v51, 0xfc, v43
	v_lshrrev_b32_e32 v6, 3, v0
	v_lshlrev_b32_e32 v45, 2, v7
	v_mul_hi_u32 v16, v2, v23
	v_add_nc_u32_e32 v27, s5, v22
	v_and_b32_e32 v11, 28, v3
	v_lshlrev_b32_e32 v50, 4, v0
	v_add_nc_u32_e32 v3, 0x4e40, v3
	v_cmp_gt_u32_e64 s0, 4, v0
	v_add_nc_u32_e32 v31, s5, v27
	v_mov_b32_e32 v5, 0
	v_add_nc_u32_e32 v2, v2, v16
	v_lshlrev_b32_e32 v16, 2, v6
	v_add_nc_u32_e32 v20, 0x840, v13
	v_add_nc_u32_e32 v36, s5, v31
	;; [unrolled: 1-line block ×3, first 2 shown]
	v_mul_hi_u32 v2, v37, v2
	v_add_nc_u32_e32 v23, 0x1080, v13
	v_add_nc_u32_e32 v24, 0x14a0, v13
	v_add_nc_u32_e32 v39, s5, v36
	v_add_nc_u32_e32 v25, 0x18c0, v13
	v_add_nc_u32_e32 v26, 0x1ce0, v13
	v_add_nc_u32_e32 v28, 0x2100, v13
	v_add_nc_u32_e32 v29, 0x2520, v13
	v_mul_lo_u32 v38, v2, s4
	v_add_nc_u32_e32 v47, 1, v2
	v_add_nc_u32_e32 v30, 0x2940, v13
	;; [unrolled: 1-line block ×6, first 2 shown]
	s_mov_b32 s16, 0
	v_sub_nc_u32_e32 v46, v37, v38
	v_mul_lo_u32 v38, s7, v1
	v_add_nc_u32_e32 v1, 64, v1
	v_add_nc_u32_e32 v37, 0x3de0, v13
	v_subrev_nc_u32_e32 v48, s4, v46
	v_cmp_le_u32_e32 vcc_lo, s4, v46
	v_lshrrev_b32_e32 v43, 1, v1
	v_lshlrev_b32_e32 v53, 4, v1
	v_cndmask_b32_e32 v2, v2, v47, vcc_lo
	v_cndmask_b32_e32 v46, v46, v48, vcc_lo
	v_lshrrev_b16 v47, 1, v40
	v_add_nc_u32_e32 v40, s5, v39
	v_and_b32_e32 v1, 0xffc, v43
	v_add_nc_u32_e32 v48, 1, v2
	v_cmp_le_u32_e32 vcc_lo, s4, v46
	v_and_b32_e32 v46, 0x7fc, v47
	v_add_nc_u32_e32 v41, s5, v40
	v_add3_u32 v55, v1, v45, 0x4200
	v_add_co_u32 v1, s4, s2, v11
	v_cndmask_b32_e32 v2, v2, v48, vcc_lo
	v_and_b32_e32 v48, 0xfc, v42
	v_add_nc_u32_e32 v42, s5, v41
	v_add3_u32 v54, v46, v45, 0x4200
	v_add3_u32 v47, v50, v49, 0x4800
	v_xor_b32_e32 v2, v2, v44
	v_add3_u32 v48, v50, v48, 0x4600
	v_add_nc_u32_e32 v43, s5, v42
	v_add3_u32 v49, v50, v51, 0x4400
	v_add3_u32 v50, v50, v16, 0x4200
	v_sub_nc_u32_e32 v2, v2, v44
	v_lshl_add_u32 v44, s7, 6, v38
	v_add_nc_u32_e32 v45, s5, v43
	v_add_nc_u32_e32 v51, 0x4e40, v19
	;; [unrolled: 1-line block ×3, first 2 shown]
	v_mul_lo_u32 v46, v2, s9
	v_cmp_gt_i32_e32 vcc_lo, s8, v2
	v_add_co_ci_u32_e64 v2, null, s3, 0, s4
	v_add_nc_u32_e32 v53, v55, v53
	v_add_nc_u32_e32 v54, v3, v19
	v_mov_b32_e32 v19, 0
	v_mov_b32_e32 v16, 0
	;; [unrolled: 1-line block ×3, first 2 shown]
	s_and_b32 s17, s0, vcc_lo
	s_branch .LBB185_5
.LBB185_4:                              ;   in Loop: Header=BB185_5 Depth=1
	s_add_i32 s16, s16, 4
	s_cmp_ge_i32 s16, s7
	s_cbranch_scc1 .LBB185_13
.LBB185_5:                              ; =>This Loop Header: Depth=1
                                        ;     Child Loop BB185_11 Depth 2
	s_mul_i32 s0, s16, 34
	s_mul_hi_u32 s5, s16, 34
	s_add_u32 s4, s1, s0
	s_addc_u32 s5, s14, s5
	v_mad_u64_u32 v[55:56], null, v6, 34, s[4:5]
	v_mad_u64_u32 v[57:58], null, v9, 34, v[55:56]
	;; [unrolled: 1-line block ×5, first 2 shown]
	v_add_co_u32 v57, s0, v57, v11
	v_mad_u64_u32 v[65:66], null, v17, 34, v[55:56]
	v_add_co_ci_u32_e64 v58, null, 0, v58, s0
	v_add_co_u32 v59, s0, v59, v11
	v_mad_u64_u32 v[67:68], null, v18, 34, v[55:56]
	v_add_co_ci_u32_e64 v60, null, 0, v60, s0
	;; [unrolled: 3-line block ×4, first 2 shown]
	v_add_co_u32 v65, s0, v65, v11
	v_add_co_ci_u32_e64 v66, null, 0, v66, s0
	v_add_co_u32 v67, s0, v67, v11
	v_add_co_ci_u32_e64 v68, null, 0, v68, s0
	;; [unrolled: 2-line block ×3, first 2 shown]
	v_add_co_u32 v71, s0, v71, v11
	v_mad_u64_u32 v[73:74], null, v31, 34, v[55:56]
	v_add_co_ci_u32_e64 v72, null, 0, v72, s0
	s_clause 0x7
	global_load_dword v75, v[57:58], off offset:2
	global_load_dword v76, v[59:60], off offset:2
	;; [unrolled: 1-line block ×8, first 2 shown]
	v_mad_u64_u32 v[57:58], null, v36, 34, v[55:56]
	v_mad_u64_u32 v[61:62], null, v39, 34, v[55:56]
	;; [unrolled: 1-line block ×4, first 2 shown]
	v_add_co_u32 v59, s0, v73, v11
	v_mad_u64_u32 v[65:66], null, v41, 34, v[55:56]
	v_add_co_ci_u32_e64 v60, null, 0, v74, s0
	v_add_co_u32 v57, s0, v57, v11
	v_mad_u64_u32 v[69:70], null, v42, 34, v[55:56]
	v_add_co_ci_u32_e64 v58, null, 0, v58, s0
	v_add_co_u32 v61, s0, v61, v11
	v_mad_u64_u32 v[71:72], null, v43, 34, v[55:56]
	v_mad_u64_u32 v[73:74], null, v38, 34, v[67:68]
	;; [unrolled: 1-line block ×3, first 2 shown]
	v_add_co_ci_u32_e64 v62, null, 0, v62, s0
	v_add_co_u32 v63, s0, v63, v11
	v_mad_u64_u32 v[55:56], null, v45, 34, v[55:56]
	v_add_co_ci_u32_e64 v64, null, 0, v64, s0
	v_add_co_u32 v65, s0, v65, v11
	v_add_co_ci_u32_e64 v66, null, 0, v66, s0
	v_add_co_u32 v69, s0, v69, v11
	v_add_co_ci_u32_e64 v70, null, 0, v70, s0
	s_clause 0x1
	global_load_ushort v73, v[73:74], off
	global_load_ushort v74, v[67:68], off
	v_add_co_u32 v67, s0, v71, v11
	v_add_co_ci_u32_e64 v68, null, 0, v72, s0
	v_add_co_u32 v55, s0, v55, v11
	v_add_co_ci_u32_e64 v56, null, 0, v56, s0
	s_clause 0x7
	global_load_dword v59, v[59:60], off offset:2
	global_load_dword v57, v[57:58], off offset:2
	;; [unrolled: 1-line block ×8, first 2 shown]
	s_lshl_b32 s0, s16, 5
	v_add_nc_u32_e32 v56, 0x420, v13
	s_cmp_ge_i32 s0, s15
	s_waitcnt vmcnt(9)
	v_cvt_f32_f16_e32 v64, v73
	s_waitcnt vmcnt(8)
	v_cvt_f32_f16_e32 v65, v74
	ds_write_b32 v13, v75
	ds_write_b32 v56, v76
	;; [unrolled: 1-line block ×8, first 2 shown]
	s_waitcnt vmcnt(7)
	ds_write_b32 v28, v59
	s_waitcnt vmcnt(6)
	ds_write_b32 v29, v57
	;; [unrolled: 2-line block ×8, first 2 shown]
	ds_write_b32 v52, v64
	ds_write_b32 v53, v65
	s_cbranch_scc1 .LBB185_4
; %bb.6:                                ;   in Loop: Header=BB185_5 Depth=1
	v_add_nc_u32_e32 v55, s16, v6
	v_cmp_gt_i32_e64 s0, s9, v55
	s_and_b32 s4, vcc_lo, s0
	s_and_saveexec_b32 s0, s4
	s_cbranch_execz .LBB185_8
; %bb.7:                                ;   in Loop: Header=BB185_5 Depth=1
	v_add_nc_u32_e32 v55, v46, v55
	v_mad_i64_i32 v[55:56], null, v55, 36, v[1:2]
	global_load_dword v55, v[55:56], off offset:4
	s_waitcnt vmcnt(0)
	ds_write_b32 v15, v55
.LBB185_8:                              ;   in Loop: Header=BB185_5 Depth=1
	s_or_b32 exec_lo, exec_lo, s0
	v_or_b32_e32 v55, s16, v0
	v_cmp_gt_i32_e64 s0, s9, v55
	s_and_b32 s4, s17, s0
	s_and_saveexec_b32 s0, s4
	s_cbranch_execz .LBB185_10
; %bb.9:                                ;   in Loop: Header=BB185_5 Depth=1
	v_add_nc_u32_e32 v55, v46, v55
	v_mad_i64_i32 v[55:56], null, v55, 36, s[2:3]
	global_load_dword v55, v[55:56], off
	s_waitcnt vmcnt(0)
	v_cvt_f32_f16_e32 v55, v55
	ds_write_b32 v54, v55
.LBB185_10:                             ;   in Loop: Header=BB185_5 Depth=1
	s_or_b32 exec_lo, exec_lo, s0
	v_mov_b32_e32 v55, v8
	v_mov_b32_e32 v56, v51
	v_mul_u32_u24_e32 v61, 0x84, v0
	v_mov_b32_e32 v57, v50
	v_mov_b32_e32 v58, v49
	;; [unrolled: 1-line block ×4, first 2 shown]
	s_mov_b32 s0, -8
	s_waitcnt lgkmcnt(0)
	s_barrier
	buffer_gl0_inv
.LBB185_11:                             ;   Parent Loop BB185_5 Depth=1
                                        ; =>  This Inner Loop Header: Depth=2
	v_add_nc_u32_e32 v78, 0x1080, v61
	v_add_nc_u32_e32 v80, 0x2100, v61
	;; [unrolled: 1-line block ×3, first 2 shown]
	ds_read_b128 v[62:65], v55
	ds_read_b128 v[66:69], v55 offset:16
	ds_read2_b32 v[70:71], v61 offset0:2 offset1:3
	ds_read2_b32 v[72:73], v61 offset0:4 offset1:5
	;; [unrolled: 1-line block ×3, first 2 shown]
	ds_read_b32 v105, v56
	ds_read_b32 v106, v57
	ds_read2_b32 v[76:77], v61 offset1:1
	ds_read_b32 v107, v58
	ds_read_b32 v108, v59
	;; [unrolled: 1-line block ×3, first 2 shown]
	ds_read2_b32 v[78:79], v78 offset1:1
	ds_read2_b32 v[80:81], v80 offset1:1
	;; [unrolled: 1-line block ×3, first 2 shown]
	v_add_nc_u32_e32 v84, 0x1088, v61
	v_add_nc_u32_e32 v86, 0x2108, v61
	;; [unrolled: 1-line block ×4, first 2 shown]
	v_mov_b32_e32 v102, 0
	v_mov_b32_e32 v103, 0
	v_add_nc_u32_e32 v92, 0x1098, v61
	v_mov_b32_e32 v104, 0
	v_add_nc_u32_e32 v94, 0x2110, v61
	v_add_nc_u32_e32 v96, 0x2118, v61
	v_mov_b32_e32 v110, 0
	v_add_nc_u32_e32 v98, 0x3190, v61
	v_add_nc_u32_e32 v100, 0x3198, v61
	ds_read2_b32 v[84:85], v84 offset1:1
	ds_read2_b32 v[86:87], v86 offset1:1
	;; [unrolled: 1-line block ×9, first 2 shown]
	v_add_nc_u32_e32 v61, 32, v61
	v_add_nc_u32_e32 v60, 4, v60
	s_waitcnt lgkmcnt(15)
	v_dot4c_i32_i8 v102, v76, v62
	s_waitcnt lgkmcnt(11)
	v_dot4c_i32_i8 v103, v78, v62
	;; [unrolled: 2-line block ×4, first 2 shown]
	v_mul_f32_e32 v62, v105, v106
	v_dot4c_i32_i8 v102, v77, v63
	v_dot4c_i32_i8 v103, v79, v63
	;; [unrolled: 1-line block ×4, first 2 shown]
	v_mul_f32_e32 v63, v105, v107
	v_dot4c_i32_i8 v102, v70, v64
	s_waitcnt lgkmcnt(8)
	v_dot4c_i32_i8 v103, v84, v64
	s_waitcnt lgkmcnt(7)
	;; [unrolled: 2-line block ×3, first 2 shown]
	v_dot4c_i32_i8 v110, v88, v64
	v_mul_f32_e32 v64, v105, v108
	v_dot4c_i32_i8 v102, v71, v65
	v_dot4c_i32_i8 v103, v85, v65
	;; [unrolled: 1-line block ×4, first 2 shown]
	v_mul_f32_e32 v65, v105, v109
	v_dot4c_i32_i8 v102, v72, v66
	s_waitcnt lgkmcnt(5)
	v_dot4c_i32_i8 v103, v90, v66
	s_waitcnt lgkmcnt(3)
	;; [unrolled: 2-line block ×3, first 2 shown]
	v_dot4c_i32_i8 v110, v98, v66
	v_add_nc_u32_e32 v59, 4, v59
	v_dot4c_i32_i8 v102, v73, v67
	v_dot4c_i32_i8 v103, v91, v67
	;; [unrolled: 1-line block ×4, first 2 shown]
	v_add_nc_u32_e32 v58, 4, v58
	v_dot4c_i32_i8 v102, v74, v68
	v_dot4c_i32_i8 v103, v92, v68
	;; [unrolled: 1-line block ×3, first 2 shown]
	s_waitcnt lgkmcnt(0)
	v_dot4c_i32_i8 v110, v100, v68
	v_add_nc_u32_e32 v57, 4, v57
	v_dot4c_i32_i8 v102, v75, v69
	v_dot4c_i32_i8 v103, v93, v69
	v_dot4c_i32_i8 v104, v97, v69
	v_dot4c_i32_i8 v110, v101, v69
	v_add_nc_u32_e32 v56, 4, v56
	v_cvt_f32_i32_e32 v66, v102
	v_cvt_f32_i32_e32 v67, v103
	;; [unrolled: 1-line block ×4, first 2 shown]
	v_add_nc_u32_e32 v55, 32, v55
	v_fmac_f32_e32 v5, v62, v66
	v_fmac_f32_e32 v19, v63, v67
	;; [unrolled: 1-line block ×4, first 2 shown]
	s_add_i32 s0, s0, 8
	s_cmp_lt_u32 s0, 24
	s_cbranch_scc1 .LBB185_11
; %bb.12:                               ;   in Loop: Header=BB185_5 Depth=1
	s_barrier
	buffer_gl0_inv
	s_branch .LBB185_4
.LBB185_13:
	s_mul_i32 s0, s11, s8
	s_waitcnt vmcnt(0)
	v_cmp_gt_i32_e32 vcc_lo, s0, v4
	s_and_saveexec_b32 s0, vcc_lo
	s_cbranch_execz .LBB185_22
; %bb.14:
	v_add_nc_u32_e32 v1, s6, v0
	v_mul_lo_u32 v0, v4, s10
	s_mov_b32 s0, exec_lo
	v_cmpx_gt_u32_e64 s10, v1
	s_cbranch_execz .LBB185_16
; %bb.15:
	v_add_nc_u32_e32 v6, v0, v1
	v_mov_b32_e32 v7, 0
	v_lshlrev_b64 v[6:7], 2, v[6:7]
	v_add_co_u32 v6, vcc_lo, s12, v6
	v_add_co_ci_u32_e64 v7, null, s13, v7, vcc_lo
	global_store_dword v[6:7], v5, off
.LBB185_16:
	s_or_b32 exec_lo, exec_lo, s0
	v_add_nc_u32_e32 v2, 32, v1
	s_mov_b32 s0, exec_lo
	v_cmpx_gt_u32_e64 s10, v2
	s_cbranch_execz .LBB185_18
; %bb.17:
	v_add_nc_u32_e32 v4, v0, v2
	v_mov_b32_e32 v5, 0
	v_lshlrev_b64 v[4:5], 2, v[4:5]
	v_add_co_u32 v4, vcc_lo, s12, v4
	v_add_co_ci_u32_e64 v5, null, s13, v5, vcc_lo
	global_store_dword v[4:5], v19, off
.LBB185_18:
	s_or_b32 exec_lo, exec_lo, s0
	v_add_nc_u32_e32 v2, 64, v1
	;; [unrolled: 13-line block ×3, first 2 shown]
	v_cmp_gt_u32_e32 vcc_lo, s10, v1
	s_and_b32 exec_lo, exec_lo, vcc_lo
	s_cbranch_execz .LBB185_22
; %bb.21:
	v_add_nc_u32_e32 v0, v0, v1
	v_mov_b32_e32 v1, 0
	v_lshlrev_b64 v[0:1], 2, v[0:1]
	v_add_co_u32 v0, vcc_lo, s12, v0
	v_add_co_ci_u32_e64 v1, null, s13, v1, vcc_lo
	global_store_dword v[0:1], v3, off
.LBB185_22:
	s_endpgm
	.section	.rodata,"a",@progbits
	.p2align	6, 0x0
	.amdhsa_kernel _ZL8moe_q8_0IfLb0EEvPKvS1_PT_PKiS5_S5_iiiiiii
		.amdhsa_group_segment_fixed_size 20160
		.amdhsa_private_segment_fixed_size 0
		.amdhsa_kernarg_size 76
		.amdhsa_user_sgpr_count 6
		.amdhsa_user_sgpr_private_segment_buffer 1
		.amdhsa_user_sgpr_dispatch_ptr 0
		.amdhsa_user_sgpr_queue_ptr 0
		.amdhsa_user_sgpr_kernarg_segment_ptr 1
		.amdhsa_user_sgpr_dispatch_id 0
		.amdhsa_user_sgpr_flat_scratch_init 0
		.amdhsa_user_sgpr_private_segment_size 0
		.amdhsa_wavefront_size32 1
		.amdhsa_uses_dynamic_stack 0
		.amdhsa_system_sgpr_private_segment_wavefront_offset 0
		.amdhsa_system_sgpr_workgroup_id_x 1
		.amdhsa_system_sgpr_workgroup_id_y 1
		.amdhsa_system_sgpr_workgroup_id_z 0
		.amdhsa_system_sgpr_workgroup_info 0
		.amdhsa_system_vgpr_workitem_id 1
		.amdhsa_next_free_vgpr 111
		.amdhsa_next_free_sgpr 18
		.amdhsa_reserve_vcc 1
		.amdhsa_reserve_flat_scratch 0
		.amdhsa_float_round_mode_32 0
		.amdhsa_float_round_mode_16_64 0
		.amdhsa_float_denorm_mode_32 3
		.amdhsa_float_denorm_mode_16_64 3
		.amdhsa_dx10_clamp 1
		.amdhsa_ieee_mode 1
		.amdhsa_fp16_overflow 0
		.amdhsa_workgroup_processor_mode 1
		.amdhsa_memory_ordered 1
		.amdhsa_forward_progress 1
		.amdhsa_shared_vgpr_count 0
		.amdhsa_exception_fp_ieee_invalid_op 0
		.amdhsa_exception_fp_denorm_src 0
		.amdhsa_exception_fp_ieee_div_zero 0
		.amdhsa_exception_fp_ieee_overflow 0
		.amdhsa_exception_fp_ieee_underflow 0
		.amdhsa_exception_fp_ieee_inexact 0
		.amdhsa_exception_int_div_zero 0
	.end_amdhsa_kernel
	.section	.text._ZL8moe_q8_0IfLb0EEvPKvS1_PT_PKiS5_S5_iiiiiii,"axG",@progbits,_ZL8moe_q8_0IfLb0EEvPKvS1_PT_PKiS5_S5_iiiiiii,comdat
.Lfunc_end185:
	.size	_ZL8moe_q8_0IfLb0EEvPKvS1_PT_PKiS5_S5_iiiiiii, .Lfunc_end185-_ZL8moe_q8_0IfLb0EEvPKvS1_PT_PKiS5_S5_iiiiiii
                                        ; -- End function
	.set _ZL8moe_q8_0IfLb0EEvPKvS1_PT_PKiS5_S5_iiiiiii.num_vgpr, 111
	.set _ZL8moe_q8_0IfLb0EEvPKvS1_PT_PKiS5_S5_iiiiiii.num_agpr, 0
	.set _ZL8moe_q8_0IfLb0EEvPKvS1_PT_PKiS5_S5_iiiiiii.numbered_sgpr, 18
	.set _ZL8moe_q8_0IfLb0EEvPKvS1_PT_PKiS5_S5_iiiiiii.num_named_barrier, 0
	.set _ZL8moe_q8_0IfLb0EEvPKvS1_PT_PKiS5_S5_iiiiiii.private_seg_size, 0
	.set _ZL8moe_q8_0IfLb0EEvPKvS1_PT_PKiS5_S5_iiiiiii.uses_vcc, 1
	.set _ZL8moe_q8_0IfLb0EEvPKvS1_PT_PKiS5_S5_iiiiiii.uses_flat_scratch, 0
	.set _ZL8moe_q8_0IfLb0EEvPKvS1_PT_PKiS5_S5_iiiiiii.has_dyn_sized_stack, 0
	.set _ZL8moe_q8_0IfLb0EEvPKvS1_PT_PKiS5_S5_iiiiiii.has_recursion, 0
	.set _ZL8moe_q8_0IfLb0EEvPKvS1_PT_PKiS5_S5_iiiiiii.has_indirect_call, 0
	.section	.AMDGPU.csdata,"",@progbits
; Kernel info:
; codeLenInByte = 2780
; TotalNumSgprs: 20
; NumVgprs: 111
; ScratchSize: 0
; MemoryBound: 0
; FloatMode: 240
; IeeeMode: 1
; LDSByteSize: 20160 bytes/workgroup (compile time only)
; SGPRBlocks: 0
; VGPRBlocks: 13
; NumSGPRsForWavesPerEU: 20
; NumVGPRsForWavesPerEU: 111
; Occupancy: 9
; WaveLimiterHint : 1
; COMPUTE_PGM_RSRC2:SCRATCH_EN: 0
; COMPUTE_PGM_RSRC2:USER_SGPR: 6
; COMPUTE_PGM_RSRC2:TRAP_HANDLER: 0
; COMPUTE_PGM_RSRC2:TGID_X_EN: 1
; COMPUTE_PGM_RSRC2:TGID_Y_EN: 1
; COMPUTE_PGM_RSRC2:TGID_Z_EN: 0
; COMPUTE_PGM_RSRC2:TIDIG_COMP_CNT: 1
	.section	.text._ZL8moe_q8_0IfLb1EEvPKvS1_PT_PKiS5_S5_iiiiiii,"axG",@progbits,_ZL8moe_q8_0IfLb1EEvPKvS1_PT_PKiS5_S5_iiiiiii,comdat
	.globl	_ZL8moe_q8_0IfLb1EEvPKvS1_PT_PKiS5_S5_iiiiiii ; -- Begin function _ZL8moe_q8_0IfLb1EEvPKvS1_PT_PKiS5_S5_iiiiiii
	.p2align	8
	.type	_ZL8moe_q8_0IfLb1EEvPKvS1_PT_PKiS5_S5_iiiiiii,@function
_ZL8moe_q8_0IfLb1EEvPKvS1_PT_PKiS5_S5_iiiiiii: ; @_ZL8moe_q8_0IfLb1EEvPKvS1_PT_PKiS5_S5_iiiiiii
; %bb.0:
	s_load_dwordx4 s[0:3], s[4:5], 0x18
	s_mov_b32 s8, s7
	s_mov_b32 s9, 0
	s_lshl_b64 s[10:11], s[8:9], 2
	s_waitcnt lgkmcnt(0)
	s_add_u32 s2, s2, s10
	s_addc_u32 s3, s3, s11
	s_load_dword s7, s[2:3], 0x0
	s_waitcnt lgkmcnt(0)
	s_cmpk_gt_u32 s7, 0xff
	s_cbranch_scc1 .LBB186_22
; %bb.1:
	s_load_dwordx2 s[2:3], s[4:5], 0x28
	s_waitcnt lgkmcnt(0)
	s_load_dword s3, s[2:3], 0x0
	s_lshl_b32 s2, s8, 3
	s_waitcnt lgkmcnt(0)
	s_cmp_gt_u32 s2, s3
	s_cbranch_scc1 .LBB186_22
; %bb.2:
	v_add_nc_u32_e32 v9, s2, v1
	v_mov_b32_e32 v10, 0
	s_lshl_b32 s6, s6, 7
	v_lshlrev_b64 v[2:3], 2, v[9:10]
	v_mov_b32_e32 v39, v10
	v_mov_b32_e32 v44, v10
	v_mov_b32_e32 v22, v10
	v_add_co_u32 v2, vcc_lo, s0, v2
	v_add_co_ci_u32_e64 v3, null, s1, v3, vcc_lo
	global_load_dword v21, v[2:3], off
	s_clause 0x1
	s_load_dwordx8 s[8:15], s[4:5], 0x30
	s_load_dwordx2 s[16:17], s[4:5], 0x10
	s_waitcnt lgkmcnt(0)
	s_cmp_lt_i32 s9, 32
	s_cbranch_scc1 .LBB186_13
; %bb.3:
	s_load_dwordx4 s[0:3], s[4:5], 0x0
	s_ashr_i32 s4, s9, 31
	s_ashr_i32 s5, s12, 31
	s_lshr_b32 s4, s4, 27
	s_lshr_b32 s5, s5, 27
	s_add_i32 s4, s9, s4
	s_mul_i32 s15, s7, s8
	s_ashr_i32 s7, s4, 5
	s_add_i32 s4, s12, s5
	s_mul_i32 s5, s7, s6
	s_ashr_i32 s18, s15, 31
	s_ashr_i32 s8, s4, 5
	s_mul_hi_i32 s4, s5, 34
	s_mul_i32 s5, s5, 34
	v_add_nc_u32_e32 v2, 8, v1
	v_add_nc_u32_e32 v3, 16, v1
	v_add_nc_u32_e32 v7, 24, v1
	v_add_nc_u32_e32 v8, 32, v1
	v_lshlrev_b32_e32 v20, 2, v0
	v_add_nc_u32_e32 v9, 40, v1
	s_waitcnt lgkmcnt(0)
	s_add_u32 s0, s0, s15
	s_addc_u32 s12, s1, s18
	s_add_u32 s1, s0, s5
	s_addc_u32 s12, s12, s4
	s_abs_i32 s4, s14
	s_not_b32 s0, s6
	v_cvt_f32_u32_e32 v14, s4
	s_add_i32 s0, s10, s0
	v_add_nc_u32_e32 v10, 48, v1
	v_min_i32_e32 v4, s0, v1
	v_min_i32_e32 v5, s0, v2
	v_rcp_iflag_f32_e32 v14, v14
	v_min_i32_e32 v6, s0, v3
	v_add_nc_u32_e32 v11, 56, v1
	v_min_i32_e32 v7, s0, v7
	v_min_i32_e32 v8, s0, v8
	s_waitcnt vmcnt(0)
	v_mad_u64_u32 v[2:3], null, 0x84, v4, v[20:21]
	v_min_i32_e32 v9, s0, v9
	v_mul_lo_u32 v25, v4, s7
	v_mad_u64_u32 v[3:4], null, 0x84, v5, v[20:21]
	v_min_i32_e32 v10, s0, v10
	v_mul_lo_u32 v26, v5, s7
	v_mad_u64_u32 v[4:5], null, 0x84, v6, v[20:21]
	v_min_i32_e32 v11, s0, v11
	v_mul_f32_e32 v17, 0x4f7ffffe, v14
	v_mul_lo_u32 v27, v6, s7
	v_mad_u64_u32 v[5:6], null, 0x84, v7, v[20:21]
	v_mul_lo_u32 v28, v7, s7
	v_mad_u64_u32 v[6:7], null, 0x84, v8, v[20:21]
	;; [unrolled: 2-line block ×3, first 2 shown]
	v_mul_lo_u32 v30, v9, s7
	v_add_nc_u32_e32 v12, 64, v1
	v_mad_u64_u32 v[8:9], null, 0x84, v10, v[20:21]
	v_mul_lo_u32 v31, v10, s7
	v_add_nc_u32_e32 v13, 0x48, v1
	v_mad_u64_u32 v[9:10], null, 0x84, v11, v[20:21]
	v_cvt_u32_f32_e32 v18, v17
	v_add_nc_u32_e32 v10, 0x50, v1
	s_sub_i32 s5, 0, s4
	v_min_i32_e32 v12, s0, v12
	v_min_i32_e32 v13, s0, v13
	v_mul_lo_u32 v19, s5, v18
	v_min_i32_e32 v10, s0, v10
	v_add_nc_u32_e32 v15, 0x58, v1
	v_add_nc_u32_e32 v16, 0x60, v1
	v_lshrrev_b32_e32 v17, 2, v0
	v_mul_lo_u32 v32, v11, s7
	v_mul_lo_u32 v33, v12, s7
	v_mad_u64_u32 v[11:12], null, 0x84, v12, v[20:21]
	v_mul_lo_u32 v34, v13, s7
	v_mad_u64_u32 v[12:13], null, 0x84, v13, v[20:21]
	v_mul_lo_u32 v35, v10, s7
	v_min_i32_e32 v15, s0, v15
	v_mad_u64_u32 v[13:14], null, 0x84, v10, v[20:21]
	v_min_i32_e32 v10, s0, v16
	v_add_nc_u32_e32 v16, 0x68, v1
	v_lshl_add_u32 v41, v1, 3, v17
	v_mul_hi_u32 v19, v18, v19
	v_mul_lo_u32 v36, v15, s7
	v_mad_u64_u32 v[14:15], null, 0x84, v15, v[20:21]
	v_min_i32_e32 v39, s0, v16
	v_sub_nc_u32_e32 v42, 0, v21
	v_mul_lo_u32 v37, v10, s7
	v_mad_u64_u32 v[15:16], null, 0x84, v10, v[20:21]
	v_min_i32_e32 v10, s0, v41
	v_mad_u64_u32 v[16:17], null, 0x84, v39, v[20:21]
	v_max_i32_e32 v43, v21, v42
	v_add_nc_u32_e32 v18, v18, v19
	v_add_nc_u32_e32 v40, 0x70, v1
	v_ashrrev_i32_e32 v17, 31, v10
	v_mul_lo_u32 v38, v39, s7
	v_add_nc_u32_e32 v41, 64, v41
	v_mul_hi_u32 v44, v43, v18
	v_min_i32_e32 v39, s0, v40
	v_lshrrev_b32_e32 v17, 29, v17
	v_add_nc_u32_e32 v19, 0x78, v1
	v_and_b32_e32 v24, 28, v20
	v_lshrrev_b32_e32 v23, 3, v0
	v_mul_lo_u32 v40, v39, s7
	v_add_nc_u32_e32 v42, v10, v17
	v_mad_u64_u32 v[17:18], null, 0x84, v39, v[20:21]
	v_min_i32_e32 v39, s0, v41
	v_mul_lo_u32 v46, v44, s4
	v_min_i32_e32 v19, s0, v19
	v_ashrrev_i32_e32 v45, 3, v42
	v_and_b32_e32 v42, 3, v0
	v_ashrrev_i32_e32 v47, 31, v39
	v_lshlrev_b32_e32 v56, 4, v1
	v_mul_lo_u32 v41, v19, s7
	v_mad_u64_u32 v[18:19], null, 0x84, v19, v[20:21]
	v_lshlrev_b32_e32 v19, 2, v45
	v_lshlrev_b32_e32 v48, 2, v42
	v_lshrrev_b32_e32 v45, 29, v47
	v_sub_nc_u32_e32 v46, v43, v46
	v_add_nc_u32_e32 v47, 1, v44
	v_mul_lo_u32 v43, v10, s7
	v_add3_u32 v54, v19, v48, 0x4200
	v_add_nc_u32_e32 v19, v39, v45
	v_subrev_nc_u32_e32 v45, s4, v46
	v_cmp_le_u32_e32 vcc_lo, s4, v46
	v_lshlrev_b32_e32 v10, 4, v10
	v_lshlrev_b32_e32 v52, 4, v0
	v_ashrrev_i32_e32 v19, 3, v19
	v_lshlrev_b32_e32 v57, 2, v23
	v_cndmask_b32_e32 v44, v44, v47, vcc_lo
	v_cndmask_b32_e32 v46, v46, v45, vcc_lo
	v_xor_b32_e32 v47, s14, v21
	v_lshlrev_b32_e32 v19, 2, v19
	v_mul_lo_u32 v45, v39, s7
	v_add_nc_u32_e32 v49, 1, v44
	v_cmp_le_u32_e32 vcc_lo, s4, v46
	v_ashrrev_i32_e32 v50, 31, v47
	v_add3_u32 v55, v19, v48, 0x4200
	v_add_nc_u32_e32 v48, 64, v0
	v_and_b32_e32 v47, 31, v0
	v_cndmask_b32_e32 v44, v44, v49, vcc_lo
	v_add_nc_u32_e32 v49, 32, v0
	v_lshl_add_u32 v46, v1, 7, 0x4a40
	v_lshlrev_b32_e32 v39, 4, v39
	v_cmp_gt_u32_e64 s0, 4, v0
	v_xor_b32_e32 v19, v44, v50
	v_add_nc_u32_e32 v44, 0x4e40, v20
	v_add_nc_u32_e32 v20, 0x60, v0
	v_lshrrev_b32_e32 v49, 1, v49
	v_mov_b32_e32 v22, 0
	v_sub_nc_u32_e32 v19, v19, v50
	v_lshrrev_b32_e32 v50, 1, v48
	v_lshrrev_b32_e32 v20, 1, v20
	v_and_b32_e32 v53, 0xfc, v49
	v_lshl_add_u32 v47, v47, 2, v46
	v_mul_lo_u32 v48, v19, s8
	v_and_b32_e32 v50, 0xfc, v50
	v_and_b32_e32 v51, 0xfc, v20
	v_cmp_gt_i32_e32 vcc_lo, s11, v19
	v_add_co_u32 v19, s4, s2, v24
	v_mul_u32_u24_e32 v1, 0x84, v0
	v_add_co_ci_u32_e64 v20, null, s3, 0, s4
	v_add3_u32 v49, v52, v51, 0x4800
	v_add3_u32 v50, v52, v50, 0x4600
	v_add3_u32 v51, v52, v53, 0x4400
	v_add3_u32 v52, v52, v57, 0x4200
	v_add_nc_u32_e32 v53, 0x4e40, v56
	v_add_nc_u32_e32 v54, v54, v10
	;; [unrolled: 1-line block ×4, first 2 shown]
	v_mov_b32_e32 v44, 0
	v_mov_b32_e32 v39, 0
	;; [unrolled: 1-line block ×3, first 2 shown]
	s_mov_b32 s10, 0
	s_and_b32 s15, s0, vcc_lo
	s_branch .LBB186_5
.LBB186_4:                              ;   in Loop: Header=BB186_5 Depth=1
	s_add_i32 s10, s10, 4
	s_cmp_ge_i32 s10, s7
	s_cbranch_scc1 .LBB186_13
.LBB186_5:                              ; =>This Loop Header: Depth=1
                                        ;     Child Loop BB186_11 Depth 2
	s_mul_i32 s0, s10, 34
	s_mul_hi_u32 s5, s10, 34
	s_add_u32 s4, s1, s0
	s_addc_u32 s5, s12, s5
	v_mad_u64_u32 v[57:58], null, v23, 34, s[4:5]
	v_mad_u64_u32 v[87:88], null, v42, 34, s[4:5]
	v_mad_i64_i32 v[59:60], null, v25, 34, v[57:58]
	v_mad_i64_i32 v[61:62], null, v26, 34, v[57:58]
	;; [unrolled: 1-line block ×4, first 2 shown]
	v_add_co_u32 v59, s0, v59, v24
	v_mad_i64_i32 v[67:68], null, v29, 34, v[57:58]
	v_add_co_ci_u32_e64 v60, null, 0, v60, s0
	v_add_co_u32 v61, s0, v61, v24
	v_mad_i64_i32 v[69:70], null, v30, 34, v[57:58]
	v_add_co_ci_u32_e64 v62, null, 0, v62, s0
	;; [unrolled: 3-line block ×12, first 2 shown]
	v_add_co_u32 v83, s0, v83, v24
	v_mad_i64_i32 v[91:92], null, v43, 34, v[87:88]
	v_mad_i64_i32 v[87:88], null, v45, 34, v[87:88]
	v_add_co_ci_u32_e64 v84, null, 0, v84, s0
	v_add_co_u32 v85, s0, v85, v24
	v_add_co_ci_u32_e64 v86, null, 0, v86, s0
	v_add_co_u32 v89, s0, v89, v24
	;; [unrolled: 2-line block ×3, first 2 shown]
	v_add_co_ci_u32_e64 v58, null, 0, v58, s0
	s_clause 0x11
	global_load_ushort v91, v[91:92], off
	global_load_ushort v87, v[87:88], off
	global_load_dword v59, v[59:60], off offset:2
	global_load_dword v60, v[61:62], off offset:2
	;; [unrolled: 1-line block ×16, first 2 shown]
	s_lshl_b32 s0, s10, 5
	s_cmp_ge_i32 s0, s9
	s_waitcnt vmcnt(17)
	v_cvt_f32_f16_e32 v58, v91
	s_waitcnt vmcnt(16)
	v_cvt_f32_f16_e32 v74, v87
	s_waitcnt vmcnt(15)
	ds_write_b32 v2, v59
	s_waitcnt vmcnt(14)
	ds_write_b32 v3, v60
	;; [unrolled: 2-line block ×16, first 2 shown]
	ds_write_b32 v54, v58
	ds_write_b32 v55, v74
	s_cbranch_scc1 .LBB186_4
; %bb.6:                                ;   in Loop: Header=BB186_5 Depth=1
	v_add_nc_u32_e32 v57, s10, v23
	v_cmp_gt_i32_e64 s0, s8, v57
	s_and_b32 s4, vcc_lo, s0
	s_and_saveexec_b32 s0, s4
	s_cbranch_execz .LBB186_8
; %bb.7:                                ;   in Loop: Header=BB186_5 Depth=1
	v_add_nc_u32_e32 v57, v48, v57
	v_mad_i64_i32 v[57:58], null, v57, 36, v[19:20]
	global_load_dword v57, v[57:58], off offset:4
	s_waitcnt vmcnt(0)
	ds_write_b32 v47, v57
.LBB186_8:                              ;   in Loop: Header=BB186_5 Depth=1
	s_or_b32 exec_lo, exec_lo, s0
	v_or_b32_e32 v57, s10, v0
	v_cmp_gt_i32_e64 s0, s8, v57
	s_and_b32 s4, s15, s0
	s_and_saveexec_b32 s0, s4
	s_cbranch_execz .LBB186_10
; %bb.9:                                ;   in Loop: Header=BB186_5 Depth=1
	v_add_nc_u32_e32 v57, v48, v57
	v_mad_i64_i32 v[57:58], null, v57, 36, s[2:3]
	global_load_dword v57, v[57:58], off
	s_waitcnt vmcnt(0)
	v_cvt_f32_f16_e32 v57, v57
	ds_write_b32 v56, v57
.LBB186_10:                             ;   in Loop: Header=BB186_5 Depth=1
	s_or_b32 exec_lo, exec_lo, s0
	v_mov_b32_e32 v57, v46
	v_mov_b32_e32 v58, v53
	;; [unrolled: 1-line block ×7, first 2 shown]
	s_mov_b32 s0, -8
	s_waitcnt lgkmcnt(0)
	s_barrier
	buffer_gl0_inv
.LBB186_11:                             ;   Parent Loop BB186_5 Depth=1
                                        ; =>  This Inner Loop Header: Depth=2
	v_add_nc_u32_e32 v80, 0x1080, v63
	v_add_nc_u32_e32 v82, 0x2100, v63
	;; [unrolled: 1-line block ×3, first 2 shown]
	ds_read_b128 v[64:67], v57
	ds_read_b128 v[68:71], v57 offset:16
	ds_read2_b32 v[72:73], v63 offset0:2 offset1:3
	ds_read2_b32 v[74:75], v63 offset0:4 offset1:5
	;; [unrolled: 1-line block ×3, first 2 shown]
	ds_read_b32 v105, v58
	ds_read_b32 v106, v59
	ds_read2_b32 v[78:79], v63 offset1:1
	ds_read_b32 v107, v60
	ds_read_b32 v108, v61
	;; [unrolled: 1-line block ×3, first 2 shown]
	ds_read2_b32 v[80:81], v80 offset1:1
	ds_read2_b32 v[82:83], v82 offset1:1
	ds_read2_b32 v[84:85], v84 offset1:1
	v_add_nc_u32_e32 v86, 0x1088, v63
	v_add_nc_u32_e32 v88, 0x2108, v63
	;; [unrolled: 1-line block ×3, first 2 shown]
	ds_read2_b32 v[86:87], v86 offset1:1
	ds_read2_b32 v[88:89], v88 offset1:1
	;; [unrolled: 1-line block ×3, first 2 shown]
	v_mov_b32_e32 v102, 0
	v_mov_b32_e32 v103, 0
	v_add_nc_u32_e32 v92, 0x1090, v63
	v_mov_b32_e32 v104, 0
	v_mov_b32_e32 v110, 0
	v_add_nc_u32_e32 v94, 0x1098, v63
	v_add_nc_u32_e32 v96, 0x2110, v63
	;; [unrolled: 1-line block ×3, first 2 shown]
	ds_read2_b32 v[92:93], v92 offset1:1
	ds_read2_b32 v[94:95], v94 offset1:1
	;; [unrolled: 1-line block ×4, first 2 shown]
	s_waitcnt lgkmcnt(13)
	v_dot4c_i32_i8 v102, v78, v64
	s_waitcnt lgkmcnt(9)
	v_dot4c_i32_i8 v103, v80, v64
	;; [unrolled: 2-line block ×4, first 2 shown]
	v_add_nc_u32_e32 v100, 0x2118, v63
	v_add_nc_u32_e32 v111, 0x3198, v63
	v_dot4c_i32_i8 v102, v79, v65
	v_dot4c_i32_i8 v103, v81, v65
	;; [unrolled: 1-line block ×4, first 2 shown]
	ds_read2_b32 v[100:101], v100 offset1:1
	ds_read2_b32 v[64:65], v111 offset1:1
	v_dot4c_i32_i8 v102, v72, v66
	s_waitcnt lgkmcnt(8)
	v_dot4c_i32_i8 v103, v86, v66
	s_waitcnt lgkmcnt(7)
	;; [unrolled: 2-line block ×3, first 2 shown]
	v_dot4c_i32_i8 v110, v90, v66
	v_mul_f32_e32 v66, v105, v106
	v_dot4c_i32_i8 v102, v73, v67
	v_dot4c_i32_i8 v103, v87, v67
	;; [unrolled: 1-line block ×4, first 2 shown]
	v_mul_f32_e32 v67, v105, v107
	v_dot4c_i32_i8 v102, v74, v68
	s_waitcnt lgkmcnt(5)
	v_dot4c_i32_i8 v103, v92, v68
	s_waitcnt lgkmcnt(3)
	;; [unrolled: 2-line block ×3, first 2 shown]
	v_dot4c_i32_i8 v110, v98, v68
	v_add_nc_u32_e32 v63, 32, v63
	v_dot4c_i32_i8 v102, v75, v69
	v_dot4c_i32_i8 v103, v93, v69
	;; [unrolled: 1-line block ×4, first 2 shown]
	v_add_nc_u32_e32 v62, 4, v62
	v_dot4c_i32_i8 v102, v76, v70
	v_dot4c_i32_i8 v103, v94, v70
	s_waitcnt lgkmcnt(1)
	v_dot4c_i32_i8 v104, v100, v70
	s_waitcnt lgkmcnt(0)
	v_dot4c_i32_i8 v110, v64, v70
	v_mul_f32_e32 v64, v105, v108
	v_dot4c_i32_i8 v102, v77, v71
	v_dot4c_i32_i8 v103, v95, v71
	;; [unrolled: 1-line block ×4, first 2 shown]
	v_mul_f32_e32 v65, v105, v109
	v_cvt_f32_i32_e32 v68, v102
	v_cvt_f32_i32_e32 v69, v103
	;; [unrolled: 1-line block ×4, first 2 shown]
	v_add_nc_u32_e32 v61, 4, v61
	v_add_nc_u32_e32 v60, 4, v60
	;; [unrolled: 1-line block ×5, first 2 shown]
	v_fmac_f32_e32 v22, v66, v68
	v_fmac_f32_e32 v44, v67, v69
	;; [unrolled: 1-line block ×4, first 2 shown]
	s_add_i32 s0, s0, 8
	s_cmp_lt_u32 s0, 24
	s_cbranch_scc1 .LBB186_11
; %bb.12:                               ;   in Loop: Header=BB186_5 Depth=1
	s_barrier
	buffer_gl0_inv
	s_branch .LBB186_4
.LBB186_13:
	s_mul_i32 s0, s14, s11
	s_waitcnt vmcnt(0)
	v_cmp_gt_i32_e32 vcc_lo, s0, v21
	s_and_saveexec_b32 s0, vcc_lo
	s_cbranch_execz .LBB186_22
; %bb.14:
	v_add_nc_u32_e32 v1, s6, v0
	v_mul_lo_u32 v0, v21, s13
	s_mov_b32 s0, exec_lo
	v_cmpx_gt_u32_e64 s13, v1
	s_cbranch_execz .LBB186_16
; %bb.15:
	v_add_nc_u32_e32 v2, v0, v1
	v_mov_b32_e32 v3, 0
	v_lshlrev_b64 v[2:3], 2, v[2:3]
	v_add_co_u32 v2, vcc_lo, s16, v2
	v_add_co_ci_u32_e64 v3, null, s17, v3, vcc_lo
	global_store_dword v[2:3], v22, off
.LBB186_16:
	s_or_b32 exec_lo, exec_lo, s0
	v_add_nc_u32_e32 v2, 32, v1
	s_mov_b32 s0, exec_lo
	v_cmpx_gt_u32_e64 s13, v2
	s_cbranch_execz .LBB186_18
; %bb.17:
	v_add_nc_u32_e32 v2, v0, v2
	v_mov_b32_e32 v3, 0
	v_lshlrev_b64 v[2:3], 2, v[2:3]
	v_add_co_u32 v2, vcc_lo, s16, v2
	v_add_co_ci_u32_e64 v3, null, s17, v3, vcc_lo
	global_store_dword v[2:3], v44, off
.LBB186_18:
	s_or_b32 exec_lo, exec_lo, s0
	v_add_nc_u32_e32 v2, 64, v1
	s_mov_b32 s0, exec_lo
	v_cmpx_gt_u32_e64 s13, v2
	s_cbranch_execz .LBB186_20
; %bb.19:
	v_add_nc_u32_e32 v2, v0, v2
	v_mov_b32_e32 v3, 0
	v_lshlrev_b64 v[2:3], 2, v[2:3]
	v_add_co_u32 v2, vcc_lo, s16, v2
	v_add_co_ci_u32_e64 v3, null, s17, v3, vcc_lo
	global_store_dword v[2:3], v39, off
.LBB186_20:
	s_or_b32 exec_lo, exec_lo, s0
	v_add_nc_u32_e32 v1, 0x60, v1
	v_cmp_gt_u32_e32 vcc_lo, s13, v1
	s_and_b32 exec_lo, exec_lo, vcc_lo
	s_cbranch_execz .LBB186_22
; %bb.21:
	v_add_nc_u32_e32 v0, v0, v1
	v_mov_b32_e32 v1, 0
	v_lshlrev_b64 v[0:1], 2, v[0:1]
	v_add_co_u32 v0, vcc_lo, s16, v0
	v_add_co_ci_u32_e64 v1, null, s17, v1, vcc_lo
	global_store_dword v[0:1], v10, off
.LBB186_22:
	s_endpgm
	.section	.rodata,"a",@progbits
	.p2align	6, 0x0
	.amdhsa_kernel _ZL8moe_q8_0IfLb1EEvPKvS1_PT_PKiS5_S5_iiiiiii
		.amdhsa_group_segment_fixed_size 20160
		.amdhsa_private_segment_fixed_size 0
		.amdhsa_kernarg_size 76
		.amdhsa_user_sgpr_count 6
		.amdhsa_user_sgpr_private_segment_buffer 1
		.amdhsa_user_sgpr_dispatch_ptr 0
		.amdhsa_user_sgpr_queue_ptr 0
		.amdhsa_user_sgpr_kernarg_segment_ptr 1
		.amdhsa_user_sgpr_dispatch_id 0
		.amdhsa_user_sgpr_flat_scratch_init 0
		.amdhsa_user_sgpr_private_segment_size 0
		.amdhsa_wavefront_size32 1
		.amdhsa_uses_dynamic_stack 0
		.amdhsa_system_sgpr_private_segment_wavefront_offset 0
		.amdhsa_system_sgpr_workgroup_id_x 1
		.amdhsa_system_sgpr_workgroup_id_y 1
		.amdhsa_system_sgpr_workgroup_id_z 0
		.amdhsa_system_sgpr_workgroup_info 0
		.amdhsa_system_vgpr_workitem_id 1
		.amdhsa_next_free_vgpr 112
		.amdhsa_next_free_sgpr 19
		.amdhsa_reserve_vcc 1
		.amdhsa_reserve_flat_scratch 0
		.amdhsa_float_round_mode_32 0
		.amdhsa_float_round_mode_16_64 0
		.amdhsa_float_denorm_mode_32 3
		.amdhsa_float_denorm_mode_16_64 3
		.amdhsa_dx10_clamp 1
		.amdhsa_ieee_mode 1
		.amdhsa_fp16_overflow 0
		.amdhsa_workgroup_processor_mode 1
		.amdhsa_memory_ordered 1
		.amdhsa_forward_progress 1
		.amdhsa_shared_vgpr_count 0
		.amdhsa_exception_fp_ieee_invalid_op 0
		.amdhsa_exception_fp_denorm_src 0
		.amdhsa_exception_fp_ieee_div_zero 0
		.amdhsa_exception_fp_ieee_overflow 0
		.amdhsa_exception_fp_ieee_underflow 0
		.amdhsa_exception_fp_ieee_inexact 0
		.amdhsa_exception_int_div_zero 0
	.end_amdhsa_kernel
	.section	.text._ZL8moe_q8_0IfLb1EEvPKvS1_PT_PKiS5_S5_iiiiiii,"axG",@progbits,_ZL8moe_q8_0IfLb1EEvPKvS1_PT_PKiS5_S5_iiiiiii,comdat
.Lfunc_end186:
	.size	_ZL8moe_q8_0IfLb1EEvPKvS1_PT_PKiS5_S5_iiiiiii, .Lfunc_end186-_ZL8moe_q8_0IfLb1EEvPKvS1_PT_PKiS5_S5_iiiiiii
                                        ; -- End function
	.set _ZL8moe_q8_0IfLb1EEvPKvS1_PT_PKiS5_S5_iiiiiii.num_vgpr, 112
	.set _ZL8moe_q8_0IfLb1EEvPKvS1_PT_PKiS5_S5_iiiiiii.num_agpr, 0
	.set _ZL8moe_q8_0IfLb1EEvPKvS1_PT_PKiS5_S5_iiiiiii.numbered_sgpr, 19
	.set _ZL8moe_q8_0IfLb1EEvPKvS1_PT_PKiS5_S5_iiiiiii.num_named_barrier, 0
	.set _ZL8moe_q8_0IfLb1EEvPKvS1_PT_PKiS5_S5_iiiiiii.private_seg_size, 0
	.set _ZL8moe_q8_0IfLb1EEvPKvS1_PT_PKiS5_S5_iiiiiii.uses_vcc, 1
	.set _ZL8moe_q8_0IfLb1EEvPKvS1_PT_PKiS5_S5_iiiiiii.uses_flat_scratch, 0
	.set _ZL8moe_q8_0IfLb1EEvPKvS1_PT_PKiS5_S5_iiiiiii.has_dyn_sized_stack, 0
	.set _ZL8moe_q8_0IfLb1EEvPKvS1_PT_PKiS5_S5_iiiiiii.has_recursion, 0
	.set _ZL8moe_q8_0IfLb1EEvPKvS1_PT_PKiS5_S5_iiiiiii.has_indirect_call, 0
	.section	.AMDGPU.csdata,"",@progbits
; Kernel info:
; codeLenInByte = 3092
; TotalNumSgprs: 21
; NumVgprs: 112
; ScratchSize: 0
; MemoryBound: 0
; FloatMode: 240
; IeeeMode: 1
; LDSByteSize: 20160 bytes/workgroup (compile time only)
; SGPRBlocks: 0
; VGPRBlocks: 13
; NumSGPRsForWavesPerEU: 21
; NumVGPRsForWavesPerEU: 112
; Occupancy: 9
; WaveLimiterHint : 1
; COMPUTE_PGM_RSRC2:SCRATCH_EN: 0
; COMPUTE_PGM_RSRC2:USER_SGPR: 6
; COMPUTE_PGM_RSRC2:TRAP_HANDLER: 0
; COMPUTE_PGM_RSRC2:TGID_X_EN: 1
; COMPUTE_PGM_RSRC2:TGID_Y_EN: 1
; COMPUTE_PGM_RSRC2:TGID_Z_EN: 0
; COMPUTE_PGM_RSRC2:TIDIG_COMP_CNT: 1
	.section	.text._ZL8moe_q2_KIfLb0EEvPKvS1_PT_PKiS5_S5_iiiiiii,"axG",@progbits,_ZL8moe_q2_KIfLb0EEvPKvS1_PT_PKiS5_S5_iiiiiii,comdat
	.globl	_ZL8moe_q2_KIfLb0EEvPKvS1_PT_PKiS5_S5_iiiiiii ; -- Begin function _ZL8moe_q2_KIfLb0EEvPKvS1_PT_PKiS5_S5_iiiiiii
	.p2align	8
	.type	_ZL8moe_q2_KIfLb0EEvPKvS1_PT_PKiS5_S5_iiiiiii,@function
_ZL8moe_q2_KIfLb0EEvPKvS1_PT_PKiS5_S5_iiiiiii: ; @_ZL8moe_q2_KIfLb0EEvPKvS1_PT_PKiS5_S5_iiiiiii
; %bb.0:
	s_load_dwordx4 s[0:3], s[4:5], 0x18
	s_mov_b32 s8, s7
	s_mov_b32 s9, 0
	s_lshl_b64 s[10:11], s[8:9], 2
	s_waitcnt lgkmcnt(0)
	s_add_u32 s2, s2, s10
	s_addc_u32 s3, s3, s11
	s_load_dword s7, s[2:3], 0x0
	s_waitcnt lgkmcnt(0)
	s_cmpk_gt_u32 s7, 0xff
	s_cbranch_scc1 .LBB187_46
; %bb.1:
	s_load_dwordx2 s[2:3], s[4:5], 0x28
	s_waitcnt lgkmcnt(0)
	s_load_dword s3, s[2:3], 0x0
	s_lshl_b32 s2, s8, 3
	s_waitcnt lgkmcnt(0)
	s_cmp_gt_u32 s2, s3
	s_cbranch_scc1 .LBB187_46
; %bb.2:
	v_add_nc_u32_e32 v4, s2, v1
	v_mov_b32_e32 v5, 0
	s_lshl_b32 s6, s6, 7
	v_lshlrev_b64 v[2:3], 2, v[4:5]
	v_mov_b32_e32 v39, v5
	v_mov_b32_e32 v44, v5
	;; [unrolled: 1-line block ×3, first 2 shown]
	v_add_co_u32 v2, vcc_lo, s0, v2
	v_add_co_ci_u32_e64 v3, null, s1, v3, vcc_lo
	global_load_dword v8, v[2:3], off
	s_clause 0x2
	s_load_dwordx2 s[14:15], s[4:5], 0x30
	s_load_dwordx2 s[12:13], s[4:5], 0x10
	s_load_dwordx4 s[8:11], s[4:5], 0x3c
	s_waitcnt lgkmcnt(0)
	s_cmpk_lt_i32 s15, 0x100
	s_cbranch_scc1 .LBB187_37
; %bb.3:
	s_load_dwordx4 s[0:3], s[4:5], 0x0
	s_ashr_i32 s4, s15, 31
	s_ashr_i32 s5, s9, 31
	s_lshr_b32 s4, s4, 24
	s_lshr_b32 s5, s5, 27
	s_add_i32 s4, s15, s4
	s_mul_i32 s14, s7, s14
	s_ashr_i32 s7, s4, 8
	s_add_i32 s4, s9, s5
	s_mul_i32 s5, s7, s6
	s_ashr_i32 s16, s14, 31
	s_ashr_i32 s9, s4, 5
	s_mul_hi_i32 s4, s5, 0x54
	s_mulk_i32 s5, 0x54
	v_lshlrev_b32_e32 v2, 2, v0
	v_lshrrev_b32_e32 v13, 3, v0
	v_lshlrev_b32_e32 v3, 4, v1
	v_lshl_add_u32 v15, v1, 7, 0x56a0
	v_mul_i32_i24_e32 v24, s7, v1
	v_mad_u32_u24 v18, 0x84, v1, v2
	s_waitcnt lgkmcnt(0)
	s_add_u32 s0, s0, s14
	s_addc_u32 s1, s1, s16
	s_add_u32 s14, s0, s5
	s_addc_u32 s16, s1, s4
	s_lshl_b32 s0, s7, 3
	s_abs_i32 s1, s11
	v_mad_i32_i24 v12, s7, v1, s0
	v_cvt_f32_u32_e32 v6, s1
	s_sub_i32 s4, 0, s1
	v_lshl_add_u32 v33, v1, 2, v13
	v_lshrrev_b32_e32 v4, 1, v0
	v_add_nc_u32_e32 v14, s0, v12
	v_rcp_iflag_f32_e32 v6, v6
	v_and_b32_e32 v11, 1, v0
	s_waitcnt vmcnt(0)
	v_sub_nc_u32_e32 v7, 0, v8
	v_add_nc_u32_e32 v4, v4, v3
	v_add_nc_u32_e32 v16, s0, v14
	v_and_b32_e32 v5, 7, v0
	v_lshlrev_b32_e32 v30, 2, v11
	v_max_i32_e32 v7, v8, v7
	v_and_b32_e32 v31, 0x7f, v4
	v_add_nc_u32_e32 v19, s0, v16
	v_mul_f32_e32 v6, 0x4f7ffffe, v6
	v_cmp_lt_u32_e32 vcc_lo, 3, v5
	v_lshlrev_b32_e32 v5, 2, v5
	v_lshl_or_b32 v37, v31, 3, v30
	v_add_nc_u32_e32 v21, s0, v19
	v_cvt_u32_f32_e32 v6, v6
	v_and_b32_e32 v32, 0x7fc, v33
	v_mul_i32_i24_e32 v29, s7, v31
	v_lshrrev_b32_e32 v4, 2, v4
	v_add_nc_u32_e32 v23, s0, v21
	v_mul_lo_u32 v1, s4, v6
	v_add_nc_u32_e32 v34, 32, v33
	v_add3_u32 v57, v32, v5, 0x4200
	v_add_nc_u32_e32 v35, 64, v33
	v_add_nc_u32_e32 v25, s0, v23
	;; [unrolled: 1-line block ×3, first 2 shown]
	v_and_b32_e32 v4, 28, v4
	v_lshlrev_b32_e32 v58, 5, v34
	v_mul_hi_u32 v1, v6, v1
	v_add_nc_u32_e32 v27, s0, v25
	v_and_b32_e32 v38, 0xffc, v35
	v_and_b32_e32 v40, 0xffc, v36
	v_lshlrev_b32_e32 v59, 5, v35
	v_add3_u32 v35, v37, v4, 0x5280
	v_add_nc_u32_e32 v28, s0, v27
	v_add3_u32 v61, v38, v5, 0x4200
	v_add_nc_u32_e32 v1, v6, v1
	v_and_b32_e32 v6, 0xffc, v34
	v_add_nc_u32_e32 v42, 0x5aa0, v3
	v_add_nc_u32_e32 v30, s0, v28
	v_and_b32_e32 v17, 60, v2
	v_mul_hi_u32 v1, v7, v1
	v_add3_u32 v4, v6, v5, 0x4200
	v_add3_u32 v5, v40, v5, 0x4200
	v_add_nc_u32_e32 v31, s0, v30
	v_and_b32_e32 v22, 12, v2
	v_and_b32_e32 v44, 28, v2
	v_add_nc_u32_e32 v43, v42, v2
	v_xor_b32_e32 v2, s11, v8
	v_add_nc_u32_e32 v32, s0, v31
	v_mul_lo_u32 v41, v1, s1
	v_and_b32_e32 v39, 31, v0
	s_lshl_b32 s4, s7, 5
	v_ashrrev_i32_e32 v2, 31, v2
	v_add_nc_u32_e32 v34, s0, v32
	v_mul_i32_i24_e32 v26, s7, v33
	v_lshlrev_b32_e32 v56, 5, v33
	v_mad_i32_i24 v33, s7, v33, s4
	v_sub_nc_u32_e32 v6, v7, v41
	v_add_nc_u32_e32 v37, s0, v34
	v_add_nc_u32_e32 v7, 1, v1
	v_lshl_add_u32 v41, v39, 2, v15
	v_mul_u32_u24_e32 v39, 33, v0
	v_subrev_nc_u32_e32 v3, s1, v6
	v_add_nc_u32_e32 v40, s0, v37
	v_cmp_le_u32_e64 s0, s1, v6
	v_add_nc_u32_e32 v51, 32, v0
	v_add_nc_u32_e32 v52, 64, v0
	;; [unrolled: 1-line block ×3, first 2 shown]
	v_and_b32_e32 v53, 0xfc, v0
	v_cndmask_b32_e64 v1, v1, v7, s0
	v_cndmask_b32_e64 v3, v6, v3, s0
	v_lshrrev_b32_e32 v10, 4, v0
	v_lshlrev_b32_e32 v60, 5, v36
	v_add_nc_u32_e32 v36, s4, v33
	v_add_nc_u32_e32 v6, 1, v1
	v_cmp_le_u32_e64 s0, s1, v3
	v_lshlrev_b32_e32 v3, 1, v0
	v_lshlrev_b32_e32 v63, 1, v51
	v_lshrrev_b32_e32 v62, 4, v51
	v_lshlrev_b32_e32 v65, 1, v52
	v_cndmask_b32_e64 v1, v1, v6, s0
	v_lshrrev_b32_e32 v64, 4, v52
	v_lshlrev_b32_e32 v67, 1, v50
	v_lshrrev_b32_e32 v47, 3, v50
	v_add_co_u32 v6, s1, s2, v44
	v_xor_b32_e32 v1, v1, v2
	v_lshlrev_b32_e32 v49, 2, v39
	v_and_b32_e32 v39, 0x1fc, v50
	v_and_b32_e32 v44, 0x1fc, v51
	;; [unrolled: 1-line block ×3, first 2 shown]
	v_sub_nc_u32_e32 v1, v1, v2
	v_lshrrev_b32_e32 v2, 4, v50
	v_cndmask_b32_e64 v20, 0, 1, vcc_lo
	v_cmp_gt_u32_e32 vcc_lo, 4, v0
	v_mov_b32_e32 v9, 0
	v_cmp_gt_i32_e64 s0, s8, v1
	v_mul_lo_u32 v48, v1, s9
	v_lshlrev_b32_e32 v1, 5, v0
	v_add_nc_u32_e32 v38, s4, v36
	v_lshrrev_b32_e32 v45, 3, v51
	v_lshrrev_b32_e32 v46, 3, v52
	v_add_co_ci_u32_e64 v7, null, s3, 0, s1
	v_add_nc_u32_e32 v50, v1, v53
	v_ashrrev_i32_e32 v51, 31, v48
	v_add_nc_u32_e32 v52, v1, v39
	v_add_nc_u32_e32 v54, v1, v44
	;; [unrolled: 1-line block ×8, first 2 shown]
	v_lshlrev_b32_e32 v60, 2, v10
	v_lshlrev_b32_e32 v61, 2, v3
	;; [unrolled: 1-line block ×8, first 2 shown]
	v_mov_b32_e32 v68, 0xffff
	v_mov_b32_e32 v44, 0
	;; [unrolled: 1-line block ×4, first 2 shown]
	s_mov_b32 s17, 0
	s_and_b32 s18, vcc_lo, s0
	s_branch .LBB187_5
.LBB187_4:                              ;   in Loop: Header=BB187_5 Depth=1
	s_add_i32 s17, s17, 2
	s_cmp_ge_i32 s17, s7
	s_cbranch_scc1 .LBB187_37
.LBB187_5:                              ; =>This Loop Header: Depth=1
                                        ;     Child Loop BB187_11 Depth 2
                                        ;     Child Loop BB187_19 Depth 2
	;; [unrolled: 1-line block ×4, first 2 shown]
	s_mul_i32 s1, s17, 0x54
	s_mul_hi_u32 s5, s17, 0x54
	s_add_u32 s4, s14, s1
	s_addc_u32 s5, s16, s5
	v_add_nc_u32_e32 v99, 0x39c0, v18
	v_mad_u64_u32 v[1:2], null, 0x54, v10, s[4:5]
	v_add_nc_u32_e32 v100, 0x3de0, v18
	v_mad_u64_u32 v[3:4], null, 0x54, v24, v[1:2]
	v_mad_u64_u32 v[69:70], null, 0x54, v12, v[1:2]
	;; [unrolled: 1-line block ×4, first 2 shown]
	v_add_co_u32 v3, s1, v3, v17
	v_mad_u64_u32 v[75:76], null, 0x54, v19, v[1:2]
	v_add_co_ci_u32_e64 v4, null, 0, v4, s1
	v_add_co_u32 v69, s1, v69, v17
	v_mad_u64_u32 v[77:78], null, 0x54, v21, v[1:2]
	v_add_co_ci_u32_e64 v70, null, 0, v70, s1
	;; [unrolled: 3-line block ×4, first 2 shown]
	v_add_co_u32 v75, s1, v75, v17
	v_add_co_ci_u32_e64 v76, null, 0, v76, s1
	v_add_co_u32 v77, s1, v77, v17
	v_add_co_ci_u32_e64 v78, null, 0, v78, s1
	;; [unrolled: 2-line block ×3, first 2 shown]
	v_add_co_u32 v81, s1, v81, v17
	v_mad_u64_u32 v[83:84], null, 0x54, v27, v[1:2]
	v_add_co_ci_u32_e64 v82, null, 0, v82, s1
	s_clause 0x7
	global_load_dword v91, v[3:4], off offset:16
	global_load_dword v92, v[69:70], off offset:16
	;; [unrolled: 1-line block ×8, first 2 shown]
	v_mad_u64_u32 v[3:4], null, 0x54, v28, v[1:2]
	v_mad_u64_u32 v[71:72], null, 0x54, v30, v[1:2]
	;; [unrolled: 1-line block ×3, first 2 shown]
	v_add_co_u32 v69, s1, v83, v17
	v_mad_u64_u32 v[75:76], null, 0x54, v32, v[1:2]
	v_add_co_ci_u32_e64 v70, null, 0, v84, s1
	v_add_co_u32 v3, s1, v3, v17
	v_mad_u64_u32 v[77:78], null, 0x54, v34, v[1:2]
	v_add_co_ci_u32_e64 v4, null, 0, v4, s1
	;; [unrolled: 3-line block ×4, first 2 shown]
	v_add_co_u32 v75, s1, v75, v17
	v_add_co_ci_u32_e64 v76, null, 0, v76, s1
	v_add_co_u32 v77, s1, v77, v17
	v_mad_u64_u32 v[1:2], null, 0x54, v40, v[1:2]
	v_add_co_ci_u32_e64 v78, null, 0, v78, s1
	v_add_co_u32 v79, s1, v79, v17
	v_mad_u64_u32 v[83:84], null, 0x54, v29, s[4:5]
	v_add_co_ci_u32_e64 v80, null, 0, v80, s1
	v_add_co_u32 v81, s1, v81, v22
	v_add_co_ci_u32_e64 v82, null, 0, v82, s1
	v_add_co_u32 v1, s1, v1, v17
	v_add_co_ci_u32_e64 v2, null, 0, v2, s1
	v_mad_u64_u32 v[83:84], null, 0x54, v11, v[83:84]
	v_mad_u64_u32 v[85:86], null, 0x54, v26, v[81:82]
	v_mad_u64_u32 v[87:88], null, 0x54, v33, v[81:82]
	v_mad_u64_u32 v[89:90], null, 0x54, v36, v[81:82]
	v_mad_u64_u32 v[81:82], null, 0x54, v38, v[81:82]
	s_clause 0xc
	global_load_dword v69, v[69:70], off offset:16
	global_load_dword v3, v[3:4], off offset:16
	;; [unrolled: 1-line block ×9, first 2 shown]
	global_load_dword v74, v[85:86], off
	global_load_dword v75, v[87:88], off
	;; [unrolled: 1-line block ×4, first 2 shown]
	v_add_nc_u32_e32 v78, 0x420, v18
	s_lshl_b32 s4, s17, 8
	v_add_nc_u32_e32 v79, 0x840, v18
	v_add_nc_u32_e32 v80, 0xc60, v18
	s_cmp_lt_i32 s4, s15
	v_add_nc_u32_e32 v81, 0x1080, v18
	v_add_nc_u32_e32 v82, 0x14a0, v18
	;; [unrolled: 1-line block ×10, first 2 shown]
	s_waitcnt vmcnt(20)
	ds_write_b32 v18, v91
	s_waitcnt vmcnt(19)
	ds_write_b32 v78, v92
	;; [unrolled: 2-line block ×21, first 2 shown]
	s_cbranch_scc0 .LBB187_4
; %bb.6:                                ;   in Loop: Header=BB187_5 Depth=1
	s_lshl_b32 s5, s17, 3
	v_add_nc_u32_e32 v1, s5, v13
	v_cmp_gt_i32_e64 s1, s9, v1
	s_and_b32 s19, s0, s1
	s_and_saveexec_b32 s1, s19
	s_cbranch_execz .LBB187_8
; %bb.7:                                ;   in Loop: Header=BB187_5 Depth=1
	v_add_nc_u32_e32 v1, v48, v1
	v_mad_i64_i32 v[1:2], null, v1, 36, v[6:7]
	global_load_dword v1, v[1:2], off offset:4
	s_waitcnt vmcnt(0)
	ds_write_b32 v41, v1
.LBB187_8:                              ;   in Loop: Header=BB187_5 Depth=1
	s_or_b32 exec_lo, exec_lo, s1
	v_add_nc_u32_e32 v69, s5, v0
	v_cmp_gt_i32_e64 s1, s9, v69
	s_and_b32 s19, s18, s1
	s_and_saveexec_b32 s1, s19
	s_cbranch_execz .LBB187_10
; %bb.9:                                ;   in Loop: Header=BB187_5 Depth=1
	v_add_nc_u32_e32 v1, v48, v69
	v_mad_i64_i32 v[1:2], null, v1, 36, s[2:3]
	global_load_dword v1, v[1:2], off
	s_waitcnt vmcnt(0)
	v_cvt_f32_f16_e32 v1, v1
	ds_write_b32 v43, v1
.LBB187_10:                             ;   in Loop: Header=BB187_5 Depth=1
	s_or_b32 exec_lo, exec_lo, s1
	v_mov_b32_e32 v70, v42
	v_mov_b32_e32 v71, v15
	s_mov_b32 s1, 0
	s_waitcnt lgkmcnt(0)
	s_barrier
	buffer_gl0_inv
.LBB187_11:                             ;   Parent Loop BB187_5 Depth=1
                                        ; =>  This Inner Loop Header: Depth=2
	s_and_b32 s20, s1, 0x3ffffff8
	s_lshr_b32 s21, s1, 2
	v_lshl_add_u32 v85, s20, 2, v49
	s_and_b32 s20, s21, 0x3ffffffc
	s_and_b32 s19, s1, -16
	s_addk_i32 s20, 0x5280
	ds_read_b32 v72, v70
	ds_read_b128 v[73:76], v71
	ds_read_b128 v[1:4], v71 offset:16
	v_add3_u32 v87, s20, v62, v63
	v_add3_u32 v88, s20, v64, v65
	ds_read2_b32 v[77:78], v85 offset1:1
	ds_read2_b32 v[79:80], v85 offset0:2 offset1:3
	ds_read2_b32 v[81:82], v85 offset0:4 offset1:5
	;; [unrolled: 1-line block ×3, first 2 shown]
	s_add_i32 s19, s1, s19
	v_add3_u32 v90, s20, v66, v67
	v_add3_u32 v86, s20, v60, v61
	v_add_nc_u32_e32 v89, s19, v53
	v_add_nc_u32_e32 v93, s19, v54
	;; [unrolled: 1-line block ×16, first 2 shown]
	ds_read_b32 v122, v87
	ds_read_b32 v123, v88
	;; [unrolled: 1-line block ×4, first 2 shown]
	ds_read2_b32 v[85:86], v91 offset1:1
	ds_read2_b32 v[87:88], v92 offset1:1
	ds_read_u16 v126, v89
	ds_read2_b32 v[89:90], v94 offset1:1
	ds_read2_b32 v[91:92], v95 offset1:1
	ds_read_u16 v127, v93 offset:17920
	ds_read2_b32 v[93:94], v96 offset1:1
	ds_read2_b32 v[95:96], v97 offset1:1
	ds_read2_b32 v[97:98], v98 offset1:1
	ds_read2_b32 v[99:100], v99 offset1:1
	ds_read2_b32 v[101:102], v101 offset1:1
	ds_read2_b32 v[103:104], v103 offset1:1
	ds_read_u16 v128, v105 offset:18944
	ds_read2_b32 v[105:106], v106 offset1:1
	ds_read2_b32 v[107:108], v107 offset1:1
	ds_read_u16 v121, v121 offset:19968
	s_waitcnt lgkmcnt(23)
	v_ashrrev_i32_e32 v77, s1, v77
	s_waitcnt lgkmcnt(21)
	v_ashrrev_i32_e32 v81, s1, v81
	v_mov_b32_e32 v109, 0
	v_mov_b32_e32 v111, 0
	s_waitcnt lgkmcnt(15)
	v_ashrrev_i32_e32 v85, s1, v85
	v_and_b32_e32 v77, 0x3030303, v77
	v_and_b32_e32 v81, 0x3030303, v81
	s_waitcnt lgkmcnt(13)
	v_bfe_u32 v133, v126, 4, 4
	v_and_b32_e32 v134, 15, v126
	v_and_b32_sdwa v126, v68, v126 dst_sel:DWORD dst_unused:UNUSED_PAD src0_sel:DWORD src1_sel:BYTE_1
	s_waitcnt lgkmcnt(10)
	v_bfe_u32 v135, v127, 4, 4
	v_dot4c_i32_i8 v109, v77, v73
	v_mul_lo_u32 v133, 0x1010101, v133
	v_dot4c_i32_i8 v111, v81, v1
	v_lshrrev_b32_e32 v77, 4, v126
	v_and_b32_e32 v81, 15, v126
	s_waitcnt lgkmcnt(3)
	v_bfe_u32 v137, v128, 4, 4
	v_mul_lo_u32 v126, 0x1010101, v135
	v_ashrrev_i32_e32 v93, s1, v93
	s_waitcnt lgkmcnt(0)
	v_bfe_u32 v139, v121, 4, 4
	v_ashrrev_i32_e32 v101, s1, v101
	v_mul_lo_u32 v137, 0x1010101, v137
	v_mov_b32_e32 v110, 0
	v_mov_b32_e32 v113, 0
	v_mul_lo_u32 v139, 0x1010101, v139
	v_mov_b32_e32 v116, 0
	v_mov_b32_e32 v119, 0
	;; [unrolled: 1-line block ×3, first 2 shown]
	v_ashrrev_i32_e32 v78, s1, v78
	v_ashrrev_i32_e32 v86, s1, v86
	v_and_b32_e32 v85, 0x3030303, v85
	v_mov_b32_e32 v115, 0
	v_ashrrev_i32_e32 v94, s1, v94
	v_and_b32_e32 v93, 0x3030303, v93
	v_mov_b32_e32 v118, 0
	v_ashrrev_i32_e32 v102, s1, v102
	v_and_b32_e32 v101, 0x3030303, v101
	v_dot4c_i32_i8 v110, v133, v73
	v_dot4c_i32_i8 v113, v126, v73
	;; [unrolled: 1-line block ×4, first 2 shown]
	v_ashrrev_i32_e32 v79, s1, v79
	v_and_b32_e32 v78, 0x3030303, v78
	v_ashrrev_i32_e32 v87, s1, v87
	v_ashrrev_i32_e32 v89, s1, v89
	v_and_b32_e32 v86, 0x3030303, v86
	v_dot4c_i32_i8 v112, v85, v73
	v_ashrrev_i32_e32 v82, s1, v82
	v_and_b32_e32 v136, 15, v127
	v_and_b32_sdwa v127, v68, v127 dst_sel:DWORD dst_unused:UNUSED_PAD src0_sel:DWORD src1_sel:BYTE_1
	v_ashrrev_i32_e32 v97, s1, v97
	v_and_b32_e32 v138, 15, v128
	v_and_b32_sdwa v128, v68, v128 dst_sel:DWORD dst_unused:UNUSED_PAD src0_sel:DWORD src1_sel:BYTE_1
	v_and_b32_e32 v140, 15, v121
	v_and_b32_sdwa v121, v68, v121 dst_sel:DWORD dst_unused:UNUSED_PAD src0_sel:DWORD src1_sel:BYTE_1
	v_ashrrev_i32_e32 v95, s1, v95
	v_and_b32_e32 v94, 0x3030303, v94
	v_dot4c_i32_i8 v115, v93, v73
	v_ashrrev_i32_e32 v103, s1, v103
	v_and_b32_e32 v102, 0x3030303, v102
	v_dot4c_i32_i8 v118, v101, v73
	v_dot4c_i32_i8 v110, v133, v74
	;; [unrolled: 1-line block ×5, first 2 shown]
	v_mov_b32_e32 v114, 0
	v_ashrrev_i32_e32 v80, s1, v80
	v_and_b32_e32 v79, 0x3030303, v79
	v_ashrrev_i32_e32 v88, s1, v88
	v_ashrrev_i32_e32 v90, s1, v90
	v_and_b32_e32 v87, 0x3030303, v87
	v_and_b32_e32 v89, 0x3030303, v89
	v_dot4c_i32_i8 v109, v78, v74
	v_dot4c_i32_i8 v112, v86, v74
	v_mov_b32_e32 v117, 0
	v_and_b32_e32 v82, 0x3030303, v82
	v_ashrrev_i32_e32 v98, s1, v98
	v_ashrrev_i32_e32 v105, s1, v105
	v_lshrrev_b32_e32 v135, 4, v127
	v_and_b32_e32 v97, 0x3030303, v97
	v_lshrrev_b32_e32 v141, 4, v128
	v_lshrrev_b32_e32 v142, 4, v121
	v_ashrrev_i32_e32 v96, s1, v96
	v_and_b32_e32 v95, 0x3030303, v95
	v_dot4c_i32_i8 v115, v94, v74
	v_ashrrev_i32_e32 v83, s1, v83
	v_ashrrev_i32_e32 v104, s1, v104
	v_and_b32_e32 v103, 0x3030303, v103
	v_dot4c_i32_i8 v118, v102, v74
	v_dot4c_i32_i8 v110, v133, v75
	;; [unrolled: 1-line block ×5, first 2 shown]
	v_and_b32_e32 v80, 0x3030303, v80
	v_ashrrev_i32_e32 v91, s1, v91
	v_and_b32_e32 v88, 0x3030303, v88
	v_and_b32_e32 v90, 0x3030303, v90
	v_dot4c_i32_i8 v114, v89, v1
	v_dot4c_i32_i8 v109, v79, v75
	;; [unrolled: 1-line block ×3, first 2 shown]
	v_mov_b32_e32 v120, 0
	v_ashrrev_i32_e32 v99, s1, v99
	v_ashrrev_i32_e32 v106, s1, v106
	v_and_b32_e32 v98, 0x3030303, v98
	v_and_b32_e32 v105, 0x3030303, v105
	v_mul_lo_u32 v143, 0x1010101, v77
	v_dot4c_i32_i8 v111, v82, v2
	v_mul_lo_u32 v82, 0x1010101, v135
	v_mul_lo_u32 v85, 0x1010101, v141
	v_dot4c_i32_i8 v117, v97, v1
	v_mul_lo_u32 v89, 0x1010101, v142
	v_and_b32_e32 v96, 0x3030303, v96
	v_dot4c_i32_i8 v115, v95, v75
	v_ashrrev_i32_e32 v84, s1, v84
	v_and_b32_e32 v83, 0x3030303, v83
	v_and_b32_e32 v104, 0x3030303, v104
	v_dot4c_i32_i8 v118, v103, v75
	v_dot4c_i32_i8 v110, v133, v76
	;; [unrolled: 1-line block ×5, first 2 shown]
	v_ashrrev_i32_e32 v92, s1, v92
	v_and_b32_e32 v91, 0x3030303, v91
	v_dot4c_i32_i8 v114, v90, v2
	v_dot4c_i32_i8 v109, v80, v76
	;; [unrolled: 1-line block ×3, first 2 shown]
	v_ashrrev_i32_e32 v100, s1, v100
	v_ashrrev_i32_e32 v107, s1, v107
	v_and_b32_e32 v99, 0x3030303, v99
	v_and_b32_e32 v106, 0x3030303, v106
	v_dot4c_i32_i8 v120, v105, v1
	v_dot4c_i32_i8 v117, v98, v2
	;; [unrolled: 1-line block ×3, first 2 shown]
	v_and_b32_e32 v84, 0x3030303, v84
	v_dot4c_i32_i8 v111, v83, v3
	v_dot4c_i32_i8 v118, v104, v76
	;; [unrolled: 1-line block ×6, first 2 shown]
	v_and_b32_e32 v92, 0x3030303, v92
	v_dot4c_i32_i8 v114, v91, v3
	v_mul_lo_u32 v73, v134, v109
	v_mul_lo_u32 v74, v136, v112
	v_ashrrev_i32_e32 v108, s1, v108
	v_and_b32_e32 v100, 0x3030303, v100
	v_and_b32_e32 v107, 0x3030303, v107
	v_dot4c_i32_i8 v120, v106, v2
	v_dot4c_i32_i8 v117, v99, v3
	v_mul_lo_u32 v75, v138, v115
	v_dot4c_i32_i8 v111, v84, v4
	v_mul_lo_u32 v76, v140, v118
	v_dot4c_i32_i8 v110, v143, v2
	v_dot4c_i32_i8 v113, v82, v2
	;; [unrolled: 1-line block ×4, first 2 shown]
	v_and_b32_e32 v127, 15, v127
	v_dot4c_i32_i8 v114, v92, v4
	v_and_b32_e32 v128, 15, v128
	v_and_b32_e32 v108, 0x3030303, v108
	v_dot4c_i32_i8 v120, v107, v3
	v_dot4c_i32_i8 v117, v100, v4
	v_mad_u64_u32 v[77:78], null, v81, v111, v[73:74]
	v_dot4c_i32_i8 v110, v143, v3
	v_dot4c_i32_i8 v113, v82, v3
	;; [unrolled: 1-line block ×4, first 2 shown]
	v_mad_u64_u32 v[73:74], null, v127, v114, v[74:75]
	v_and_b32_e32 v121, 15, v121
	v_dot4c_i32_i8 v120, v108, v4
	v_mad_u64_u32 v[74:75], null, v128, v117, v[75:76]
	v_dot4c_i32_i8 v110, v143, v4
	v_dot4c_i32_i8 v113, v82, v4
	v_dot4c_i32_i8 v116, v85, v4
	v_dot4c_i32_i8 v119, v89, v4
	v_mad_u64_u32 v[1:2], null, v121, v120, v[76:77]
	v_cvt_f32_f16_sdwa v129, v125 dst_sel:DWORD dst_unused:UNUSED_PAD src0_sel:WORD_1
	v_cvt_f32_f16_sdwa v130, v122 dst_sel:DWORD dst_unused:UNUSED_PAD src0_sel:WORD_1
	;; [unrolled: 1-line block ×4, first 2 shown]
	v_cvt_f32_i32_e32 v3, v73
	v_cvt_f32_i32_e32 v4, v74
	;; [unrolled: 1-line block ×8, first 2 shown]
	v_mul_f32_e32 v73, v129, v73
	v_mul_f32_e32 v74, v130, v74
	;; [unrolled: 1-line block ×4, first 2 shown]
	v_add_nc_u32_e32 v71, 32, v71
	v_fma_mix_f32 v2, v125, v2, -v73 op_sel_hi:[1,0,0]
	v_fma_mix_f32 v3, v122, v3, -v74 op_sel_hi:[1,0,0]
	;; [unrolled: 1-line block ×4, first 2 shown]
	v_add_nc_u32_e32 v70, 4, v70
	v_fmac_f32_e32 v9, v72, v2
	v_fmac_f32_e32 v44, v72, v3
	;; [unrolled: 1-line block ×4, first 2 shown]
	s_add_i32 s19, s1, 2
	s_cmp_lt_u32 s1, 6
	s_mov_b32 s1, s19
	s_cbranch_scc1 .LBB187_11
; %bb.12:                               ;   in Loop: Header=BB187_5 Depth=1
	s_or_b32 s1, s4, 0x80
	s_cmp_ge_i32 s1, s15
	s_barrier
	buffer_gl0_inv
	s_cbranch_scc1 .LBB187_4
; %bb.13:                               ;   in Loop: Header=BB187_5 Depth=1
	v_add_nc_u32_e32 v1, s5, v45
	v_cmp_gt_i32_e64 s1, s9, v1
	s_and_b32 s19, s0, s1
	s_and_saveexec_b32 s1, s19
	s_cbranch_execz .LBB187_15
; %bb.14:                               ;   in Loop: Header=BB187_5 Depth=1
	v_add_nc_u32_e32 v1, v48, v1
	v_mad_i64_i32 v[1:2], null, v1, 36, v[6:7]
	global_load_dword v1, v[1:2], off offset:4
	s_waitcnt vmcnt(0)
	ds_write_b32 v41, v1
.LBB187_15:                             ;   in Loop: Header=BB187_5 Depth=1
	s_or_b32 exec_lo, exec_lo, s1
	s_and_saveexec_b32 s19, vcc_lo
	s_cbranch_execz .LBB187_18
; %bb.16:                               ;   in Loop: Header=BB187_5 Depth=1
	v_or_b32_e32 v1, 4, v69
	v_cmp_gt_i32_e64 s1, s9, v1
	s_and_b32 s1, s0, s1
	s_and_b32 exec_lo, exec_lo, s1
	s_cbranch_execz .LBB187_18
; %bb.17:                               ;   in Loop: Header=BB187_5 Depth=1
	v_ashrrev_i32_e32 v1, 31, v69
	v_add_co_u32 v2, s1, v48, v69
	v_add_co_ci_u32_e64 v3, null, v51, v1, s1
	v_mad_u64_u32 v[1:2], null, v2, 36, s[2:3]
	v_mad_i32_i24 v2, v3, 36, v2
	global_load_dword v1, v[1:2], off offset:144
	s_waitcnt vmcnt(0)
	v_cvt_f32_f16_e32 v1, v1
	ds_write_b32 v43, v1
.LBB187_18:                             ;   in Loop: Header=BB187_5 Depth=1
	s_or_b32 exec_lo, exec_lo, s19
	v_mov_b32_e32 v70, v15
	v_mov_b32_e32 v71, v42
	s_mov_b32 s1, 8
	s_waitcnt lgkmcnt(0)
	s_barrier
	buffer_gl0_inv
.LBB187_19:                             ;   Parent Loop BB187_5 Depth=1
                                        ; =>  This Inner Loop Header: Depth=2
	s_and_b32 s21, s1, 0x3ffffff8
	s_lshr_b32 s22, s1, 2
	v_lshl_add_u32 v85, s21, 2, v49
	s_and_b32 s21, s22, 0x3ffffffc
	s_and_b32 s20, s1, -16
	s_addk_i32 s21, 0x5280
	ds_read_b32 v72, v71
	ds_read_b128 v[73:76], v70
	ds_read_b128 v[1:4], v70 offset:16
	v_add3_u32 v87, s21, v62, v63
	v_add3_u32 v88, s21, v64, v65
	ds_read2_b32 v[77:78], v85 offset1:1
	ds_read2_b32 v[79:80], v85 offset0:2 offset1:3
	ds_read2_b32 v[81:82], v85 offset0:4 offset1:5
	;; [unrolled: 1-line block ×3, first 2 shown]
	s_add_i32 s20, s1, s20
	v_add3_u32 v90, s21, v66, v67
	v_add3_u32 v86, s21, v60, v61
	v_add_nc_u32_e32 v89, s20, v50
	v_add_nc_u32_e32 v93, s20, v54
	;; [unrolled: 1-line block ×16, first 2 shown]
	ds_read_b32 v122, v87
	ds_read_b32 v123, v88
	;; [unrolled: 1-line block ×4, first 2 shown]
	ds_read2_b32 v[85:86], v91 offset1:1
	ds_read2_b32 v[87:88], v92 offset1:1
	ds_read_u16 v126, v89 offset:16896
	ds_read2_b32 v[89:90], v94 offset1:1
	ds_read2_b32 v[91:92], v95 offset1:1
	ds_read_u16 v127, v93 offset:17920
	ds_read2_b32 v[93:94], v96 offset1:1
	ds_read2_b32 v[95:96], v97 offset1:1
	;; [unrolled: 1-line block ×6, first 2 shown]
	ds_read_u16 v128, v105 offset:18944
	ds_read2_b32 v[105:106], v106 offset1:1
	ds_read2_b32 v[107:108], v107 offset1:1
	ds_read_u16 v121, v121 offset:19968
	s_add_i32 s19, s1, -8
	v_mov_b32_e32 v109, 0
	s_waitcnt lgkmcnt(23)
	v_ashrrev_i32_e32 v77, s19, v77
	s_waitcnt lgkmcnt(21)
	v_ashrrev_i32_e32 v81, s19, v81
	v_mov_b32_e32 v111, 0
	s_waitcnt lgkmcnt(15)
	v_ashrrev_i32_e32 v85, s19, v85
	s_waitcnt lgkmcnt(13)
	v_bfe_u32 v133, v126, 4, 4
	v_and_b32_e32 v77, 0x3030303, v77
	v_and_b32_e32 v81, 0x3030303, v81
	;; [unrolled: 1-line block ×3, first 2 shown]
	v_and_b32_sdwa v126, v68, v126 dst_sel:DWORD dst_unused:UNUSED_PAD src0_sel:DWORD src1_sel:BYTE_1
	s_waitcnt lgkmcnt(10)
	v_bfe_u32 v135, v127, 4, 4
	v_mul_lo_u32 v133, 0x1010101, v133
	v_dot4c_i32_i8 v109, v77, v73
	v_dot4c_i32_i8 v111, v81, v1
	v_lshrrev_b32_e32 v77, 4, v126
	s_waitcnt lgkmcnt(3)
	v_bfe_u32 v137, v128, 4, 4
	v_and_b32_e32 v81, 15, v126
	v_mul_lo_u32 v126, 0x1010101, v135
	s_waitcnt lgkmcnt(0)
	v_bfe_u32 v139, v121, 4, 4
	v_ashrrev_i32_e32 v93, s19, v93
	v_mul_lo_u32 v137, 0x1010101, v137
	v_ashrrev_i32_e32 v101, s19, v101
	v_mov_b32_e32 v110, 0
	v_mul_lo_u32 v139, 0x1010101, v139
	v_mov_b32_e32 v113, 0
	v_mov_b32_e32 v116, 0
	;; [unrolled: 1-line block ×4, first 2 shown]
	v_ashrrev_i32_e32 v78, s19, v78
	v_ashrrev_i32_e32 v86, s19, v86
	v_and_b32_e32 v85, 0x3030303, v85
	v_mov_b32_e32 v115, 0
	v_ashrrev_i32_e32 v94, s19, v94
	v_and_b32_e32 v93, 0x3030303, v93
	v_mov_b32_e32 v118, 0
	v_ashrrev_i32_e32 v102, s19, v102
	v_and_b32_e32 v101, 0x3030303, v101
	v_dot4c_i32_i8 v110, v133, v73
	v_dot4c_i32_i8 v113, v126, v73
	v_dot4c_i32_i8 v116, v137, v73
	v_dot4c_i32_i8 v119, v139, v73
	v_ashrrev_i32_e32 v79, s19, v79
	v_and_b32_e32 v78, 0x3030303, v78
	v_ashrrev_i32_e32 v87, s19, v87
	v_ashrrev_i32_e32 v89, s19, v89
	v_and_b32_e32 v86, 0x3030303, v86
	v_dot4c_i32_i8 v112, v85, v73
	v_ashrrev_i32_e32 v82, s19, v82
	v_and_b32_e32 v136, 15, v127
	v_and_b32_sdwa v127, v68, v127 dst_sel:DWORD dst_unused:UNUSED_PAD src0_sel:DWORD src1_sel:BYTE_1
	v_ashrrev_i32_e32 v97, s19, v97
	v_and_b32_e32 v138, 15, v128
	v_and_b32_sdwa v128, v68, v128 dst_sel:DWORD dst_unused:UNUSED_PAD src0_sel:DWORD src1_sel:BYTE_1
	v_and_b32_e32 v140, 15, v121
	v_and_b32_sdwa v121, v68, v121 dst_sel:DWORD dst_unused:UNUSED_PAD src0_sel:DWORD src1_sel:BYTE_1
	v_ashrrev_i32_e32 v95, s19, v95
	v_and_b32_e32 v94, 0x3030303, v94
	v_dot4c_i32_i8 v115, v93, v73
	v_ashrrev_i32_e32 v103, s19, v103
	v_and_b32_e32 v102, 0x3030303, v102
	v_dot4c_i32_i8 v118, v101, v73
	v_dot4c_i32_i8 v110, v133, v74
	;; [unrolled: 1-line block ×5, first 2 shown]
	v_mov_b32_e32 v114, 0
	v_ashrrev_i32_e32 v80, s19, v80
	v_and_b32_e32 v79, 0x3030303, v79
	v_ashrrev_i32_e32 v88, s19, v88
	v_ashrrev_i32_e32 v90, s19, v90
	v_and_b32_e32 v87, 0x3030303, v87
	v_and_b32_e32 v89, 0x3030303, v89
	v_dot4c_i32_i8 v109, v78, v74
	v_dot4c_i32_i8 v112, v86, v74
	v_mov_b32_e32 v117, 0
	v_and_b32_e32 v82, 0x3030303, v82
	v_ashrrev_i32_e32 v98, s19, v98
	v_ashrrev_i32_e32 v105, s19, v105
	v_lshrrev_b32_e32 v135, 4, v127
	v_and_b32_e32 v97, 0x3030303, v97
	v_lshrrev_b32_e32 v141, 4, v128
	v_lshrrev_b32_e32 v142, 4, v121
	v_ashrrev_i32_e32 v96, s19, v96
	v_and_b32_e32 v95, 0x3030303, v95
	v_dot4c_i32_i8 v115, v94, v74
	v_ashrrev_i32_e32 v83, s19, v83
	v_ashrrev_i32_e32 v104, s19, v104
	v_and_b32_e32 v103, 0x3030303, v103
	v_dot4c_i32_i8 v118, v102, v74
	v_dot4c_i32_i8 v110, v133, v75
	;; [unrolled: 1-line block ×5, first 2 shown]
	v_and_b32_e32 v80, 0x3030303, v80
	v_ashrrev_i32_e32 v91, s19, v91
	v_and_b32_e32 v88, 0x3030303, v88
	v_and_b32_e32 v90, 0x3030303, v90
	v_dot4c_i32_i8 v114, v89, v1
	v_dot4c_i32_i8 v109, v79, v75
	;; [unrolled: 1-line block ×3, first 2 shown]
	v_mov_b32_e32 v120, 0
	v_ashrrev_i32_e32 v99, s19, v99
	v_ashrrev_i32_e32 v106, s19, v106
	v_and_b32_e32 v98, 0x3030303, v98
	v_and_b32_e32 v105, 0x3030303, v105
	v_mul_lo_u32 v143, 0x1010101, v77
	v_dot4c_i32_i8 v111, v82, v2
	v_mul_lo_u32 v82, 0x1010101, v135
	v_mul_lo_u32 v85, 0x1010101, v141
	v_dot4c_i32_i8 v117, v97, v1
	v_mul_lo_u32 v89, 0x1010101, v142
	v_and_b32_e32 v96, 0x3030303, v96
	v_dot4c_i32_i8 v115, v95, v75
	v_ashrrev_i32_e32 v84, s19, v84
	v_and_b32_e32 v83, 0x3030303, v83
	v_and_b32_e32 v104, 0x3030303, v104
	v_dot4c_i32_i8 v118, v103, v75
	v_dot4c_i32_i8 v110, v133, v76
	;; [unrolled: 1-line block ×5, first 2 shown]
	v_ashrrev_i32_e32 v92, s19, v92
	v_and_b32_e32 v91, 0x3030303, v91
	v_dot4c_i32_i8 v114, v90, v2
	v_dot4c_i32_i8 v109, v80, v76
	;; [unrolled: 1-line block ×3, first 2 shown]
	v_ashrrev_i32_e32 v100, s19, v100
	v_ashrrev_i32_e32 v107, s19, v107
	v_and_b32_e32 v99, 0x3030303, v99
	v_and_b32_e32 v106, 0x3030303, v106
	v_dot4c_i32_i8 v120, v105, v1
	v_dot4c_i32_i8 v117, v98, v2
	;; [unrolled: 1-line block ×3, first 2 shown]
	v_and_b32_e32 v84, 0x3030303, v84
	v_dot4c_i32_i8 v111, v83, v3
	v_dot4c_i32_i8 v118, v104, v76
	;; [unrolled: 1-line block ×6, first 2 shown]
	v_and_b32_e32 v92, 0x3030303, v92
	v_dot4c_i32_i8 v114, v91, v3
	v_mul_lo_u32 v73, v134, v109
	v_mul_lo_u32 v74, v136, v112
	v_ashrrev_i32_e32 v108, s19, v108
	v_and_b32_e32 v100, 0x3030303, v100
	v_and_b32_e32 v107, 0x3030303, v107
	v_dot4c_i32_i8 v120, v106, v2
	v_dot4c_i32_i8 v117, v99, v3
	v_mul_lo_u32 v75, v138, v115
	v_dot4c_i32_i8 v111, v84, v4
	v_mul_lo_u32 v76, v140, v118
	v_dot4c_i32_i8 v110, v143, v2
	v_dot4c_i32_i8 v113, v82, v2
	;; [unrolled: 1-line block ×4, first 2 shown]
	v_and_b32_e32 v127, 15, v127
	v_dot4c_i32_i8 v114, v92, v4
	v_and_b32_e32 v128, 15, v128
	v_and_b32_e32 v108, 0x3030303, v108
	v_dot4c_i32_i8 v120, v107, v3
	v_dot4c_i32_i8 v117, v100, v4
	v_mad_u64_u32 v[77:78], null, v81, v111, v[73:74]
	v_dot4c_i32_i8 v110, v143, v3
	v_dot4c_i32_i8 v113, v82, v3
	;; [unrolled: 1-line block ×4, first 2 shown]
	v_mad_u64_u32 v[73:74], null, v127, v114, v[74:75]
	v_and_b32_e32 v121, 15, v121
	v_dot4c_i32_i8 v120, v108, v4
	v_mad_u64_u32 v[74:75], null, v128, v117, v[75:76]
	v_dot4c_i32_i8 v110, v143, v4
	v_dot4c_i32_i8 v113, v82, v4
	;; [unrolled: 1-line block ×4, first 2 shown]
	v_mad_u64_u32 v[1:2], null, v121, v120, v[76:77]
	v_cvt_f32_f16_sdwa v129, v125 dst_sel:DWORD dst_unused:UNUSED_PAD src0_sel:WORD_1
	v_cvt_f32_f16_sdwa v130, v122 dst_sel:DWORD dst_unused:UNUSED_PAD src0_sel:WORD_1
	v_cvt_f32_f16_sdwa v131, v123 dst_sel:DWORD dst_unused:UNUSED_PAD src0_sel:WORD_1
	v_cvt_f32_f16_sdwa v132, v124 dst_sel:DWORD dst_unused:UNUSED_PAD src0_sel:WORD_1
	v_cvt_f32_i32_e32 v3, v73
	v_cvt_f32_i32_e32 v4, v74
	v_cvt_f32_i32_e32 v73, v110
	v_cvt_f32_i32_e32 v74, v113
	v_cvt_f32_i32_e32 v75, v116
	v_cvt_f32_i32_e32 v76, v119
	v_cvt_f32_i32_e32 v2, v77
	v_cvt_f32_i32_e32 v1, v1
	v_mul_f32_e32 v73, v129, v73
	v_mul_f32_e32 v74, v130, v74
	;; [unrolled: 1-line block ×4, first 2 shown]
	v_add_nc_u32_e32 v71, 4, v71
	v_fma_mix_f32 v2, v125, v2, -v73 op_sel_hi:[1,0,0]
	v_fma_mix_f32 v3, v122, v3, -v74 op_sel_hi:[1,0,0]
	v_fma_mix_f32 v4, v123, v4, -v75 op_sel_hi:[1,0,0]
	v_fma_mix_f32 v1, v124, v1, -v76 op_sel_hi:[1,0,0]
	v_add_nc_u32_e32 v70, 32, v70
	v_fmac_f32_e32 v9, v72, v2
	v_fmac_f32_e32 v44, v72, v3
	;; [unrolled: 1-line block ×4, first 2 shown]
	s_add_i32 s19, s1, 2
	s_cmp_lt_u32 s1, 14
	s_mov_b32 s1, s19
	s_cbranch_scc1 .LBB187_19
; %bb.20:                               ;   in Loop: Header=BB187_5 Depth=1
	s_or_b32 s1, s4, 0x100
	s_cmp_ge_i32 s1, s15
	s_barrier
	buffer_gl0_inv
	s_cbranch_scc1 .LBB187_4
; %bb.21:                               ;   in Loop: Header=BB187_5 Depth=1
	v_add_nc_u32_e32 v1, s5, v46
	v_cmp_gt_i32_e64 s1, s9, v1
	s_and_b32 s19, s0, s1
	s_and_saveexec_b32 s1, s19
	s_cbranch_execz .LBB187_23
; %bb.22:                               ;   in Loop: Header=BB187_5 Depth=1
	v_add_nc_u32_e32 v1, v48, v1
	v_mad_i64_i32 v[1:2], null, v1, 36, v[6:7]
	global_load_dword v1, v[1:2], off offset:4
	s_waitcnt vmcnt(0)
	ds_write_b32 v41, v1
.LBB187_23:                             ;   in Loop: Header=BB187_5 Depth=1
	s_or_b32 exec_lo, exec_lo, s1
	s_and_saveexec_b32 s19, vcc_lo
	s_cbranch_execz .LBB187_26
; %bb.24:                               ;   in Loop: Header=BB187_5 Depth=1
	v_or_b32_e32 v1, 8, v69
	v_cmp_gt_i32_e64 s1, s9, v1
	s_and_b32 s1, s0, s1
	s_and_b32 exec_lo, exec_lo, s1
	s_cbranch_execz .LBB187_26
; %bb.25:                               ;   in Loop: Header=BB187_5 Depth=1
	v_ashrrev_i32_e32 v1, 31, v69
	v_add_co_u32 v2, s1, v48, v69
	v_add_co_ci_u32_e64 v3, null, v51, v1, s1
	v_mad_u64_u32 v[1:2], null, v2, 36, s[2:3]
	v_mad_i32_i24 v2, v3, 36, v2
	global_load_dword v1, v[1:2], off offset:288
	s_waitcnt vmcnt(0)
	v_cvt_f32_f16_e32 v1, v1
	ds_write_b32 v43, v1
.LBB187_26:                             ;   in Loop: Header=BB187_5 Depth=1
	s_or_b32 exec_lo, exec_lo, s19
	v_mov_b32_e32 v70, v15
	v_mov_b32_e32 v71, v42
	s_mov_b32 s1, 16
	s_waitcnt lgkmcnt(0)
	s_barrier
	buffer_gl0_inv
.LBB187_27:                             ;   Parent Loop BB187_5 Depth=1
                                        ; =>  This Inner Loop Header: Depth=2
	s_and_b32 s21, s1, 0x3ffffff8
	s_lshr_b32 s22, s1, 2
	v_lshl_add_u32 v85, s21, 2, v49
	s_and_b32 s21, s22, 0x3ffffffc
	s_and_b32 s20, s1, -16
	s_addk_i32 s21, 0x5280
	ds_read_b32 v72, v71
	ds_read_b128 v[73:76], v70
	ds_read_b128 v[1:4], v70 offset:16
	v_add3_u32 v87, s21, v62, v63
	v_add3_u32 v88, s21, v64, v65
	ds_read2_b32 v[77:78], v85 offset1:1
	ds_read2_b32 v[79:80], v85 offset0:2 offset1:3
	ds_read2_b32 v[81:82], v85 offset0:4 offset1:5
	;; [unrolled: 1-line block ×3, first 2 shown]
	s_add_i32 s20, s1, s20
	v_add3_u32 v90, s21, v66, v67
	v_add3_u32 v86, s21, v60, v61
	v_add_nc_u32_e32 v89, s20, v50
	v_add_nc_u32_e32 v93, s20, v54
	;; [unrolled: 1-line block ×16, first 2 shown]
	ds_read_b32 v122, v87
	ds_read_b32 v123, v88
	;; [unrolled: 1-line block ×4, first 2 shown]
	ds_read2_b32 v[85:86], v91 offset1:1
	ds_read2_b32 v[87:88], v92 offset1:1
	ds_read_u16 v126, v89 offset:16880
	ds_read2_b32 v[89:90], v94 offset1:1
	ds_read2_b32 v[91:92], v95 offset1:1
	ds_read_u16 v127, v93 offset:17904
	ds_read2_b32 v[93:94], v96 offset1:1
	ds_read2_b32 v[95:96], v97 offset1:1
	;; [unrolled: 1-line block ×6, first 2 shown]
	ds_read_u16 v128, v105 offset:18928
	ds_read2_b32 v[105:106], v106 offset1:1
	ds_read2_b32 v[107:108], v107 offset1:1
	ds_read_u16 v121, v121 offset:19952
	s_add_i32 s19, s1, -16
	v_mov_b32_e32 v109, 0
	s_waitcnt lgkmcnt(23)
	v_ashrrev_i32_e32 v77, s19, v77
	s_waitcnt lgkmcnt(21)
	v_ashrrev_i32_e32 v81, s19, v81
	v_mov_b32_e32 v111, 0
	s_waitcnt lgkmcnt(15)
	v_ashrrev_i32_e32 v85, s19, v85
	s_waitcnt lgkmcnt(13)
	v_bfe_u32 v133, v126, 4, 4
	v_and_b32_e32 v77, 0x3030303, v77
	v_and_b32_e32 v81, 0x3030303, v81
	;; [unrolled: 1-line block ×3, first 2 shown]
	v_and_b32_sdwa v126, v68, v126 dst_sel:DWORD dst_unused:UNUSED_PAD src0_sel:DWORD src1_sel:BYTE_1
	s_waitcnt lgkmcnt(10)
	v_bfe_u32 v135, v127, 4, 4
	v_mul_lo_u32 v133, 0x1010101, v133
	v_dot4c_i32_i8 v109, v77, v73
	v_dot4c_i32_i8 v111, v81, v1
	v_lshrrev_b32_e32 v77, 4, v126
	s_waitcnt lgkmcnt(3)
	v_bfe_u32 v137, v128, 4, 4
	v_and_b32_e32 v81, 15, v126
	v_mul_lo_u32 v126, 0x1010101, v135
	s_waitcnt lgkmcnt(0)
	v_bfe_u32 v139, v121, 4, 4
	v_ashrrev_i32_e32 v93, s19, v93
	v_mul_lo_u32 v137, 0x1010101, v137
	v_ashrrev_i32_e32 v101, s19, v101
	v_mov_b32_e32 v110, 0
	v_mul_lo_u32 v139, 0x1010101, v139
	v_mov_b32_e32 v113, 0
	v_mov_b32_e32 v116, 0
	;; [unrolled: 1-line block ×4, first 2 shown]
	v_ashrrev_i32_e32 v78, s19, v78
	v_ashrrev_i32_e32 v86, s19, v86
	v_and_b32_e32 v85, 0x3030303, v85
	v_mov_b32_e32 v115, 0
	v_ashrrev_i32_e32 v94, s19, v94
	v_and_b32_e32 v93, 0x3030303, v93
	v_mov_b32_e32 v118, 0
	v_ashrrev_i32_e32 v102, s19, v102
	v_and_b32_e32 v101, 0x3030303, v101
	v_dot4c_i32_i8 v110, v133, v73
	v_dot4c_i32_i8 v113, v126, v73
	;; [unrolled: 1-line block ×4, first 2 shown]
	v_ashrrev_i32_e32 v79, s19, v79
	v_and_b32_e32 v78, 0x3030303, v78
	v_ashrrev_i32_e32 v87, s19, v87
	v_ashrrev_i32_e32 v89, s19, v89
	v_and_b32_e32 v86, 0x3030303, v86
	v_dot4c_i32_i8 v112, v85, v73
	v_ashrrev_i32_e32 v82, s19, v82
	v_and_b32_e32 v136, 15, v127
	v_and_b32_sdwa v127, v68, v127 dst_sel:DWORD dst_unused:UNUSED_PAD src0_sel:DWORD src1_sel:BYTE_1
	v_ashrrev_i32_e32 v97, s19, v97
	v_and_b32_e32 v138, 15, v128
	v_and_b32_sdwa v128, v68, v128 dst_sel:DWORD dst_unused:UNUSED_PAD src0_sel:DWORD src1_sel:BYTE_1
	v_and_b32_e32 v140, 15, v121
	v_and_b32_sdwa v121, v68, v121 dst_sel:DWORD dst_unused:UNUSED_PAD src0_sel:DWORD src1_sel:BYTE_1
	v_ashrrev_i32_e32 v95, s19, v95
	v_and_b32_e32 v94, 0x3030303, v94
	v_dot4c_i32_i8 v115, v93, v73
	v_ashrrev_i32_e32 v103, s19, v103
	v_and_b32_e32 v102, 0x3030303, v102
	v_dot4c_i32_i8 v118, v101, v73
	v_dot4c_i32_i8 v110, v133, v74
	;; [unrolled: 1-line block ×5, first 2 shown]
	v_mov_b32_e32 v114, 0
	v_ashrrev_i32_e32 v80, s19, v80
	v_and_b32_e32 v79, 0x3030303, v79
	v_ashrrev_i32_e32 v88, s19, v88
	v_ashrrev_i32_e32 v90, s19, v90
	v_and_b32_e32 v87, 0x3030303, v87
	v_and_b32_e32 v89, 0x3030303, v89
	v_dot4c_i32_i8 v109, v78, v74
	v_dot4c_i32_i8 v112, v86, v74
	v_mov_b32_e32 v117, 0
	v_and_b32_e32 v82, 0x3030303, v82
	v_ashrrev_i32_e32 v98, s19, v98
	v_ashrrev_i32_e32 v105, s19, v105
	v_lshrrev_b32_e32 v135, 4, v127
	v_and_b32_e32 v97, 0x3030303, v97
	v_lshrrev_b32_e32 v141, 4, v128
	v_lshrrev_b32_e32 v142, 4, v121
	v_ashrrev_i32_e32 v96, s19, v96
	v_and_b32_e32 v95, 0x3030303, v95
	v_dot4c_i32_i8 v115, v94, v74
	v_ashrrev_i32_e32 v83, s19, v83
	v_ashrrev_i32_e32 v104, s19, v104
	v_and_b32_e32 v103, 0x3030303, v103
	v_dot4c_i32_i8 v118, v102, v74
	v_dot4c_i32_i8 v110, v133, v75
	;; [unrolled: 1-line block ×5, first 2 shown]
	v_and_b32_e32 v80, 0x3030303, v80
	v_ashrrev_i32_e32 v91, s19, v91
	v_and_b32_e32 v88, 0x3030303, v88
	v_and_b32_e32 v90, 0x3030303, v90
	v_dot4c_i32_i8 v114, v89, v1
	v_dot4c_i32_i8 v109, v79, v75
	;; [unrolled: 1-line block ×3, first 2 shown]
	v_mov_b32_e32 v120, 0
	v_ashrrev_i32_e32 v99, s19, v99
	v_ashrrev_i32_e32 v106, s19, v106
	v_and_b32_e32 v98, 0x3030303, v98
	v_and_b32_e32 v105, 0x3030303, v105
	v_mul_lo_u32 v143, 0x1010101, v77
	v_dot4c_i32_i8 v111, v82, v2
	v_mul_lo_u32 v82, 0x1010101, v135
	v_mul_lo_u32 v85, 0x1010101, v141
	v_dot4c_i32_i8 v117, v97, v1
	v_mul_lo_u32 v89, 0x1010101, v142
	v_and_b32_e32 v96, 0x3030303, v96
	v_dot4c_i32_i8 v115, v95, v75
	v_ashrrev_i32_e32 v84, s19, v84
	v_and_b32_e32 v83, 0x3030303, v83
	v_and_b32_e32 v104, 0x3030303, v104
	v_dot4c_i32_i8 v118, v103, v75
	v_dot4c_i32_i8 v110, v133, v76
	;; [unrolled: 1-line block ×5, first 2 shown]
	v_ashrrev_i32_e32 v92, s19, v92
	v_and_b32_e32 v91, 0x3030303, v91
	v_dot4c_i32_i8 v114, v90, v2
	v_dot4c_i32_i8 v109, v80, v76
	;; [unrolled: 1-line block ×3, first 2 shown]
	v_ashrrev_i32_e32 v100, s19, v100
	v_ashrrev_i32_e32 v107, s19, v107
	v_and_b32_e32 v99, 0x3030303, v99
	v_and_b32_e32 v106, 0x3030303, v106
	v_dot4c_i32_i8 v120, v105, v1
	v_dot4c_i32_i8 v117, v98, v2
	;; [unrolled: 1-line block ×3, first 2 shown]
	v_and_b32_e32 v84, 0x3030303, v84
	v_dot4c_i32_i8 v111, v83, v3
	v_dot4c_i32_i8 v118, v104, v76
	;; [unrolled: 1-line block ×6, first 2 shown]
	v_and_b32_e32 v92, 0x3030303, v92
	v_dot4c_i32_i8 v114, v91, v3
	v_mul_lo_u32 v73, v134, v109
	v_mul_lo_u32 v74, v136, v112
	v_ashrrev_i32_e32 v108, s19, v108
	v_and_b32_e32 v100, 0x3030303, v100
	v_and_b32_e32 v107, 0x3030303, v107
	v_dot4c_i32_i8 v120, v106, v2
	v_dot4c_i32_i8 v117, v99, v3
	v_mul_lo_u32 v75, v138, v115
	v_dot4c_i32_i8 v111, v84, v4
	v_mul_lo_u32 v76, v140, v118
	v_dot4c_i32_i8 v110, v143, v2
	v_dot4c_i32_i8 v113, v82, v2
	;; [unrolled: 1-line block ×4, first 2 shown]
	v_and_b32_e32 v127, 15, v127
	v_dot4c_i32_i8 v114, v92, v4
	v_and_b32_e32 v128, 15, v128
	v_and_b32_e32 v108, 0x3030303, v108
	v_dot4c_i32_i8 v120, v107, v3
	v_dot4c_i32_i8 v117, v100, v4
	v_mad_u64_u32 v[77:78], null, v81, v111, v[73:74]
	v_dot4c_i32_i8 v110, v143, v3
	v_dot4c_i32_i8 v113, v82, v3
	;; [unrolled: 1-line block ×4, first 2 shown]
	v_mad_u64_u32 v[73:74], null, v127, v114, v[74:75]
	v_and_b32_e32 v121, 15, v121
	v_dot4c_i32_i8 v120, v108, v4
	v_mad_u64_u32 v[74:75], null, v128, v117, v[75:76]
	v_dot4c_i32_i8 v110, v143, v4
	v_dot4c_i32_i8 v113, v82, v4
	v_dot4c_i32_i8 v116, v85, v4
	v_dot4c_i32_i8 v119, v89, v4
	v_mad_u64_u32 v[1:2], null, v121, v120, v[76:77]
	v_cvt_f32_f16_sdwa v129, v125 dst_sel:DWORD dst_unused:UNUSED_PAD src0_sel:WORD_1
	v_cvt_f32_f16_sdwa v130, v122 dst_sel:DWORD dst_unused:UNUSED_PAD src0_sel:WORD_1
	;; [unrolled: 1-line block ×4, first 2 shown]
	v_cvt_f32_i32_e32 v3, v73
	v_cvt_f32_i32_e32 v4, v74
	;; [unrolled: 1-line block ×8, first 2 shown]
	v_mul_f32_e32 v73, v129, v73
	v_mul_f32_e32 v74, v130, v74
	v_mul_f32_e32 v75, v131, v75
	v_mul_f32_e32 v76, v132, v76
	v_add_nc_u32_e32 v71, 4, v71
	v_fma_mix_f32 v2, v125, v2, -v73 op_sel_hi:[1,0,0]
	v_fma_mix_f32 v3, v122, v3, -v74 op_sel_hi:[1,0,0]
	;; [unrolled: 1-line block ×4, first 2 shown]
	v_add_nc_u32_e32 v70, 32, v70
	v_fmac_f32_e32 v9, v72, v2
	v_fmac_f32_e32 v44, v72, v3
	;; [unrolled: 1-line block ×4, first 2 shown]
	s_add_i32 s19, s1, 2
	s_cmp_lt_u32 s1, 22
	s_mov_b32 s1, s19
	s_cbranch_scc1 .LBB187_27
; %bb.28:                               ;   in Loop: Header=BB187_5 Depth=1
	s_or_b32 s1, s4, 0x180
	s_cmp_ge_i32 s1, s15
	s_barrier
	buffer_gl0_inv
	s_cbranch_scc1 .LBB187_4
; %bb.29:                               ;   in Loop: Header=BB187_5 Depth=1
	v_add_nc_u32_e32 v1, s5, v47
	v_cmp_gt_i32_e64 s1, s9, v1
	s_and_b32 s4, s0, s1
	s_and_saveexec_b32 s1, s4
	s_cbranch_execz .LBB187_31
; %bb.30:                               ;   in Loop: Header=BB187_5 Depth=1
	v_add_nc_u32_e32 v1, v48, v1
	v_mad_i64_i32 v[1:2], null, v1, 36, v[6:7]
	global_load_dword v1, v[1:2], off offset:4
	s_waitcnt vmcnt(0)
	ds_write_b32 v41, v1
.LBB187_31:                             ;   in Loop: Header=BB187_5 Depth=1
	s_or_b32 exec_lo, exec_lo, s1
	s_and_saveexec_b32 s4, vcc_lo
	s_cbranch_execz .LBB187_34
; %bb.32:                               ;   in Loop: Header=BB187_5 Depth=1
	v_or_b32_e32 v1, 12, v69
	v_cmp_gt_i32_e64 s1, s9, v1
	s_and_b32 s1, s0, s1
	s_and_b32 exec_lo, exec_lo, s1
	s_cbranch_execz .LBB187_34
; %bb.33:                               ;   in Loop: Header=BB187_5 Depth=1
	v_ashrrev_i32_e32 v1, 31, v69
	v_add_co_u32 v2, s1, v48, v69
	v_add_co_ci_u32_e64 v3, null, v51, v1, s1
	v_mad_u64_u32 v[1:2], null, v2, 36, s[2:3]
	v_mad_i32_i24 v2, v3, 36, v2
	global_load_dword v1, v[1:2], off offset:432
	s_waitcnt vmcnt(0)
	v_cvt_f32_f16_e32 v1, v1
	ds_write_b32 v43, v1
.LBB187_34:                             ;   in Loop: Header=BB187_5 Depth=1
	s_or_b32 exec_lo, exec_lo, s4
	v_mov_b32_e32 v69, v15
	v_mov_b32_e32 v70, v42
	s_mov_b32 s1, 24
	s_waitcnt lgkmcnt(0)
	s_barrier
	buffer_gl0_inv
.LBB187_35:                             ;   Parent Loop BB187_5 Depth=1
                                        ; =>  This Inner Loop Header: Depth=2
	s_and_b32 s19, s1, 0x3ffffff8
	s_lshr_b32 s20, s1, 2
	v_lshl_add_u32 v84, s19, 2, v49
	s_and_b32 s19, s20, 0x3ffffffc
	s_and_b32 s5, s1, -16
	s_addk_i32 s19, 0x5280
	ds_read_b32 v71, v70
	ds_read_b128 v[72:75], v69
	ds_read_b128 v[1:4], v69 offset:16
	v_add3_u32 v86, s19, v62, v63
	v_add3_u32 v87, s19, v64, v65
	ds_read2_b32 v[76:77], v84 offset1:1
	ds_read2_b32 v[78:79], v84 offset0:2 offset1:3
	ds_read2_b32 v[80:81], v84 offset0:4 offset1:5
	;; [unrolled: 1-line block ×3, first 2 shown]
	s_add_i32 s5, s1, s5
	v_add3_u32 v89, s19, v66, v67
	v_add3_u32 v85, s19, v60, v61
	v_add_nc_u32_e32 v88, s5, v50
	v_add_nc_u32_e32 v92, s5, v54
	;; [unrolled: 1-line block ×16, first 2 shown]
	ds_read_b32 v121, v86
	ds_read_b32 v122, v87
	;; [unrolled: 1-line block ×4, first 2 shown]
	ds_read2_b32 v[84:85], v90 offset1:1
	ds_read2_b32 v[86:87], v91 offset1:1
	ds_read_u16 v125, v88 offset:16880
	ds_read2_b32 v[88:89], v93 offset1:1
	ds_read2_b32 v[90:91], v94 offset1:1
	ds_read_u16 v126, v92 offset:17904
	ds_read2_b32 v[92:93], v95 offset1:1
	ds_read2_b32 v[94:95], v96 offset1:1
	;; [unrolled: 1-line block ×6, first 2 shown]
	ds_read_u16 v127, v104 offset:18928
	ds_read2_b32 v[104:105], v105 offset1:1
	ds_read2_b32 v[106:107], v106 offset1:1
	ds_read_u16 v120, v120 offset:19952
	s_sub_i32 s4, s1, 24
	v_mov_b32_e32 v108, 0
	s_waitcnt lgkmcnt(23)
	v_ashrrev_i32_e32 v76, s4, v76
	s_waitcnt lgkmcnt(21)
	v_ashrrev_i32_e32 v80, s4, v80
	v_mov_b32_e32 v110, 0
	s_waitcnt lgkmcnt(15)
	v_ashrrev_i32_e32 v84, s4, v84
	s_waitcnt lgkmcnt(13)
	v_bfe_u32 v132, v125, 4, 4
	v_and_b32_e32 v76, 0x3030303, v76
	v_and_b32_e32 v80, 0x3030303, v80
	;; [unrolled: 1-line block ×3, first 2 shown]
	v_and_b32_sdwa v125, v68, v125 dst_sel:DWORD dst_unused:UNUSED_PAD src0_sel:DWORD src1_sel:BYTE_1
	s_waitcnt lgkmcnt(10)
	v_bfe_u32 v134, v126, 4, 4
	v_mul_lo_u32 v132, 0x1010101, v132
	v_dot4c_i32_i8 v108, v76, v72
	v_dot4c_i32_i8 v110, v80, v1
	v_lshrrev_b32_e32 v76, 4, v125
	s_waitcnt lgkmcnt(3)
	v_bfe_u32 v136, v127, 4, 4
	v_and_b32_e32 v80, 15, v125
	v_mul_lo_u32 v125, 0x1010101, v134
	s_waitcnt lgkmcnt(0)
	v_bfe_u32 v138, v120, 4, 4
	v_ashrrev_i32_e32 v92, s4, v92
	v_mul_lo_u32 v136, 0x1010101, v136
	v_ashrrev_i32_e32 v100, s4, v100
	v_mov_b32_e32 v109, 0
	v_mul_lo_u32 v138, 0x1010101, v138
	v_mov_b32_e32 v112, 0
	v_mov_b32_e32 v115, 0
	;; [unrolled: 1-line block ×4, first 2 shown]
	v_ashrrev_i32_e32 v77, s4, v77
	v_ashrrev_i32_e32 v85, s4, v85
	v_and_b32_e32 v84, 0x3030303, v84
	v_mov_b32_e32 v114, 0
	v_ashrrev_i32_e32 v93, s4, v93
	v_and_b32_e32 v92, 0x3030303, v92
	v_mov_b32_e32 v117, 0
	v_ashrrev_i32_e32 v101, s4, v101
	v_and_b32_e32 v100, 0x3030303, v100
	v_dot4c_i32_i8 v109, v132, v72
	v_dot4c_i32_i8 v112, v125, v72
	;; [unrolled: 1-line block ×4, first 2 shown]
	v_ashrrev_i32_e32 v78, s4, v78
	v_and_b32_e32 v77, 0x3030303, v77
	v_ashrrev_i32_e32 v86, s4, v86
	v_ashrrev_i32_e32 v88, s4, v88
	v_and_b32_e32 v85, 0x3030303, v85
	v_dot4c_i32_i8 v111, v84, v72
	v_ashrrev_i32_e32 v81, s4, v81
	v_and_b32_e32 v135, 15, v126
	v_and_b32_sdwa v126, v68, v126 dst_sel:DWORD dst_unused:UNUSED_PAD src0_sel:DWORD src1_sel:BYTE_1
	v_ashrrev_i32_e32 v96, s4, v96
	v_and_b32_e32 v137, 15, v127
	v_and_b32_sdwa v127, v68, v127 dst_sel:DWORD dst_unused:UNUSED_PAD src0_sel:DWORD src1_sel:BYTE_1
	v_and_b32_e32 v139, 15, v120
	v_and_b32_sdwa v120, v68, v120 dst_sel:DWORD dst_unused:UNUSED_PAD src0_sel:DWORD src1_sel:BYTE_1
	v_ashrrev_i32_e32 v94, s4, v94
	v_and_b32_e32 v93, 0x3030303, v93
	v_dot4c_i32_i8 v114, v92, v72
	v_ashrrev_i32_e32 v102, s4, v102
	v_and_b32_e32 v101, 0x3030303, v101
	v_dot4c_i32_i8 v117, v100, v72
	v_dot4c_i32_i8 v109, v132, v73
	;; [unrolled: 1-line block ×5, first 2 shown]
	v_mov_b32_e32 v113, 0
	v_ashrrev_i32_e32 v79, s4, v79
	v_and_b32_e32 v78, 0x3030303, v78
	v_ashrrev_i32_e32 v87, s4, v87
	v_ashrrev_i32_e32 v89, s4, v89
	v_and_b32_e32 v86, 0x3030303, v86
	v_and_b32_e32 v88, 0x3030303, v88
	v_dot4c_i32_i8 v108, v77, v73
	v_dot4c_i32_i8 v111, v85, v73
	v_mov_b32_e32 v116, 0
	v_and_b32_e32 v81, 0x3030303, v81
	v_ashrrev_i32_e32 v97, s4, v97
	v_ashrrev_i32_e32 v104, s4, v104
	v_lshrrev_b32_e32 v134, 4, v126
	v_and_b32_e32 v96, 0x3030303, v96
	v_lshrrev_b32_e32 v140, 4, v127
	v_lshrrev_b32_e32 v141, 4, v120
	v_ashrrev_i32_e32 v95, s4, v95
	v_and_b32_e32 v94, 0x3030303, v94
	v_dot4c_i32_i8 v114, v93, v73
	v_ashrrev_i32_e32 v82, s4, v82
	v_ashrrev_i32_e32 v103, s4, v103
	v_and_b32_e32 v102, 0x3030303, v102
	v_dot4c_i32_i8 v117, v101, v73
	v_dot4c_i32_i8 v109, v132, v74
	;; [unrolled: 1-line block ×5, first 2 shown]
	v_and_b32_e32 v79, 0x3030303, v79
	v_ashrrev_i32_e32 v90, s4, v90
	v_and_b32_e32 v87, 0x3030303, v87
	v_and_b32_e32 v89, 0x3030303, v89
	v_dot4c_i32_i8 v113, v88, v1
	v_dot4c_i32_i8 v108, v78, v74
	;; [unrolled: 1-line block ×3, first 2 shown]
	v_mov_b32_e32 v119, 0
	v_ashrrev_i32_e32 v98, s4, v98
	v_ashrrev_i32_e32 v105, s4, v105
	v_and_b32_e32 v97, 0x3030303, v97
	v_and_b32_e32 v104, 0x3030303, v104
	v_mul_lo_u32 v142, 0x1010101, v76
	v_dot4c_i32_i8 v110, v81, v2
	v_mul_lo_u32 v81, 0x1010101, v134
	v_mul_lo_u32 v84, 0x1010101, v140
	v_dot4c_i32_i8 v116, v96, v1
	v_mul_lo_u32 v88, 0x1010101, v141
	v_and_b32_e32 v95, 0x3030303, v95
	v_dot4c_i32_i8 v114, v94, v74
	v_ashrrev_i32_e32 v83, s4, v83
	v_and_b32_e32 v82, 0x3030303, v82
	v_and_b32_e32 v103, 0x3030303, v103
	v_dot4c_i32_i8 v117, v102, v74
	v_dot4c_i32_i8 v109, v132, v75
	;; [unrolled: 1-line block ×5, first 2 shown]
	v_ashrrev_i32_e32 v91, s4, v91
	v_and_b32_e32 v90, 0x3030303, v90
	v_dot4c_i32_i8 v113, v89, v2
	v_dot4c_i32_i8 v108, v79, v75
	;; [unrolled: 1-line block ×3, first 2 shown]
	v_ashrrev_i32_e32 v99, s4, v99
	v_ashrrev_i32_e32 v106, s4, v106
	v_and_b32_e32 v98, 0x3030303, v98
	v_and_b32_e32 v105, 0x3030303, v105
	v_dot4c_i32_i8 v119, v104, v1
	v_dot4c_i32_i8 v116, v97, v2
	v_dot4c_i32_i8 v114, v95, v75
	v_and_b32_e32 v83, 0x3030303, v83
	v_dot4c_i32_i8 v110, v82, v3
	v_dot4c_i32_i8 v117, v103, v75
	;; [unrolled: 1-line block ×6, first 2 shown]
	v_and_b32_e32 v91, 0x3030303, v91
	v_dot4c_i32_i8 v113, v90, v3
	v_mul_lo_u32 v72, v133, v108
	v_mul_lo_u32 v73, v135, v111
	v_ashrrev_i32_e32 v107, s4, v107
	v_and_b32_e32 v99, 0x3030303, v99
	v_and_b32_e32 v106, 0x3030303, v106
	v_dot4c_i32_i8 v119, v105, v2
	v_dot4c_i32_i8 v116, v98, v3
	v_mul_lo_u32 v74, v137, v114
	v_dot4c_i32_i8 v110, v83, v4
	v_mul_lo_u32 v75, v139, v117
	v_dot4c_i32_i8 v109, v142, v2
	v_dot4c_i32_i8 v112, v81, v2
	;; [unrolled: 1-line block ×4, first 2 shown]
	v_and_b32_e32 v126, 15, v126
	v_dot4c_i32_i8 v113, v91, v4
	v_and_b32_e32 v127, 15, v127
	v_and_b32_e32 v107, 0x3030303, v107
	v_dot4c_i32_i8 v119, v106, v3
	v_dot4c_i32_i8 v116, v99, v4
	v_mad_u64_u32 v[76:77], null, v80, v110, v[72:73]
	v_dot4c_i32_i8 v109, v142, v3
	v_dot4c_i32_i8 v112, v81, v3
	;; [unrolled: 1-line block ×4, first 2 shown]
	v_mad_u64_u32 v[72:73], null, v126, v113, v[73:74]
	v_and_b32_e32 v120, 15, v120
	v_dot4c_i32_i8 v119, v107, v4
	v_mad_u64_u32 v[73:74], null, v127, v116, v[74:75]
	v_dot4c_i32_i8 v109, v142, v4
	v_dot4c_i32_i8 v112, v81, v4
	;; [unrolled: 1-line block ×4, first 2 shown]
	v_mad_u64_u32 v[1:2], null, v120, v119, v[75:76]
	v_cvt_f32_f16_sdwa v128, v124 dst_sel:DWORD dst_unused:UNUSED_PAD src0_sel:WORD_1
	v_cvt_f32_f16_sdwa v129, v121 dst_sel:DWORD dst_unused:UNUSED_PAD src0_sel:WORD_1
	;; [unrolled: 1-line block ×4, first 2 shown]
	v_cvt_f32_i32_e32 v3, v72
	v_cvt_f32_i32_e32 v4, v73
	;; [unrolled: 1-line block ×8, first 2 shown]
	v_mul_f32_e32 v72, v128, v72
	v_mul_f32_e32 v73, v129, v73
	;; [unrolled: 1-line block ×4, first 2 shown]
	v_add_nc_u32_e32 v70, 4, v70
	v_fma_mix_f32 v2, v124, v2, -v72 op_sel_hi:[1,0,0]
	v_fma_mix_f32 v3, v121, v3, -v73 op_sel_hi:[1,0,0]
	;; [unrolled: 1-line block ×4, first 2 shown]
	v_add_nc_u32_e32 v69, 32, v69
	v_fmac_f32_e32 v9, v71, v2
	v_fmac_f32_e32 v44, v71, v3
	;; [unrolled: 1-line block ×4, first 2 shown]
	s_add_i32 s4, s1, 2
	s_cmp_lt_u32 s1, 30
	s_mov_b32 s1, s4
	s_cbranch_scc1 .LBB187_35
; %bb.36:                               ;   in Loop: Header=BB187_5 Depth=1
	s_barrier
	buffer_gl0_inv
	s_branch .LBB187_4
.LBB187_37:
	s_mul_i32 s0, s11, s8
	s_waitcnt vmcnt(0)
	v_cmp_gt_i32_e32 vcc_lo, s0, v8
	s_and_saveexec_b32 s0, vcc_lo
	s_cbranch_execz .LBB187_46
; %bb.38:
	v_add_nc_u32_e32 v1, s6, v0
	v_mul_lo_u32 v0, v8, s10
	s_mov_b32 s0, exec_lo
	v_cmpx_gt_u32_e64 s10, v1
	s_cbranch_execz .LBB187_40
; %bb.39:
	v_add_nc_u32_e32 v2, v0, v1
	v_mov_b32_e32 v3, 0
	v_lshlrev_b64 v[2:3], 2, v[2:3]
	v_add_co_u32 v2, vcc_lo, s12, v2
	v_add_co_ci_u32_e64 v3, null, s13, v3, vcc_lo
	global_store_dword v[2:3], v9, off
.LBB187_40:
	s_or_b32 exec_lo, exec_lo, s0
	v_add_nc_u32_e32 v2, 32, v1
	s_mov_b32 s0, exec_lo
	v_cmpx_gt_u32_e64 s10, v2
	s_cbranch_execz .LBB187_42
; %bb.41:
	v_add_nc_u32_e32 v2, v0, v2
	v_mov_b32_e32 v3, 0
	v_lshlrev_b64 v[2:3], 2, v[2:3]
	v_add_co_u32 v2, vcc_lo, s12, v2
	v_add_co_ci_u32_e64 v3, null, s13, v3, vcc_lo
	global_store_dword v[2:3], v44, off
.LBB187_42:
	s_or_b32 exec_lo, exec_lo, s0
	v_add_nc_u32_e32 v2, 64, v1
	;; [unrolled: 13-line block ×3, first 2 shown]
	v_cmp_gt_u32_e32 vcc_lo, s10, v1
	s_and_b32 exec_lo, exec_lo, vcc_lo
	s_cbranch_execz .LBB187_46
; %bb.45:
	v_add_nc_u32_e32 v0, v0, v1
	v_mov_b32_e32 v1, 0
	v_lshlrev_b64 v[0:1], 2, v[0:1]
	v_add_co_u32 v0, vcc_lo, s12, v0
	v_add_co_ci_u32_e64 v1, null, s13, v1, vcc_lo
	global_store_dword v[0:1], v5, off
.LBB187_46:
	s_endpgm
	.section	.rodata,"a",@progbits
	.p2align	6, 0x0
	.amdhsa_kernel _ZL8moe_q2_KIfLb0EEvPKvS1_PT_PKiS5_S5_iiiiiii
		.amdhsa_group_segment_fixed_size 23328
		.amdhsa_private_segment_fixed_size 0
		.amdhsa_kernarg_size 76
		.amdhsa_user_sgpr_count 6
		.amdhsa_user_sgpr_private_segment_buffer 1
		.amdhsa_user_sgpr_dispatch_ptr 0
		.amdhsa_user_sgpr_queue_ptr 0
		.amdhsa_user_sgpr_kernarg_segment_ptr 1
		.amdhsa_user_sgpr_dispatch_id 0
		.amdhsa_user_sgpr_flat_scratch_init 0
		.amdhsa_user_sgpr_private_segment_size 0
		.amdhsa_wavefront_size32 1
		.amdhsa_uses_dynamic_stack 0
		.amdhsa_system_sgpr_private_segment_wavefront_offset 0
		.amdhsa_system_sgpr_workgroup_id_x 1
		.amdhsa_system_sgpr_workgroup_id_y 1
		.amdhsa_system_sgpr_workgroup_id_z 0
		.amdhsa_system_sgpr_workgroup_info 0
		.amdhsa_system_vgpr_workitem_id 1
		.amdhsa_next_free_vgpr 144
		.amdhsa_next_free_sgpr 23
		.amdhsa_reserve_vcc 1
		.amdhsa_reserve_flat_scratch 0
		.amdhsa_float_round_mode_32 0
		.amdhsa_float_round_mode_16_64 0
		.amdhsa_float_denorm_mode_32 3
		.amdhsa_float_denorm_mode_16_64 3
		.amdhsa_dx10_clamp 1
		.amdhsa_ieee_mode 1
		.amdhsa_fp16_overflow 0
		.amdhsa_workgroup_processor_mode 1
		.amdhsa_memory_ordered 1
		.amdhsa_forward_progress 1
		.amdhsa_shared_vgpr_count 0
		.amdhsa_exception_fp_ieee_invalid_op 0
		.amdhsa_exception_fp_denorm_src 0
		.amdhsa_exception_fp_ieee_div_zero 0
		.amdhsa_exception_fp_ieee_overflow 0
		.amdhsa_exception_fp_ieee_underflow 0
		.amdhsa_exception_fp_ieee_inexact 0
		.amdhsa_exception_int_div_zero 0
	.end_amdhsa_kernel
	.section	.text._ZL8moe_q2_KIfLb0EEvPKvS1_PT_PKiS5_S5_iiiiiii,"axG",@progbits,_ZL8moe_q2_KIfLb0EEvPKvS1_PT_PKiS5_S5_iiiiiii,comdat
.Lfunc_end187:
	.size	_ZL8moe_q2_KIfLb0EEvPKvS1_PT_PKiS5_S5_iiiiiii, .Lfunc_end187-_ZL8moe_q2_KIfLb0EEvPKvS1_PT_PKiS5_S5_iiiiiii
                                        ; -- End function
	.set _ZL8moe_q2_KIfLb0EEvPKvS1_PT_PKiS5_S5_iiiiiii.num_vgpr, 144
	.set _ZL8moe_q2_KIfLb0EEvPKvS1_PT_PKiS5_S5_iiiiiii.num_agpr, 0
	.set _ZL8moe_q2_KIfLb0EEvPKvS1_PT_PKiS5_S5_iiiiiii.numbered_sgpr, 23
	.set _ZL8moe_q2_KIfLb0EEvPKvS1_PT_PKiS5_S5_iiiiiii.num_named_barrier, 0
	.set _ZL8moe_q2_KIfLb0EEvPKvS1_PT_PKiS5_S5_iiiiiii.private_seg_size, 0
	.set _ZL8moe_q2_KIfLb0EEvPKvS1_PT_PKiS5_S5_iiiiiii.uses_vcc, 1
	.set _ZL8moe_q2_KIfLb0EEvPKvS1_PT_PKiS5_S5_iiiiiii.uses_flat_scratch, 0
	.set _ZL8moe_q2_KIfLb0EEvPKvS1_PT_PKiS5_S5_iiiiiii.has_dyn_sized_stack, 0
	.set _ZL8moe_q2_KIfLb0EEvPKvS1_PT_PKiS5_S5_iiiiiii.has_recursion, 0
	.set _ZL8moe_q2_KIfLb0EEvPKvS1_PT_PKiS5_S5_iiiiiii.has_indirect_call, 0
	.section	.AMDGPU.csdata,"",@progbits
; Kernel info:
; codeLenInByte = 9452
; TotalNumSgprs: 25
; NumVgprs: 144
; ScratchSize: 0
; MemoryBound: 0
; FloatMode: 240
; IeeeMode: 1
; LDSByteSize: 23328 bytes/workgroup (compile time only)
; SGPRBlocks: 0
; VGPRBlocks: 17
; NumSGPRsForWavesPerEU: 25
; NumVGPRsForWavesPerEU: 144
; Occupancy: 7
; WaveLimiterHint : 1
; COMPUTE_PGM_RSRC2:SCRATCH_EN: 0
; COMPUTE_PGM_RSRC2:USER_SGPR: 6
; COMPUTE_PGM_RSRC2:TRAP_HANDLER: 0
; COMPUTE_PGM_RSRC2:TGID_X_EN: 1
; COMPUTE_PGM_RSRC2:TGID_Y_EN: 1
; COMPUTE_PGM_RSRC2:TGID_Z_EN: 0
; COMPUTE_PGM_RSRC2:TIDIG_COMP_CNT: 1
	.section	.text._ZL8moe_q2_KIfLb1EEvPKvS1_PT_PKiS5_S5_iiiiiii,"axG",@progbits,_ZL8moe_q2_KIfLb1EEvPKvS1_PT_PKiS5_S5_iiiiiii,comdat
	.globl	_ZL8moe_q2_KIfLb1EEvPKvS1_PT_PKiS5_S5_iiiiiii ; -- Begin function _ZL8moe_q2_KIfLb1EEvPKvS1_PT_PKiS5_S5_iiiiiii
	.p2align	8
	.type	_ZL8moe_q2_KIfLb1EEvPKvS1_PT_PKiS5_S5_iiiiiii,@function
_ZL8moe_q2_KIfLb1EEvPKvS1_PT_PKiS5_S5_iiiiiii: ; @_ZL8moe_q2_KIfLb1EEvPKvS1_PT_PKiS5_S5_iiiiiii
; %bb.0:
	s_load_dwordx4 s[0:3], s[4:5], 0x18
	s_mov_b32 s8, s7
	s_mov_b32 s9, 0
	s_lshl_b64 s[10:11], s[8:9], 2
	s_waitcnt lgkmcnt(0)
	s_add_u32 s2, s2, s10
	s_addc_u32 s3, s3, s11
	s_load_dword s7, s[2:3], 0x0
	s_waitcnt lgkmcnt(0)
	s_cmpk_gt_u32 s7, 0xff
	s_cbranch_scc1 .LBB188_46
; %bb.1:
	s_load_dwordx2 s[2:3], s[4:5], 0x28
	s_waitcnt lgkmcnt(0)
	s_load_dword s3, s[2:3], 0x0
	s_lshl_b32 s2, s8, 3
	s_waitcnt lgkmcnt(0)
	s_cmp_gt_u32 s2, s3
	s_cbranch_scc1 .LBB188_46
; %bb.2:
	v_add_nc_u32_e32 v24, s2, v1
	v_mov_b32_e32 v25, 0
	s_lshl_b32 s6, s6, 7
	v_lshlrev_b64 v[2:3], 2, v[24:25]
	v_mov_b32_e32 v58, v25
	v_mov_b32_e32 v62, v25
	;; [unrolled: 1-line block ×3, first 2 shown]
	v_add_co_u32 v2, vcc_lo, s0, v2
	v_add_co_ci_u32_e64 v3, null, s1, v3, vcc_lo
	global_load_dword v28, v[2:3], off
	s_clause 0x1
	s_load_dwordx8 s[8:15], s[4:5], 0x30
	s_load_dwordx2 s[16:17], s[4:5], 0x10
	s_waitcnt lgkmcnt(0)
	s_cmpk_lt_i32 s9, 0x100
	s_cbranch_scc1 .LBB188_37
; %bb.3:
	s_load_dwordx4 s[0:3], s[4:5], 0x0
	s_ashr_i32 s4, s9, 31
	s_ashr_i32 s5, s12, 31
	s_lshr_b32 s4, s4, 24
	s_lshr_b32 s5, s5, 27
	s_add_i32 s4, s9, s4
	s_mul_i32 s15, s7, s8
	s_ashr_i32 s7, s4, 8
	s_add_i32 s4, s12, s5
	s_mul_i32 s5, s7, s6
	s_ashr_i32 s18, s15, 31
	s_ashr_i32 s8, s4, 5
	s_mul_hi_i32 s4, s5, 0x54
	s_mulk_i32 s5, 0x54
	v_add_nc_u32_e32 v3, 8, v1
	v_lshlrev_b32_e32 v2, 2, v0
	v_add_nc_u32_e32 v4, 16, v1
	v_lshlrev_b32_e32 v6, 4, v1
	v_lshrrev_b32_e32 v7, 1, v0
	v_add_nc_u32_e32 v8, 0x70, v1
	s_waitcnt lgkmcnt(0)
	s_add_u32 s0, s0, s15
	s_addc_u32 s1, s1, s18
	s_add_u32 s12, s0, s5
	s_addc_u32 s15, s1, s4
	s_not_b32 s0, s6
	v_add_nc_u32_e32 v7, v7, v6
	s_add_i32 s0, s10, s0
	s_abs_i32 s1, s14
	v_min_i32_e32 v5, s0, v1
	v_min_i32_e32 v3, s0, v3
	;; [unrolled: 1-line block ×3, first 2 shown]
	v_and_b32_e32 v7, 0x7f, v7
	s_sub_i32 s4, 0, s1
	v_mul_lo_u32 v32, v5, s7
	v_mad_u64_u32 v[9:10], null, 0x84, v5, v[2:3]
	v_add_nc_u32_e32 v5, 24, v1
	v_mul_lo_u32 v33, v3, s7
	v_mad_u64_u32 v[10:11], null, 0x84, v3, v[2:3]
	v_mul_lo_u32 v34, v4, s7
	v_min_i32_e32 v3, s0, v5
	v_add_nc_u32_e32 v5, 32, v1
	v_min_i32_e32 v7, s0, v7
	v_lshrrev_b32_e32 v47, 3, v0
	s_waitcnt vmcnt(0)
	v_sub_nc_u32_e32 v57, 0, v28
	v_mad_u64_u32 v[11:12], null, 0x84, v4, v[2:3]
	v_add_nc_u32_e32 v4, 40, v1
	v_mul_lo_u32 v35, v3, s7
	v_min_i32_e32 v5, s0, v5
	v_mad_u64_u32 v[12:13], null, 0x84, v3, v[2:3]
	v_min_i32_e32 v3, s0, v4
	v_add_nc_u32_e32 v4, 48, v1
	v_mul_lo_u32 v36, v5, s7
	v_max_i32_e32 v57, v28, v57
	v_and_b32_e32 v48, 1, v0
	v_mad_u64_u32 v[13:14], null, 0x84, v5, v[2:3]
	v_mul_lo_u32 v37, v3, s7
	v_min_i32_e32 v4, s0, v4
	v_add_nc_u32_e32 v5, 56, v1
	v_mad_u64_u32 v[14:15], null, 0x84, v3, v[2:3]
	v_add_nc_u32_e32 v3, 64, v1
	v_mul_lo_u32 v38, v4, s7
	v_min_i32_e32 v5, s0, v5
	v_lshlrev_b32_e32 v26, 2, v48
	v_add_nc_u32_e32 v60, 0x5aa0, v6
	v_mad_u64_u32 v[15:16], null, 0x84, v4, v[2:3]
	v_min_i32_e32 v3, s0, v3
	v_add_nc_u32_e32 v4, 0x48, v1
	v_mul_lo_u32 v39, v5, s7
	v_xor_b32_e32 v6, s14, v28
	v_and_b32_e32 v31, 60, v2
	v_mad_u64_u32 v[16:17], null, 0x84, v5, v[2:3]
	v_add_nc_u32_e32 v5, 0x50, v1
	v_mul_lo_u32 v40, v3, s7
	v_min_i32_e32 v4, s0, v4
	v_mad_u64_u32 v[17:18], null, 0x84, v3, v[2:3]
	v_min_i32_e32 v3, s0, v5
	v_add_nc_u32_e32 v5, 0x58, v1
	v_mul_lo_u32 v41, v4, s7
	v_and_b32_e32 v52, 12, v2
	v_add_nc_u32_e32 v70, 0x60, v0
	v_mad_u64_u32 v[18:19], null, 0x84, v4, v[2:3]
	v_min_i32_e32 v4, s0, v5
	v_add_nc_u32_e32 v5, 0x60, v1
	v_mul_lo_u32 v42, v3, s7
	v_mad_u64_u32 v[19:20], null, 0x84, v3, v[2:3]
	v_mul_lo_u32 v43, v4, s7
	v_min_i32_e32 v3, s0, v5
	v_add_nc_u32_e32 v5, 0x68, v1
	v_mul_lo_u32 v50, v7, s7
	v_and_b32_e32 v63, 0x1fc, v70
	v_and_b32_e32 v64, 0xfc, v0
	v_mad_u64_u32 v[20:21], null, 0x84, v4, v[2:3]
	v_min_i32_e32 v4, s0, v5
	v_ashrrev_i32_e32 v5, 31, v7
	v_mul_lo_u32 v44, v3, s7
	v_mad_u64_u32 v[21:22], null, 0x84, v3, v[2:3]
	v_mul_lo_u32 v45, v4, s7
	v_lshrrev_b32_e32 v3, 28, v5
	v_min_i32_e32 v5, s0, v8
	v_lshl_add_u32 v8, v1, 2, v47
	v_lshrrev_b32_e32 v30, 4, v0
	v_lshlrev_b32_e32 v79, 1, v0
	v_mad_u64_u32 v[22:23], null, 0x84, v4, v[2:3]
	v_add_nc_u32_e32 v3, v7, v3
	v_mul_lo_u32 v46, v5, s7
	v_add_nc_u32_e32 v4, 0x78, v1
	v_add_nc_u32_e32 v27, 32, v8
	;; [unrolled: 1-line block ×3, first 2 shown]
	v_mad_u64_u32 v[23:24], null, 0x84, v5, v[2:3]
	v_cvt_f32_u32_e32 v5, s1
	v_ashrrev_i32_e32 v3, 4, v3
	v_min_i32_e32 v4, s0, v4
	v_min_i32_e32 v27, s0, v27
	;; [unrolled: 1-line block ×3, first 2 shown]
	v_rcp_iflag_f32_e32 v5, v5
	v_lshlrev_b32_e32 v3, 2, v3
	v_mul_lo_u32 v49, v4, s7
	v_ashrrev_i32_e32 v55, 31, v27
	v_ashrrev_i32_e32 v58, 31, v56
	v_lshlrev_b32_e32 v74, 5, v27
	v_mad_u64_u32 v[24:25], null, 0x84, v4, v[2:3]
	v_min_i32_e32 v4, s0, v8
	v_add_nc_u32_e32 v8, 0x60, v8
	v_mul_f32_e32 v5, 0x4f7ffffe, v5
	v_lshrrev_b32_e32 v55, 30, v55
	v_add3_u32 v3, v3, v26, 0x5280
	v_ashrrev_i32_e32 v26, 31, v4
	v_min_i32_e32 v8, s0, v8
	v_cvt_u32_f32_e32 v5, v5
	v_add_nc_u32_e32 v55, v27, v55
	v_and_b32_e32 v25, 7, v0
	v_lshrrev_b32_e32 v26, 30, v26
	v_ashrrev_i32_e32 v59, 31, v8
	v_mul_lo_u32 v54, s4, v5
	v_and_b32_e32 v55, -4, v55
	v_cmp_lt_u32_e32 vcc_lo, 3, v25
	v_add_nc_u32_e32 v26, v4, v26
	v_lshlrev_b32_e32 v25, 2, v25
	v_lshlrev_b32_e32 v7, 3, v7
	v_mul_lo_u32 v53, v4, s7
	v_cndmask_b32_e64 v51, 0, 1, vcc_lo
	v_mul_hi_u32 v54, v5, v54
	v_and_b32_e32 v26, -4, v26
	v_add3_u32 v62, v55, v25, 0x4200
	v_lshlrev_b32_e32 v4, 5, v4
	v_mul_lo_u32 v55, v56, s7
	v_lshlrev_b32_e32 v77, 5, v56
	v_add3_u32 v26, v26, v25, 0x4200
	v_add_nc_u32_e32 v67, v3, v7
	v_add_nc_u32_e32 v5, v5, v54
	v_lshrrev_b32_e32 v54, 30, v58
	v_lshrrev_b32_e32 v58, 30, v59
	;; [unrolled: 1-line block ×3, first 2 shown]
	v_add_nc_u32_e32 v72, v26, v4
	v_mul_hi_u32 v5, v57, v5
	v_add_nc_u32_e32 v59, v56, v54
	v_mul_lo_u32 v54, v27, s7
	v_add_nc_u32_e32 v58, v8, v58
	v_mul_lo_u32 v56, v8, s7
	v_lshlrev_b32_e32 v8, 5, v8
	v_and_b32_e32 v59, -4, v59
	v_mov_b32_e32 v29, 0
	v_mul_lo_u32 v27, v5, s1
	v_and_b32_e32 v58, -4, v58
	v_add_nc_u32_e32 v74, v62, v74
	v_add3_u32 v76, v59, v25, 0x4200
	v_add_nc_u32_e32 v59, 1, v5
	v_lshlrev_b32_e32 v78, 2, v30
	v_add3_u32 v25, v58, v25, 0x4200
	v_and_b32_e32 v58, 31, v0
	v_sub_nc_u32_e32 v27, v57, v27
	v_lshl_add_u32 v57, v1, 7, 0x56a0
	v_and_b32_e32 v1, 28, v2
	v_add_nc_u32_e32 v76, v76, v77
	v_add_nc_u32_e32 v77, v25, v8
	v_subrev_nc_u32_e32 v61, s1, v27
	v_cmp_le_u32_e32 vcc_lo, s1, v27
	v_lshlrev_b32_e32 v79, 2, v79
	v_lshlrev_b32_e32 v84, 2, v3
	v_mov_b32_e32 v86, 0xffff
	v_mov_b32_e32 v62, 0
	v_cndmask_b32_e32 v5, v5, v59, vcc_lo
	v_cndmask_b32_e32 v27, v27, v61, vcc_lo
	v_lshl_add_u32 v59, v58, 2, v57
	v_add_nc_u32_e32 v61, v60, v2
	v_ashrrev_i32_e32 v2, 31, v6
	v_add_nc_u32_e32 v58, 1, v5
	v_cmp_le_u32_e64 s0, s1, v27
	v_add_nc_u32_e32 v6, 32, v0
	v_add_nc_u32_e32 v27, 64, v0
	v_cmp_gt_u32_e32 vcc_lo, 4, v0
	v_add_co_u32 v26, s1, s2, v1
	v_cndmask_b32_e64 v5, v5, v58, s0
	v_and_b32_e32 v65, 0x1fc, v6
	v_and_b32_e32 v66, 0x1fc, v27
	v_mul_u32_u24_e32 v58, 33, v0
	v_lshlrev_b32_e32 v81, 1, v6
	v_xor_b32_e32 v5, v5, v2
	v_lshrrev_b32_e32 v80, 4, v6
	v_lshlrev_b32_e32 v83, 1, v27
	v_lshrrev_b32_e32 v82, 4, v27
	v_lshrrev_b32_e32 v68, 3, v6
	v_sub_nc_u32_e32 v2, v5, v2
	v_lshlrev_b32_e32 v5, 5, v0
	v_lshrrev_b32_e32 v69, 3, v27
	v_add_co_ci_u32_e64 v27, null, s3, 0, s1
	v_mul_lo_u32 v71, v2, s8
	v_add_nc_u32_e32 v63, v5, v63
	v_add_nc_u32_e32 v64, v5, v64
	v_add_nc_u32_e32 v65, v5, v65
	v_add_nc_u32_e32 v66, v5, v66
	v_lshlrev_b32_e32 v5, 1, v70
	v_cmp_gt_i32_e64 s0, s11, v2
	v_lshrrev_b32_e32 v70, 3, v70
	v_lshlrev_b32_e32 v73, 2, v58
	v_ashrrev_i32_e32 v75, 31, v71
	v_lshlrev_b32_e32 v80, 2, v80
	v_lshlrev_b32_e32 v81, 2, v81
	;; [unrolled: 1-line block ×5, first 2 shown]
	v_mov_b32_e32 v58, 0
	v_mov_b32_e32 v25, 0
	s_mov_b32 s10, 0
	s_and_b32 s18, vcc_lo, s0
	s_branch .LBB188_5
.LBB188_4:                              ;   in Loop: Header=BB188_5 Depth=1
	s_add_i32 s10, s10, 2
	s_cmp_ge_i32 s10, s7
	s_cbranch_scc1 .LBB188_37
.LBB188_5:                              ; =>This Loop Header: Depth=1
                                        ;     Child Loop BB188_11 Depth 2
                                        ;     Child Loop BB188_19 Depth 2
	;; [unrolled: 1-line block ×4, first 2 shown]
	s_mul_i32 s1, s10, 0x54
	s_mul_hi_u32 s5, s10, 0x54
	s_add_u32 s4, s12, s1
	s_addc_u32 s5, s15, s5
	v_mad_u64_u32 v[1:2], null, 0x54, v30, s[4:5]
	v_mad_i64_i32 v[3:4], null, 0x54, v32, v[1:2]
	v_mad_i64_i32 v[5:6], null, 0x54, v33, v[1:2]
	;; [unrolled: 1-line block ×4, first 2 shown]
	v_add_co_u32 v3, s1, v3, v31
	v_mad_i64_i32 v[89:90], null, 0x54, v36, v[1:2]
	v_add_co_ci_u32_e64 v4, null, 0, v4, s1
	v_add_co_u32 v5, s1, v5, v31
	v_mad_i64_i32 v[91:92], null, 0x54, v37, v[1:2]
	v_add_co_ci_u32_e64 v6, null, 0, v6, s1
	;; [unrolled: 3-line block ×4, first 2 shown]
	v_add_co_u32 v89, s1, v89, v31
	v_add_co_ci_u32_e64 v90, null, 0, v90, s1
	v_add_co_u32 v91, s1, v91, v31
	v_add_co_ci_u32_e64 v92, null, 0, v92, s1
	;; [unrolled: 2-line block ×3, first 2 shown]
	v_add_co_u32 v95, s1, v95, v31
	v_mad_i64_i32 v[97:98], null, 0x54, v40, v[1:2]
	v_add_co_ci_u32_e64 v96, null, 0, v96, s1
	s_clause 0x7
	global_load_dword v105, v[3:4], off offset:16
	global_load_dword v106, v[5:6], off offset:16
	global_load_dword v107, v[7:8], off offset:16
	global_load_dword v108, v[87:88], off offset:16
	global_load_dword v109, v[89:90], off offset:16
	global_load_dword v110, v[91:92], off offset:16
	global_load_dword v111, v[93:94], off offset:16
	global_load_dword v112, v[95:96], off offset:16
	v_mad_i64_i32 v[3:4], null, 0x54, v41, v[1:2]
	v_mad_i64_i32 v[7:8], null, 0x54, v42, v[1:2]
	;; [unrolled: 1-line block ×3, first 2 shown]
	v_add_co_u32 v5, s1, v97, v31
	v_mad_i64_i32 v[89:90], null, 0x54, v44, v[1:2]
	v_add_co_ci_u32_e64 v6, null, 0, v98, s1
	v_add_co_u32 v3, s1, v3, v31
	v_mad_i64_i32 v[91:92], null, 0x54, v45, v[1:2]
	v_add_co_ci_u32_e64 v4, null, 0, v4, s1
	;; [unrolled: 3-line block ×3, first 2 shown]
	v_add_co_u32 v87, s1, v87, v31
	v_mad_u64_u32 v[95:96], null, 0x54, v51, s[4:5]
	v_add_co_ci_u32_e64 v88, null, 0, v88, s1
	v_add_co_u32 v89, s1, v89, v31
	v_add_co_ci_u32_e64 v90, null, 0, v90, s1
	v_add_co_u32 v91, s1, v91, v31
	v_mad_i64_i32 v[1:2], null, 0x54, v49, v[1:2]
	v_add_co_ci_u32_e64 v92, null, 0, v92, s1
	v_add_co_u32 v93, s1, v93, v31
	v_mad_i64_i32 v[97:98], null, 0x54, v50, s[4:5]
	v_add_co_ci_u32_e64 v94, null, 0, v94, s1
	v_add_co_u32 v95, s1, v95, v52
	v_add_co_ci_u32_e64 v96, null, 0, v96, s1
	v_add_co_u32 v1, s1, v1, v31
	v_add_co_ci_u32_e64 v2, null, 0, v2, s1
	v_mad_u64_u32 v[97:98], null, 0x54, v48, v[97:98]
	v_mad_i64_i32 v[99:100], null, 0x54, v53, v[95:96]
	v_mad_i64_i32 v[101:102], null, 0x54, v54, v[95:96]
	;; [unrolled: 1-line block ×4, first 2 shown]
	s_clause 0xc
	global_load_dword v5, v[5:6], off offset:16
	global_load_dword v3, v[3:4], off offset:16
	;; [unrolled: 1-line block ×9, first 2 shown]
	global_load_dword v88, v[99:100], off
	global_load_dword v89, v[101:102], off
	;; [unrolled: 1-line block ×4, first 2 shown]
	s_lshl_b32 s4, s10, 8
	s_waitcnt vmcnt(20)
	ds_write_b32 v9, v105
	s_waitcnt vmcnt(19)
	ds_write_b32 v10, v106
	;; [unrolled: 2-line block ×21, first 2 shown]
	s_cmp_lt_i32 s4, s9
	s_cbranch_scc0 .LBB188_4
; %bb.6:                                ;   in Loop: Header=BB188_5 Depth=1
	s_lshl_b32 s5, s10, 3
	v_add_nc_u32_e32 v1, s5, v47
	v_cmp_gt_i32_e64 s1, s8, v1
	s_and_b32 s19, s0, s1
	s_and_saveexec_b32 s1, s19
	s_cbranch_execz .LBB188_8
; %bb.7:                                ;   in Loop: Header=BB188_5 Depth=1
	v_add_nc_u32_e32 v1, v71, v1
	v_mad_i64_i32 v[1:2], null, v1, 36, v[26:27]
	global_load_dword v1, v[1:2], off offset:4
	s_waitcnt vmcnt(0)
	ds_write_b32 v59, v1
.LBB188_8:                              ;   in Loop: Header=BB188_5 Depth=1
	s_or_b32 exec_lo, exec_lo, s1
	v_add_nc_u32_e32 v87, s5, v0
	v_cmp_gt_i32_e64 s1, s8, v87
	s_and_b32 s19, s18, s1
	s_and_saveexec_b32 s1, s19
	s_cbranch_execz .LBB188_10
; %bb.9:                                ;   in Loop: Header=BB188_5 Depth=1
	v_add_nc_u32_e32 v1, v71, v87
	v_mad_i64_i32 v[1:2], null, v1, 36, s[2:3]
	global_load_dword v1, v[1:2], off
	s_waitcnt vmcnt(0)
	v_cvt_f32_f16_e32 v1, v1
	ds_write_b32 v61, v1
.LBB188_10:                             ;   in Loop: Header=BB188_5 Depth=1
	s_or_b32 exec_lo, exec_lo, s1
	v_mov_b32_e32 v88, v60
	v_mov_b32_e32 v89, v57
	s_mov_b32 s1, 0
	s_waitcnt lgkmcnt(0)
	s_barrier
	buffer_gl0_inv
.LBB188_11:                             ;   Parent Loop BB188_5 Depth=1
                                        ; =>  This Inner Loop Header: Depth=2
	s_and_b32 s20, s1, 0x3ffffff8
	v_add_nc_u32_e32 v95, 0x4200, v64
	v_lshl_add_u32 v103, s20, 2, v73
	s_and_b32 s19, s1, -16
	s_lshr_b32 s21, s1, 2
	s_add_i32 s19, s1, s19
	ds_read_b32 v90, v88
	ds_read_b128 v[5:8], v89
	ds_read_b128 v[1:4], v89 offset:16
	s_and_b32 s20, s21, 0x3ffffffc
	v_add_nc_u32_e32 v104, s19, v65
	v_add_nc_u32_e32 v107, s19, v95
	ds_read2_b32 v[95:96], v103 offset1:1
	ds_read2_b32 v[97:98], v103 offset0:2 offset1:3
	ds_read2_b32 v[99:100], v103 offset0:4 offset1:5
	ds_read2_b32 v[101:102], v103 offset0:6 offset1:7
	v_add_nc_u32_e32 v105, s19, v66
	s_addk_i32 s20, 0x5280
	v_add_nc_u32_e32 v106, s19, v63
	v_add3_u32 v108, s20, v78, v79
	v_add3_u32 v109, s20, v80, v81
	;; [unrolled: 1-line block ×4, first 2 shown]
	v_add_nc_u32_e32 v112, 0x1080, v103
	v_add_nc_u32_e32 v113, 0x1088, v103
	;; [unrolled: 1-line block ×12, first 2 shown]
	ds_read_u16 v135, v104 offset:17920
	ds_read_u16 v136, v105 offset:18944
	;; [unrolled: 1-line block ×3, first 2 shown]
	ds_read_u16 v138, v107
	ds_read_b32 v139, v109
	ds_read_b32 v140, v110
	;; [unrolled: 1-line block ×4, first 2 shown]
	ds_read2_b32 v[103:104], v112 offset1:1
	ds_read2_b32 v[105:106], v113 offset1:1
	;; [unrolled: 1-line block ×12, first 2 shown]
	s_waitcnt lgkmcnt(19)
	v_bfe_u32 v143, v135, 4, 4
	s_waitcnt lgkmcnt(18)
	v_bfe_u32 v145, v136, 4, 4
	;; [unrolled: 2-line block ×4, first 2 shown]
	v_ashrrev_i32_e32 v95, s1, v95
	v_mul_lo_u32 v143, 0x1010101, v143
	v_mul_lo_u32 v145, 0x1010101, v145
	;; [unrolled: 1-line block ×4, first 2 shown]
	v_mov_b32_e32 v92, 0
	v_ashrrev_i32_e32 v99, s1, v99
	v_and_b32_e32 v95, 0x3030303, v95
	s_waitcnt lgkmcnt(11)
	v_ashrrev_i32_e32 v103, s1, v103
	s_waitcnt lgkmcnt(10)
	v_ashrrev_i32_e32 v105, s1, v105
	;; [unrolled: 2-line block ×9, first 2 shown]
	v_mov_b32_e32 v91, 0
	v_mov_b32_e32 v94, 0
	v_mov_b32_e32 v130, 0
	v_mov_b32_e32 v133, 0
	v_mov_b32_e32 v93, 0
	v_mov_b32_e32 v127, 0
	v_mov_b32_e32 v129, 0
	v_mov_b32_e32 v132, 0
	v_ashrrev_i32_e32 v96, s1, v96
	v_and_b32_e32 v99, 0x3030303, v99
	v_ashrrev_i32_e32 v104, s1, v104
	v_ashrrev_i32_e32 v106, s1, v106
	;; [unrolled: 1-line block ×9, first 2 shown]
	v_dot4c_i32_i8 v92, v95, v5
	v_and_b32_e32 v95, 0x3030303, v103
	v_and_b32_e32 v103, 0x3030303, v105
	v_and_b32_e32 v105, 0x3030303, v107
	v_and_b32_e32 v107, 0x3030303, v109
	v_and_b32_e32 v109, 0x3030303, v111
	v_and_b32_e32 v111, 0x3030303, v113
	v_and_b32_e32 v113, 0x3030303, v115
	v_and_b32_e32 v115, 0x3030303, v117
	v_and_b32_e32 v117, 0x3030303, v119
	v_dot4c_i32_i8 v94, v143, v5
	v_dot4c_i32_i8 v130, v145, v5
	;; [unrolled: 1-line block ×4, first 2 shown]
	v_and_b32_e32 v144, 15, v135
	v_and_b32_sdwa v135, v86, v135 dst_sel:DWORD dst_unused:UNUSED_PAD src0_sel:DWORD src1_sel:BYTE_1
	v_and_b32_e32 v146, 15, v136
	v_and_b32_sdwa v136, v86, v136 dst_sel:DWORD dst_unused:UNUSED_PAD src0_sel:DWORD src1_sel:BYTE_1
	;; [unrolled: 2-line block ×4, first 2 shown]
	v_ashrrev_i32_e32 v97, s1, v97
	v_and_b32_e32 v96, 0x3030303, v96
	s_waitcnt lgkmcnt(2)
	v_ashrrev_i32_e32 v121, s1, v121
	v_dot4c_i32_i8 v93, v99, v1
	v_and_b32_e32 v99, 0x3030303, v104
	v_and_b32_e32 v104, 0x3030303, v106
	v_and_b32_e32 v106, 0x3030303, v108
	v_and_b32_e32 v108, 0x3030303, v110
	v_and_b32_e32 v110, 0x3030303, v112
	v_and_b32_e32 v112, 0x3030303, v114
	v_and_b32_e32 v114, 0x3030303, v116
	v_and_b32_e32 v116, 0x3030303, v118
	v_and_b32_e32 v118, 0x3030303, v120
	v_dot4c_i32_i8 v127, v95, v5
	v_dot4c_i32_i8 v129, v109, v5
	;; [unrolled: 1-line block ×7, first 2 shown]
	v_mov_b32_e32 v128, 0
	v_mov_b32_e32 v131, 0
	v_ashrrev_i32_e32 v100, s1, v100
	v_ashrrev_i32_e32 v122, s1, v122
	s_waitcnt lgkmcnt(1)
	v_ashrrev_i32_e32 v123, s1, v123
	v_ashrrev_i32_e32 v124, s1, v124
	s_waitcnt lgkmcnt(0)
	v_ashrrev_i32_e32 v125, s1, v125
	v_ashrrev_i32_e32 v126, s1, v126
	v_lshrrev_b32_e32 v155, 4, v135
	v_lshrrev_b32_e32 v156, 4, v136
	;; [unrolled: 1-line block ×4, first 2 shown]
	v_ashrrev_i32_e32 v98, s1, v98
	v_and_b32_e32 v97, 0x3030303, v97
	v_and_b32_e32 v119, 0x3030303, v121
	v_dot4c_i32_i8 v92, v96, v6
	v_dot4c_i32_i8 v127, v99, v6
	;; [unrolled: 1-line block ×8, first 2 shown]
	v_mov_b32_e32 v134, 0
	v_ashrrev_i32_e32 v101, s1, v101
	v_and_b32_e32 v100, 0x3030303, v100
	v_and_b32_e32 v120, 0x3030303, v122
	;; [unrolled: 1-line block ×6, first 2 shown]
	v_mul_lo_u32 v125, 0x1010101, v155
	v_mul_lo_u32 v126, 0x1010101, v156
	;; [unrolled: 1-line block ×4, first 2 shown]
	v_dot4c_i32_i8 v128, v105, v1
	v_dot4c_i32_i8 v131, v113, v1
	v_and_b32_e32 v98, 0x3030303, v98
	v_dot4c_i32_i8 v92, v97, v7
	v_dot4c_i32_i8 v127, v103, v7
	;; [unrolled: 1-line block ×8, first 2 shown]
	v_ashrrev_i32_e32 v102, s1, v102
	v_and_b32_e32 v101, 0x3030303, v101
	v_dot4c_i32_i8 v93, v100, v2
	v_dot4c_i32_i8 v134, v121, v1
	;; [unrolled: 1-line block ×12, first 2 shown]
	v_and_b32_e32 v102, 0x3030303, v102
	v_dot4c_i32_i8 v93, v101, v3
	v_dot4c_i32_i8 v134, v122, v2
	;; [unrolled: 1-line block ×4, first 2 shown]
	v_mul_lo_u32 v5, v150, v92
	v_mul_lo_u32 v6, v144, v127
	;; [unrolled: 1-line block ×4, first 2 shown]
	v_dot4c_i32_i8 v94, v125, v2
	v_dot4c_i32_i8 v130, v126, v2
	;; [unrolled: 1-line block ×4, first 2 shown]
	v_and_b32_e32 v135, 15, v135
	v_and_b32_e32 v136, 15, v136
	;; [unrolled: 1-line block ×3, first 2 shown]
	v_dot4c_i32_i8 v93, v102, v4
	v_dot4c_i32_i8 v134, v123, v3
	;; [unrolled: 1-line block ×8, first 2 shown]
	v_and_b32_e32 v137, 15, v137
	v_dot4c_i32_i8 v134, v124, v4
	v_mad_u64_u32 v[92:93], null, v138, v93, v[5:6]
	v_mad_u64_u32 v[1:2], null, v135, v128, v[6:7]
	;; [unrolled: 1-line block ×3, first 2 shown]
	v_dot4c_i32_i8 v94, v125, v4
	v_dot4c_i32_i8 v130, v126, v4
	;; [unrolled: 1-line block ×4, first 2 shown]
	v_mad_u64_u32 v[6:7], null, v137, v134, v[8:9]
	v_cvt_f32_f16_sdwa v151, v142 dst_sel:DWORD dst_unused:UNUSED_PAD src0_sel:WORD_1
	v_cvt_f32_f16_sdwa v152, v139 dst_sel:DWORD dst_unused:UNUSED_PAD src0_sel:WORD_1
	;; [unrolled: 1-line block ×4, first 2 shown]
	v_cvt_f32_i32_e32 v3, v5
	v_cvt_f32_i32_e32 v4, v94
	;; [unrolled: 1-line block ×8, first 2 shown]
	v_mul_f32_e32 v4, v152, v4
	v_mul_f32_e32 v5, v153, v5
	;; [unrolled: 1-line block ×4, first 2 shown]
	v_add_nc_u32_e32 v89, 32, v89
	v_fma_mix_f32 v1, v139, v1, -v4 op_sel_hi:[1,0,0]
	v_fma_mix_f32 v3, v140, v3, -v5 op_sel_hi:[1,0,0]
	v_fma_mix_f32 v4, v141, v6, -v7 op_sel_hi:[1,0,0]
	v_fma_mix_f32 v2, v142, v2, -v8 op_sel_hi:[1,0,0]
	v_add_nc_u32_e32 v88, 4, v88
	v_fmac_f32_e32 v62, v90, v1
	v_fmac_f32_e32 v58, v90, v3
	v_fmac_f32_e32 v25, v90, v4
	v_fmac_f32_e32 v29, v90, v2
	s_add_i32 s19, s1, 2
	s_cmp_lt_u32 s1, 6
	s_mov_b32 s1, s19
	s_cbranch_scc1 .LBB188_11
; %bb.12:                               ;   in Loop: Header=BB188_5 Depth=1
	s_or_b32 s1, s4, 0x80
	s_cmp_ge_i32 s1, s9
	s_barrier
	buffer_gl0_inv
	s_cbranch_scc1 .LBB188_4
; %bb.13:                               ;   in Loop: Header=BB188_5 Depth=1
	v_add_nc_u32_e32 v1, s5, v68
	v_cmp_gt_i32_e64 s1, s8, v1
	s_and_b32 s19, s0, s1
	s_and_saveexec_b32 s1, s19
	s_cbranch_execz .LBB188_15
; %bb.14:                               ;   in Loop: Header=BB188_5 Depth=1
	v_add_nc_u32_e32 v1, v71, v1
	v_mad_i64_i32 v[1:2], null, v1, 36, v[26:27]
	global_load_dword v1, v[1:2], off offset:4
	s_waitcnt vmcnt(0)
	ds_write_b32 v59, v1
.LBB188_15:                             ;   in Loop: Header=BB188_5 Depth=1
	s_or_b32 exec_lo, exec_lo, s1
	s_and_saveexec_b32 s19, vcc_lo
	s_cbranch_execz .LBB188_18
; %bb.16:                               ;   in Loop: Header=BB188_5 Depth=1
	v_or_b32_e32 v1, 4, v87
	v_cmp_gt_i32_e64 s1, s8, v1
	s_and_b32 s1, s0, s1
	s_and_b32 exec_lo, exec_lo, s1
	s_cbranch_execz .LBB188_18
; %bb.17:                               ;   in Loop: Header=BB188_5 Depth=1
	v_ashrrev_i32_e32 v1, 31, v87
	v_add_co_u32 v2, s1, v71, v87
	v_add_co_ci_u32_e64 v3, null, v75, v1, s1
	v_mad_u64_u32 v[1:2], null, v2, 36, s[2:3]
	v_mad_i32_i24 v2, v3, 36, v2
	global_load_dword v1, v[1:2], off offset:144
	s_waitcnt vmcnt(0)
	v_cvt_f32_f16_e32 v1, v1
	ds_write_b32 v61, v1
.LBB188_18:                             ;   in Loop: Header=BB188_5 Depth=1
	s_or_b32 exec_lo, exec_lo, s19
	v_mov_b32_e32 v5, v57
	v_mov_b32_e32 v6, v60
	s_mov_b32 s1, 8
	s_waitcnt lgkmcnt(0)
	s_barrier
	buffer_gl0_inv
.LBB188_19:                             ;   Parent Loop BB188_5 Depth=1
                                        ; =>  This Inner Loop Header: Depth=2
	s_and_b32 s21, s1, 0x3ffffff8
	s_lshr_b32 s22, s1, 2
	v_lshl_add_u32 v100, s21, 2, v73
	s_and_b32 s21, s22, 0x3ffffffc
	s_and_b32 s20, s1, -16
	s_addk_i32 s21, 0x5280
	ds_read_b32 v7, v6
	ds_read_b128 v[88:91], v5
	ds_read_b128 v[1:4], v5 offset:16
	v_add3_u32 v102, s21, v80, v81
	v_add3_u32 v103, s21, v82, v83
	ds_read2_b32 v[92:93], v100 offset1:1
	ds_read2_b32 v[94:95], v100 offset0:2 offset1:3
	ds_read2_b32 v[96:97], v100 offset0:4 offset1:5
	;; [unrolled: 1-line block ×3, first 2 shown]
	s_add_i32 s20, s1, s20
	v_add3_u32 v105, s21, v84, v85
	v_add3_u32 v101, s21, v78, v79
	v_add_nc_u32_e32 v104, s20, v64
	v_add_nc_u32_e32 v108, s20, v65
	;; [unrolled: 1-line block ×16, first 2 shown]
	ds_read_b32 v136, v102
	ds_read_b32 v137, v103
	;; [unrolled: 1-line block ×4, first 2 shown]
	ds_read2_b32 v[100:101], v106 offset1:1
	ds_read2_b32 v[102:103], v107 offset1:1
	ds_read_u16 v140, v104 offset:16896
	ds_read2_b32 v[104:105], v109 offset1:1
	ds_read2_b32 v[106:107], v110 offset1:1
	ds_read_u16 v141, v108 offset:17920
	ds_read2_b32 v[108:109], v111 offset1:1
	ds_read2_b32 v[110:111], v112 offset1:1
	;; [unrolled: 1-line block ×6, first 2 shown]
	ds_read_u16 v142, v120 offset:18944
	ds_read2_b32 v[120:121], v121 offset1:1
	ds_read2_b32 v[122:123], v122 offset1:1
	ds_read_u16 v135, v135 offset:19968
	s_add_i32 s19, s1, -8
	v_mov_b32_e32 v8, 0
	s_waitcnt lgkmcnt(23)
	v_ashrrev_i32_e32 v92, s19, v92
	s_waitcnt lgkmcnt(21)
	v_ashrrev_i32_e32 v96, s19, v96
	v_mov_b32_e32 v125, 0
	s_waitcnt lgkmcnt(15)
	v_ashrrev_i32_e32 v100, s19, v100
	s_waitcnt lgkmcnt(13)
	v_bfe_u32 v147, v140, 4, 4
	v_and_b32_e32 v92, 0x3030303, v92
	v_and_b32_e32 v96, 0x3030303, v96
	;; [unrolled: 1-line block ×3, first 2 shown]
	v_and_b32_sdwa v140, v86, v140 dst_sel:DWORD dst_unused:UNUSED_PAD src0_sel:DWORD src1_sel:BYTE_1
	s_waitcnt lgkmcnt(10)
	v_bfe_u32 v149, v141, 4, 4
	v_mul_lo_u32 v147, 0x1010101, v147
	v_dot4c_i32_i8 v8, v92, v88
	v_dot4c_i32_i8 v125, v96, v1
	v_lshrrev_b32_e32 v92, 4, v140
	s_waitcnt lgkmcnt(3)
	v_bfe_u32 v151, v142, 4, 4
	v_and_b32_e32 v96, 15, v140
	v_mul_lo_u32 v140, 0x1010101, v149
	s_waitcnt lgkmcnt(0)
	v_bfe_u32 v153, v135, 4, 4
	v_ashrrev_i32_e32 v108, s19, v108
	v_mul_lo_u32 v151, 0x1010101, v151
	v_ashrrev_i32_e32 v116, s19, v116
	v_mov_b32_e32 v124, 0
	v_mul_lo_u32 v153, 0x1010101, v153
	v_mov_b32_e32 v127, 0
	v_mov_b32_e32 v130, 0
	;; [unrolled: 1-line block ×3, first 2 shown]
	v_ashrrev_i32_e32 v93, s19, v93
	v_mov_b32_e32 v126, 0
	v_mov_b32_e32 v129, 0
	;; [unrolled: 1-line block ×3, first 2 shown]
	v_ashrrev_i32_e32 v101, s19, v101
	v_ashrrev_i32_e32 v109, s19, v109
	;; [unrolled: 1-line block ×3, first 2 shown]
	v_and_b32_e32 v100, 0x3030303, v100
	v_and_b32_e32 v108, 0x3030303, v108
	;; [unrolled: 1-line block ×3, first 2 shown]
	v_dot4c_i32_i8 v124, v147, v88
	v_dot4c_i32_i8 v127, v140, v88
	;; [unrolled: 1-line block ×4, first 2 shown]
	v_ashrrev_i32_e32 v94, s19, v94
	v_and_b32_e32 v93, 0x3030303, v93
	v_ashrrev_i32_e32 v97, s19, v97
	v_ashrrev_i32_e32 v104, s19, v104
	v_and_b32_e32 v150, 15, v141
	v_and_b32_sdwa v141, v86, v141 dst_sel:DWORD dst_unused:UNUSED_PAD src0_sel:DWORD src1_sel:BYTE_1
	v_ashrrev_i32_e32 v112, s19, v112
	v_and_b32_e32 v152, 15, v142
	v_and_b32_sdwa v142, v86, v142 dst_sel:DWORD dst_unused:UNUSED_PAD src0_sel:DWORD src1_sel:BYTE_1
	v_and_b32_e32 v154, 15, v135
	v_and_b32_sdwa v135, v86, v135 dst_sel:DWORD dst_unused:UNUSED_PAD src0_sel:DWORD src1_sel:BYTE_1
	v_ashrrev_i32_e32 v102, s19, v102
	v_ashrrev_i32_e32 v110, s19, v110
	;; [unrolled: 1-line block ×3, first 2 shown]
	v_and_b32_e32 v101, 0x3030303, v101
	v_and_b32_e32 v109, 0x3030303, v109
	;; [unrolled: 1-line block ×3, first 2 shown]
	v_dot4c_i32_i8 v126, v100, v88
	v_dot4c_i32_i8 v129, v108, v88
	;; [unrolled: 1-line block ×7, first 2 shown]
	v_ashrrev_i32_e32 v95, s19, v95
	v_and_b32_e32 v94, 0x3030303, v94
	v_dot4c_i32_i8 v8, v93, v89
	v_mov_b32_e32 v128, 0
	v_mov_b32_e32 v131, 0
	v_and_b32_e32 v97, 0x3030303, v97
	v_ashrrev_i32_e32 v105, s19, v105
	v_ashrrev_i32_e32 v113, s19, v113
	;; [unrolled: 1-line block ×3, first 2 shown]
	v_and_b32_e32 v104, 0x3030303, v104
	v_lshrrev_b32_e32 v149, 4, v141
	v_and_b32_e32 v112, 0x3030303, v112
	v_lshrrev_b32_e32 v155, 4, v142
	v_lshrrev_b32_e32 v156, 4, v135
	v_ashrrev_i32_e32 v98, s19, v98
	v_ashrrev_i32_e32 v103, s19, v103
	;; [unrolled: 1-line block ×4, first 2 shown]
	v_and_b32_e32 v102, 0x3030303, v102
	v_and_b32_e32 v110, 0x3030303, v110
	;; [unrolled: 1-line block ×3, first 2 shown]
	v_dot4c_i32_i8 v126, v101, v89
	v_dot4c_i32_i8 v129, v109, v89
	;; [unrolled: 1-line block ×7, first 2 shown]
	v_and_b32_e32 v95, 0x3030303, v95
	v_dot4c_i32_i8 v8, v94, v90
	v_mov_b32_e32 v134, 0
	v_ashrrev_i32_e32 v106, s19, v106
	v_ashrrev_i32_e32 v114, s19, v114
	;; [unrolled: 1-line block ×3, first 2 shown]
	v_and_b32_e32 v105, 0x3030303, v105
	v_and_b32_e32 v113, 0x3030303, v113
	;; [unrolled: 1-line block ×3, first 2 shown]
	v_mul_lo_u32 v157, 0x1010101, v92
	v_dot4c_i32_i8 v125, v97, v2
	v_mul_lo_u32 v97, 0x1010101, v149
	v_dot4c_i32_i8 v128, v104, v1
	;; [unrolled: 2-line block ×3, first 2 shown]
	v_mul_lo_u32 v104, 0x1010101, v156
	v_ashrrev_i32_e32 v99, s19, v99
	v_and_b32_e32 v98, 0x3030303, v98
	v_and_b32_e32 v103, 0x3030303, v103
	v_and_b32_e32 v111, 0x3030303, v111
	v_and_b32_e32 v119, 0x3030303, v119
	v_dot4c_i32_i8 v126, v102, v90
	v_dot4c_i32_i8 v129, v110, v90
	;; [unrolled: 1-line block ×8, first 2 shown]
	v_ashrrev_i32_e32 v107, s19, v107
	v_ashrrev_i32_e32 v115, s19, v115
	;; [unrolled: 1-line block ×3, first 2 shown]
	v_and_b32_e32 v106, 0x3030303, v106
	v_and_b32_e32 v114, 0x3030303, v114
	v_and_b32_e32 v121, 0x3030303, v121
	v_dot4c_i32_i8 v134, v120, v1
	v_dot4c_i32_i8 v128, v105, v2
	;; [unrolled: 1-line block ×3, first 2 shown]
	v_and_b32_e32 v99, 0x3030303, v99
	v_dot4c_i32_i8 v125, v98, v3
	v_dot4c_i32_i8 v126, v103, v91
	v_dot4c_i32_i8 v129, v111, v91
	v_dot4c_i32_i8 v132, v119, v91
	v_dot4c_i32_i8 v124, v157, v1
	v_dot4c_i32_i8 v127, v97, v1
	v_dot4c_i32_i8 v130, v100, v1
	v_dot4c_i32_i8 v133, v104, v1
	v_mul_lo_u32 v8, v148, v8
	v_ashrrev_i32_e32 v123, s19, v123
	v_and_b32_e32 v107, 0x3030303, v107
	v_and_b32_e32 v115, 0x3030303, v115
	v_and_b32_e32 v122, 0x3030303, v122
	v_dot4c_i32_i8 v134, v121, v2
	v_dot4c_i32_i8 v128, v106, v3
	;; [unrolled: 1-line block ×4, first 2 shown]
	v_mul_lo_u32 v88, v150, v126
	v_mul_lo_u32 v89, v152, v129
	;; [unrolled: 1-line block ×3, first 2 shown]
	v_dot4c_i32_i8 v124, v157, v2
	v_dot4c_i32_i8 v127, v97, v2
	;; [unrolled: 1-line block ×4, first 2 shown]
	v_and_b32_e32 v141, 15, v141
	v_and_b32_e32 v142, 15, v142
	;; [unrolled: 1-line block ×3, first 2 shown]
	v_dot4c_i32_i8 v134, v122, v3
	v_dot4c_i32_i8 v128, v107, v4
	v_dot4c_i32_i8 v131, v115, v4
	v_mad_u64_u32 v[91:92], null, v96, v125, v[8:9]
	v_dot4c_i32_i8 v124, v157, v3
	v_dot4c_i32_i8 v127, v97, v3
	v_dot4c_i32_i8 v130, v100, v3
	v_dot4c_i32_i8 v133, v104, v3
	v_and_b32_e32 v135, 15, v135
	v_dot4c_i32_i8 v134, v123, v4
	v_mad_u64_u32 v[92:93], null, v141, v128, v[88:89]
	v_mad_u64_u32 v[88:89], null, v142, v131, v[89:90]
	v_dot4c_i32_i8 v124, v157, v4
	v_dot4c_i32_i8 v127, v97, v4
	;; [unrolled: 1-line block ×4, first 2 shown]
	v_mad_u64_u32 v[1:2], null, v135, v134, v[90:91]
	v_cvt_f32_f16_sdwa v143, v139 dst_sel:DWORD dst_unused:UNUSED_PAD src0_sel:WORD_1
	v_cvt_f32_f16_sdwa v144, v136 dst_sel:DWORD dst_unused:UNUSED_PAD src0_sel:WORD_1
	;; [unrolled: 1-line block ×4, first 2 shown]
	v_cvt_f32_i32_e32 v4, v88
	v_cvt_f32_i32_e32 v8, v124
	;; [unrolled: 1-line block ×8, first 2 shown]
	v_mul_f32_e32 v8, v143, v8
	v_mul_f32_e32 v88, v144, v88
	;; [unrolled: 1-line block ×4, first 2 shown]
	v_add_nc_u32_e32 v6, 4, v6
	v_fma_mix_f32 v2, v139, v2, -v8 op_sel_hi:[1,0,0]
	v_fma_mix_f32 v3, v136, v3, -v88 op_sel_hi:[1,0,0]
	;; [unrolled: 1-line block ×4, first 2 shown]
	v_add_nc_u32_e32 v5, 32, v5
	v_fmac_f32_e32 v29, v7, v2
	v_fmac_f32_e32 v62, v7, v3
	;; [unrolled: 1-line block ×4, first 2 shown]
	s_add_i32 s19, s1, 2
	s_cmp_lt_u32 s1, 14
	s_mov_b32 s1, s19
	s_cbranch_scc1 .LBB188_19
; %bb.20:                               ;   in Loop: Header=BB188_5 Depth=1
	s_or_b32 s1, s4, 0x100
	s_cmp_ge_i32 s1, s9
	s_barrier
	buffer_gl0_inv
	s_cbranch_scc1 .LBB188_4
; %bb.21:                               ;   in Loop: Header=BB188_5 Depth=1
	v_add_nc_u32_e32 v1, s5, v69
	v_cmp_gt_i32_e64 s1, s8, v1
	s_and_b32 s19, s0, s1
	s_and_saveexec_b32 s1, s19
	s_cbranch_execz .LBB188_23
; %bb.22:                               ;   in Loop: Header=BB188_5 Depth=1
	v_add_nc_u32_e32 v1, v71, v1
	v_mad_i64_i32 v[1:2], null, v1, 36, v[26:27]
	global_load_dword v1, v[1:2], off offset:4
	s_waitcnt vmcnt(0)
	ds_write_b32 v59, v1
.LBB188_23:                             ;   in Loop: Header=BB188_5 Depth=1
	s_or_b32 exec_lo, exec_lo, s1
	s_and_saveexec_b32 s19, vcc_lo
	s_cbranch_execz .LBB188_26
; %bb.24:                               ;   in Loop: Header=BB188_5 Depth=1
	v_or_b32_e32 v1, 8, v87
	v_cmp_gt_i32_e64 s1, s8, v1
	s_and_b32 s1, s0, s1
	s_and_b32 exec_lo, exec_lo, s1
	s_cbranch_execz .LBB188_26
; %bb.25:                               ;   in Loop: Header=BB188_5 Depth=1
	v_ashrrev_i32_e32 v1, 31, v87
	v_add_co_u32 v2, s1, v71, v87
	v_add_co_ci_u32_e64 v3, null, v75, v1, s1
	v_mad_u64_u32 v[1:2], null, v2, 36, s[2:3]
	v_mad_i32_i24 v2, v3, 36, v2
	global_load_dword v1, v[1:2], off offset:288
	s_waitcnt vmcnt(0)
	v_cvt_f32_f16_e32 v1, v1
	ds_write_b32 v61, v1
.LBB188_26:                             ;   in Loop: Header=BB188_5 Depth=1
	s_or_b32 exec_lo, exec_lo, s19
	v_mov_b32_e32 v5, v57
	v_mov_b32_e32 v6, v60
	s_mov_b32 s1, 16
	s_waitcnt lgkmcnt(0)
	s_barrier
	buffer_gl0_inv
.LBB188_27:                             ;   Parent Loop BB188_5 Depth=1
                                        ; =>  This Inner Loop Header: Depth=2
	s_and_b32 s21, s1, 0x3ffffff8
	s_lshr_b32 s22, s1, 2
	v_lshl_add_u32 v100, s21, 2, v73
	s_and_b32 s21, s22, 0x3ffffffc
	s_and_b32 s20, s1, -16
	s_addk_i32 s21, 0x5280
	ds_read_b32 v7, v6
	ds_read_b128 v[88:91], v5
	ds_read_b128 v[1:4], v5 offset:16
	v_add3_u32 v102, s21, v80, v81
	v_add3_u32 v103, s21, v82, v83
	ds_read2_b32 v[92:93], v100 offset1:1
	ds_read2_b32 v[94:95], v100 offset0:2 offset1:3
	ds_read2_b32 v[96:97], v100 offset0:4 offset1:5
	;; [unrolled: 1-line block ×3, first 2 shown]
	s_add_i32 s20, s1, s20
	v_add3_u32 v105, s21, v84, v85
	v_add3_u32 v101, s21, v78, v79
	v_add_nc_u32_e32 v104, s20, v64
	v_add_nc_u32_e32 v108, s20, v65
	v_add_nc_u32_e32 v120, s20, v66
	v_add_nc_u32_e32 v135, s20, v63
	v_add_nc_u32_e32 v106, 0x1080, v100
	v_add_nc_u32_e32 v107, 0x1088, v100
	v_add_nc_u32_e32 v109, 0x1090, v100
	v_add_nc_u32_e32 v110, 0x1098, v100
	v_add_nc_u32_e32 v111, 0x2100, v100
	v_add_nc_u32_e32 v112, 0x2108, v100
	v_add_nc_u32_e32 v113, 0x2110, v100
	v_add_nc_u32_e32 v114, 0x2118, v100
	v_add_nc_u32_e32 v116, 0x3180, v100
	v_add_nc_u32_e32 v118, 0x3188, v100
	v_add_nc_u32_e32 v121, 0x3190, v100
	v_add_nc_u32_e32 v122, 0x3198, v100
	ds_read_b32 v136, v102
	ds_read_b32 v137, v103
	;; [unrolled: 1-line block ×4, first 2 shown]
	ds_read2_b32 v[100:101], v106 offset1:1
	ds_read2_b32 v[102:103], v107 offset1:1
	ds_read_u16 v140, v104 offset:16880
	ds_read2_b32 v[104:105], v109 offset1:1
	ds_read2_b32 v[106:107], v110 offset1:1
	ds_read_u16 v141, v108 offset:17904
	ds_read2_b32 v[108:109], v111 offset1:1
	ds_read2_b32 v[110:111], v112 offset1:1
	;; [unrolled: 1-line block ×6, first 2 shown]
	ds_read_u16 v142, v120 offset:18928
	ds_read2_b32 v[120:121], v121 offset1:1
	ds_read2_b32 v[122:123], v122 offset1:1
	ds_read_u16 v135, v135 offset:19952
	s_add_i32 s19, s1, -16
	v_mov_b32_e32 v8, 0
	s_waitcnt lgkmcnt(23)
	v_ashrrev_i32_e32 v92, s19, v92
	s_waitcnt lgkmcnt(21)
	v_ashrrev_i32_e32 v96, s19, v96
	v_mov_b32_e32 v125, 0
	s_waitcnt lgkmcnt(15)
	v_ashrrev_i32_e32 v100, s19, v100
	s_waitcnt lgkmcnt(13)
	v_bfe_u32 v147, v140, 4, 4
	v_and_b32_e32 v92, 0x3030303, v92
	v_and_b32_e32 v96, 0x3030303, v96
	;; [unrolled: 1-line block ×3, first 2 shown]
	v_and_b32_sdwa v140, v86, v140 dst_sel:DWORD dst_unused:UNUSED_PAD src0_sel:DWORD src1_sel:BYTE_1
	s_waitcnt lgkmcnt(10)
	v_bfe_u32 v149, v141, 4, 4
	v_mul_lo_u32 v147, 0x1010101, v147
	v_dot4c_i32_i8 v8, v92, v88
	v_dot4c_i32_i8 v125, v96, v1
	v_lshrrev_b32_e32 v92, 4, v140
	s_waitcnt lgkmcnt(3)
	v_bfe_u32 v151, v142, 4, 4
	v_and_b32_e32 v96, 15, v140
	v_mul_lo_u32 v140, 0x1010101, v149
	s_waitcnt lgkmcnt(0)
	v_bfe_u32 v153, v135, 4, 4
	v_ashrrev_i32_e32 v108, s19, v108
	v_mul_lo_u32 v151, 0x1010101, v151
	v_ashrrev_i32_e32 v116, s19, v116
	v_mov_b32_e32 v124, 0
	v_mul_lo_u32 v153, 0x1010101, v153
	v_mov_b32_e32 v127, 0
	v_mov_b32_e32 v130, 0
	;; [unrolled: 1-line block ×3, first 2 shown]
	v_ashrrev_i32_e32 v93, s19, v93
	v_mov_b32_e32 v126, 0
	v_mov_b32_e32 v129, 0
	;; [unrolled: 1-line block ×3, first 2 shown]
	v_ashrrev_i32_e32 v101, s19, v101
	v_ashrrev_i32_e32 v109, s19, v109
	;; [unrolled: 1-line block ×3, first 2 shown]
	v_and_b32_e32 v100, 0x3030303, v100
	v_and_b32_e32 v108, 0x3030303, v108
	;; [unrolled: 1-line block ×3, first 2 shown]
	v_dot4c_i32_i8 v124, v147, v88
	v_dot4c_i32_i8 v127, v140, v88
	;; [unrolled: 1-line block ×4, first 2 shown]
	v_ashrrev_i32_e32 v94, s19, v94
	v_and_b32_e32 v93, 0x3030303, v93
	v_ashrrev_i32_e32 v97, s19, v97
	v_ashrrev_i32_e32 v104, s19, v104
	v_and_b32_e32 v150, 15, v141
	v_and_b32_sdwa v141, v86, v141 dst_sel:DWORD dst_unused:UNUSED_PAD src0_sel:DWORD src1_sel:BYTE_1
	v_ashrrev_i32_e32 v112, s19, v112
	v_and_b32_e32 v152, 15, v142
	v_and_b32_sdwa v142, v86, v142 dst_sel:DWORD dst_unused:UNUSED_PAD src0_sel:DWORD src1_sel:BYTE_1
	v_and_b32_e32 v154, 15, v135
	v_and_b32_sdwa v135, v86, v135 dst_sel:DWORD dst_unused:UNUSED_PAD src0_sel:DWORD src1_sel:BYTE_1
	v_ashrrev_i32_e32 v102, s19, v102
	v_ashrrev_i32_e32 v110, s19, v110
	;; [unrolled: 1-line block ×3, first 2 shown]
	v_and_b32_e32 v101, 0x3030303, v101
	v_and_b32_e32 v109, 0x3030303, v109
	;; [unrolled: 1-line block ×3, first 2 shown]
	v_dot4c_i32_i8 v126, v100, v88
	v_dot4c_i32_i8 v129, v108, v88
	v_dot4c_i32_i8 v132, v116, v88
	v_dot4c_i32_i8 v124, v147, v89
	v_dot4c_i32_i8 v127, v140, v89
	v_dot4c_i32_i8 v130, v151, v89
	v_dot4c_i32_i8 v133, v153, v89
	v_ashrrev_i32_e32 v95, s19, v95
	v_and_b32_e32 v94, 0x3030303, v94
	v_dot4c_i32_i8 v8, v93, v89
	v_mov_b32_e32 v128, 0
	v_mov_b32_e32 v131, 0
	v_and_b32_e32 v97, 0x3030303, v97
	v_ashrrev_i32_e32 v105, s19, v105
	v_ashrrev_i32_e32 v113, s19, v113
	;; [unrolled: 1-line block ×3, first 2 shown]
	v_and_b32_e32 v104, 0x3030303, v104
	v_lshrrev_b32_e32 v149, 4, v141
	v_and_b32_e32 v112, 0x3030303, v112
	v_lshrrev_b32_e32 v155, 4, v142
	v_lshrrev_b32_e32 v156, 4, v135
	v_ashrrev_i32_e32 v98, s19, v98
	v_ashrrev_i32_e32 v103, s19, v103
	;; [unrolled: 1-line block ×4, first 2 shown]
	v_and_b32_e32 v102, 0x3030303, v102
	v_and_b32_e32 v110, 0x3030303, v110
	;; [unrolled: 1-line block ×3, first 2 shown]
	v_dot4c_i32_i8 v126, v101, v89
	v_dot4c_i32_i8 v129, v109, v89
	;; [unrolled: 1-line block ×7, first 2 shown]
	v_and_b32_e32 v95, 0x3030303, v95
	v_dot4c_i32_i8 v8, v94, v90
	v_mov_b32_e32 v134, 0
	v_ashrrev_i32_e32 v106, s19, v106
	v_ashrrev_i32_e32 v114, s19, v114
	;; [unrolled: 1-line block ×3, first 2 shown]
	v_and_b32_e32 v105, 0x3030303, v105
	v_and_b32_e32 v113, 0x3030303, v113
	;; [unrolled: 1-line block ×3, first 2 shown]
	v_mul_lo_u32 v157, 0x1010101, v92
	v_dot4c_i32_i8 v125, v97, v2
	v_mul_lo_u32 v97, 0x1010101, v149
	v_dot4c_i32_i8 v128, v104, v1
	;; [unrolled: 2-line block ×3, first 2 shown]
	v_mul_lo_u32 v104, 0x1010101, v156
	v_ashrrev_i32_e32 v99, s19, v99
	v_and_b32_e32 v98, 0x3030303, v98
	v_and_b32_e32 v103, 0x3030303, v103
	;; [unrolled: 1-line block ×4, first 2 shown]
	v_dot4c_i32_i8 v126, v102, v90
	v_dot4c_i32_i8 v129, v110, v90
	v_dot4c_i32_i8 v132, v118, v90
	v_dot4c_i32_i8 v124, v147, v91
	v_dot4c_i32_i8 v127, v140, v91
	v_dot4c_i32_i8 v130, v151, v91
	v_dot4c_i32_i8 v133, v153, v91
	v_dot4c_i32_i8 v8, v95, v91
	v_ashrrev_i32_e32 v107, s19, v107
	v_ashrrev_i32_e32 v115, s19, v115
	;; [unrolled: 1-line block ×3, first 2 shown]
	v_and_b32_e32 v106, 0x3030303, v106
	v_and_b32_e32 v114, 0x3030303, v114
	;; [unrolled: 1-line block ×3, first 2 shown]
	v_dot4c_i32_i8 v134, v120, v1
	v_dot4c_i32_i8 v128, v105, v2
	;; [unrolled: 1-line block ×3, first 2 shown]
	v_and_b32_e32 v99, 0x3030303, v99
	v_dot4c_i32_i8 v125, v98, v3
	v_dot4c_i32_i8 v126, v103, v91
	;; [unrolled: 1-line block ×8, first 2 shown]
	v_mul_lo_u32 v8, v148, v8
	v_ashrrev_i32_e32 v123, s19, v123
	v_and_b32_e32 v107, 0x3030303, v107
	v_and_b32_e32 v115, 0x3030303, v115
	;; [unrolled: 1-line block ×3, first 2 shown]
	v_dot4c_i32_i8 v134, v121, v2
	v_dot4c_i32_i8 v128, v106, v3
	;; [unrolled: 1-line block ×4, first 2 shown]
	v_mul_lo_u32 v88, v150, v126
	v_mul_lo_u32 v89, v152, v129
	;; [unrolled: 1-line block ×3, first 2 shown]
	v_dot4c_i32_i8 v124, v157, v2
	v_dot4c_i32_i8 v127, v97, v2
	;; [unrolled: 1-line block ×4, first 2 shown]
	v_and_b32_e32 v141, 15, v141
	v_and_b32_e32 v142, 15, v142
	;; [unrolled: 1-line block ×3, first 2 shown]
	v_dot4c_i32_i8 v134, v122, v3
	v_dot4c_i32_i8 v128, v107, v4
	;; [unrolled: 1-line block ×3, first 2 shown]
	v_mad_u64_u32 v[91:92], null, v96, v125, v[8:9]
	v_dot4c_i32_i8 v124, v157, v3
	v_dot4c_i32_i8 v127, v97, v3
	;; [unrolled: 1-line block ×4, first 2 shown]
	v_and_b32_e32 v135, 15, v135
	v_dot4c_i32_i8 v134, v123, v4
	v_mad_u64_u32 v[92:93], null, v141, v128, v[88:89]
	v_mad_u64_u32 v[88:89], null, v142, v131, v[89:90]
	v_dot4c_i32_i8 v124, v157, v4
	v_dot4c_i32_i8 v127, v97, v4
	;; [unrolled: 1-line block ×4, first 2 shown]
	v_mad_u64_u32 v[1:2], null, v135, v134, v[90:91]
	v_cvt_f32_f16_sdwa v143, v139 dst_sel:DWORD dst_unused:UNUSED_PAD src0_sel:WORD_1
	v_cvt_f32_f16_sdwa v144, v136 dst_sel:DWORD dst_unused:UNUSED_PAD src0_sel:WORD_1
	;; [unrolled: 1-line block ×4, first 2 shown]
	v_cvt_f32_i32_e32 v4, v88
	v_cvt_f32_i32_e32 v8, v124
	;; [unrolled: 1-line block ×8, first 2 shown]
	v_mul_f32_e32 v8, v143, v8
	v_mul_f32_e32 v88, v144, v88
	;; [unrolled: 1-line block ×4, first 2 shown]
	v_add_nc_u32_e32 v6, 4, v6
	v_fma_mix_f32 v2, v139, v2, -v8 op_sel_hi:[1,0,0]
	v_fma_mix_f32 v3, v136, v3, -v88 op_sel_hi:[1,0,0]
	;; [unrolled: 1-line block ×4, first 2 shown]
	v_add_nc_u32_e32 v5, 32, v5
	v_fmac_f32_e32 v29, v7, v2
	v_fmac_f32_e32 v62, v7, v3
	;; [unrolled: 1-line block ×4, first 2 shown]
	s_add_i32 s19, s1, 2
	s_cmp_lt_u32 s1, 22
	s_mov_b32 s1, s19
	s_cbranch_scc1 .LBB188_27
; %bb.28:                               ;   in Loop: Header=BB188_5 Depth=1
	s_or_b32 s1, s4, 0x180
	s_cmp_ge_i32 s1, s9
	s_barrier
	buffer_gl0_inv
	s_cbranch_scc1 .LBB188_4
; %bb.29:                               ;   in Loop: Header=BB188_5 Depth=1
	v_add_nc_u32_e32 v1, s5, v70
	v_cmp_gt_i32_e64 s1, s8, v1
	s_and_b32 s4, s0, s1
	s_and_saveexec_b32 s1, s4
	s_cbranch_execz .LBB188_31
; %bb.30:                               ;   in Loop: Header=BB188_5 Depth=1
	v_add_nc_u32_e32 v1, v71, v1
	v_mad_i64_i32 v[1:2], null, v1, 36, v[26:27]
	global_load_dword v1, v[1:2], off offset:4
	s_waitcnt vmcnt(0)
	ds_write_b32 v59, v1
.LBB188_31:                             ;   in Loop: Header=BB188_5 Depth=1
	s_or_b32 exec_lo, exec_lo, s1
	s_and_saveexec_b32 s4, vcc_lo
	s_cbranch_execz .LBB188_34
; %bb.32:                               ;   in Loop: Header=BB188_5 Depth=1
	v_or_b32_e32 v1, 12, v87
	v_cmp_gt_i32_e64 s1, s8, v1
	s_and_b32 s1, s0, s1
	s_and_b32 exec_lo, exec_lo, s1
	s_cbranch_execz .LBB188_34
; %bb.33:                               ;   in Loop: Header=BB188_5 Depth=1
	v_ashrrev_i32_e32 v1, 31, v87
	v_add_co_u32 v2, s1, v71, v87
	v_add_co_ci_u32_e64 v3, null, v75, v1, s1
	v_mad_u64_u32 v[1:2], null, v2, 36, s[2:3]
	v_mad_i32_i24 v2, v3, 36, v2
	global_load_dword v1, v[1:2], off offset:432
	s_waitcnt vmcnt(0)
	v_cvt_f32_f16_e32 v1, v1
	ds_write_b32 v61, v1
.LBB188_34:                             ;   in Loop: Header=BB188_5 Depth=1
	s_or_b32 exec_lo, exec_lo, s4
	v_mov_b32_e32 v5, v57
	v_mov_b32_e32 v6, v60
	s_mov_b32 s1, 24
	s_waitcnt lgkmcnt(0)
	s_barrier
	buffer_gl0_inv
.LBB188_35:                             ;   Parent Loop BB188_5 Depth=1
                                        ; =>  This Inner Loop Header: Depth=2
	s_and_b32 s19, s1, 0x3ffffff8
	s_lshr_b32 s20, s1, 2
	v_lshl_add_u32 v99, s19, 2, v73
	s_and_b32 s19, s20, 0x3ffffffc
	s_and_b32 s5, s1, -16
	s_addk_i32 s19, 0x5280
	ds_read_b32 v7, v6
	ds_read_b128 v[87:90], v5
	ds_read_b128 v[1:4], v5 offset:16
	v_add3_u32 v101, s19, v80, v81
	v_add3_u32 v102, s19, v82, v83
	ds_read2_b32 v[91:92], v99 offset1:1
	ds_read2_b32 v[93:94], v99 offset0:2 offset1:3
	ds_read2_b32 v[95:96], v99 offset0:4 offset1:5
	;; [unrolled: 1-line block ×3, first 2 shown]
	s_add_i32 s5, s1, s5
	v_add3_u32 v104, s19, v84, v85
	v_add3_u32 v100, s19, v78, v79
	v_add_nc_u32_e32 v103, s5, v64
	v_add_nc_u32_e32 v107, s5, v65
	;; [unrolled: 1-line block ×16, first 2 shown]
	ds_read_b32 v135, v101
	ds_read_b32 v136, v102
	;; [unrolled: 1-line block ×4, first 2 shown]
	ds_read2_b32 v[99:100], v105 offset1:1
	ds_read2_b32 v[101:102], v106 offset1:1
	ds_read_u16 v139, v103 offset:16880
	ds_read2_b32 v[103:104], v108 offset1:1
	ds_read2_b32 v[105:106], v109 offset1:1
	ds_read_u16 v140, v107 offset:17904
	ds_read2_b32 v[107:108], v110 offset1:1
	ds_read2_b32 v[109:110], v111 offset1:1
	;; [unrolled: 1-line block ×6, first 2 shown]
	ds_read_u16 v141, v119 offset:18928
	ds_read2_b32 v[119:120], v120 offset1:1
	ds_read2_b32 v[121:122], v121 offset1:1
	ds_read_u16 v134, v134 offset:19952
	s_sub_i32 s4, s1, 24
	v_mov_b32_e32 v8, 0
	s_waitcnt lgkmcnt(23)
	v_ashrrev_i32_e32 v91, s4, v91
	s_waitcnt lgkmcnt(21)
	v_ashrrev_i32_e32 v95, s4, v95
	v_mov_b32_e32 v124, 0
	s_waitcnt lgkmcnt(15)
	v_ashrrev_i32_e32 v99, s4, v99
	s_waitcnt lgkmcnt(13)
	v_bfe_u32 v146, v139, 4, 4
	v_and_b32_e32 v91, 0x3030303, v91
	v_and_b32_e32 v95, 0x3030303, v95
	;; [unrolled: 1-line block ×3, first 2 shown]
	v_and_b32_sdwa v139, v86, v139 dst_sel:DWORD dst_unused:UNUSED_PAD src0_sel:DWORD src1_sel:BYTE_1
	s_waitcnt lgkmcnt(10)
	v_bfe_u32 v148, v140, 4, 4
	v_mul_lo_u32 v146, 0x1010101, v146
	v_dot4c_i32_i8 v8, v91, v87
	v_dot4c_i32_i8 v124, v95, v1
	v_lshrrev_b32_e32 v91, 4, v139
	s_waitcnt lgkmcnt(3)
	v_bfe_u32 v150, v141, 4, 4
	v_and_b32_e32 v95, 15, v139
	v_mul_lo_u32 v139, 0x1010101, v148
	s_waitcnt lgkmcnt(0)
	v_bfe_u32 v152, v134, 4, 4
	v_ashrrev_i32_e32 v107, s4, v107
	v_mul_lo_u32 v150, 0x1010101, v150
	v_ashrrev_i32_e32 v115, s4, v115
	v_mov_b32_e32 v123, 0
	v_mul_lo_u32 v152, 0x1010101, v152
	v_mov_b32_e32 v126, 0
	v_mov_b32_e32 v129, 0
	;; [unrolled: 1-line block ×3, first 2 shown]
	v_ashrrev_i32_e32 v92, s4, v92
	v_mov_b32_e32 v125, 0
	v_mov_b32_e32 v128, 0
	;; [unrolled: 1-line block ×3, first 2 shown]
	v_ashrrev_i32_e32 v100, s4, v100
	v_ashrrev_i32_e32 v108, s4, v108
	v_ashrrev_i32_e32 v116, s4, v116
	v_and_b32_e32 v99, 0x3030303, v99
	v_and_b32_e32 v107, 0x3030303, v107
	v_and_b32_e32 v115, 0x3030303, v115
	v_dot4c_i32_i8 v123, v146, v87
	v_dot4c_i32_i8 v126, v139, v87
	;; [unrolled: 1-line block ×4, first 2 shown]
	v_ashrrev_i32_e32 v93, s4, v93
	v_and_b32_e32 v92, 0x3030303, v92
	v_ashrrev_i32_e32 v96, s4, v96
	v_ashrrev_i32_e32 v103, s4, v103
	v_and_b32_e32 v149, 15, v140
	v_and_b32_sdwa v140, v86, v140 dst_sel:DWORD dst_unused:UNUSED_PAD src0_sel:DWORD src1_sel:BYTE_1
	v_ashrrev_i32_e32 v111, s4, v111
	v_and_b32_e32 v151, 15, v141
	v_and_b32_sdwa v141, v86, v141 dst_sel:DWORD dst_unused:UNUSED_PAD src0_sel:DWORD src1_sel:BYTE_1
	v_and_b32_e32 v153, 15, v134
	v_and_b32_sdwa v134, v86, v134 dst_sel:DWORD dst_unused:UNUSED_PAD src0_sel:DWORD src1_sel:BYTE_1
	v_ashrrev_i32_e32 v101, s4, v101
	v_ashrrev_i32_e32 v109, s4, v109
	;; [unrolled: 1-line block ×3, first 2 shown]
	v_and_b32_e32 v100, 0x3030303, v100
	v_and_b32_e32 v108, 0x3030303, v108
	;; [unrolled: 1-line block ×3, first 2 shown]
	v_dot4c_i32_i8 v125, v99, v87
	v_dot4c_i32_i8 v128, v107, v87
	;; [unrolled: 1-line block ×7, first 2 shown]
	v_ashrrev_i32_e32 v94, s4, v94
	v_and_b32_e32 v93, 0x3030303, v93
	v_dot4c_i32_i8 v8, v92, v88
	v_mov_b32_e32 v127, 0
	v_mov_b32_e32 v130, 0
	v_and_b32_e32 v96, 0x3030303, v96
	v_ashrrev_i32_e32 v104, s4, v104
	v_ashrrev_i32_e32 v112, s4, v112
	;; [unrolled: 1-line block ×3, first 2 shown]
	v_and_b32_e32 v103, 0x3030303, v103
	v_lshrrev_b32_e32 v148, 4, v140
	v_and_b32_e32 v111, 0x3030303, v111
	v_lshrrev_b32_e32 v154, 4, v141
	v_lshrrev_b32_e32 v155, 4, v134
	v_ashrrev_i32_e32 v97, s4, v97
	v_ashrrev_i32_e32 v102, s4, v102
	;; [unrolled: 1-line block ×4, first 2 shown]
	v_and_b32_e32 v101, 0x3030303, v101
	v_and_b32_e32 v109, 0x3030303, v109
	;; [unrolled: 1-line block ×3, first 2 shown]
	v_dot4c_i32_i8 v125, v100, v88
	v_dot4c_i32_i8 v128, v108, v88
	v_dot4c_i32_i8 v131, v116, v88
	v_dot4c_i32_i8 v123, v146, v89
	v_dot4c_i32_i8 v126, v139, v89
	v_dot4c_i32_i8 v129, v150, v89
	v_dot4c_i32_i8 v132, v152, v89
	v_and_b32_e32 v94, 0x3030303, v94
	v_dot4c_i32_i8 v8, v93, v89
	v_mov_b32_e32 v133, 0
	v_ashrrev_i32_e32 v105, s4, v105
	v_ashrrev_i32_e32 v113, s4, v113
	;; [unrolled: 1-line block ×3, first 2 shown]
	v_and_b32_e32 v104, 0x3030303, v104
	v_and_b32_e32 v112, 0x3030303, v112
	;; [unrolled: 1-line block ×3, first 2 shown]
	v_mul_lo_u32 v156, 0x1010101, v91
	v_dot4c_i32_i8 v124, v96, v2
	v_mul_lo_u32 v96, 0x1010101, v148
	v_dot4c_i32_i8 v127, v103, v1
	;; [unrolled: 2-line block ×3, first 2 shown]
	v_mul_lo_u32 v103, 0x1010101, v155
	v_ashrrev_i32_e32 v98, s4, v98
	v_and_b32_e32 v97, 0x3030303, v97
	v_and_b32_e32 v102, 0x3030303, v102
	;; [unrolled: 1-line block ×4, first 2 shown]
	v_dot4c_i32_i8 v125, v101, v89
	v_dot4c_i32_i8 v128, v109, v89
	;; [unrolled: 1-line block ×8, first 2 shown]
	v_ashrrev_i32_e32 v106, s4, v106
	v_ashrrev_i32_e32 v114, s4, v114
	;; [unrolled: 1-line block ×3, first 2 shown]
	v_and_b32_e32 v105, 0x3030303, v105
	v_and_b32_e32 v113, 0x3030303, v113
	;; [unrolled: 1-line block ×3, first 2 shown]
	v_dot4c_i32_i8 v133, v119, v1
	v_dot4c_i32_i8 v127, v104, v2
	;; [unrolled: 1-line block ×3, first 2 shown]
	v_and_b32_e32 v98, 0x3030303, v98
	v_dot4c_i32_i8 v124, v97, v3
	v_dot4c_i32_i8 v125, v102, v90
	v_dot4c_i32_i8 v128, v110, v90
	v_dot4c_i32_i8 v131, v118, v90
	v_dot4c_i32_i8 v123, v156, v1
	v_dot4c_i32_i8 v126, v96, v1
	v_dot4c_i32_i8 v129, v99, v1
	v_dot4c_i32_i8 v132, v103, v1
	v_mul_lo_u32 v8, v147, v8
	v_ashrrev_i32_e32 v122, s4, v122
	v_and_b32_e32 v106, 0x3030303, v106
	v_and_b32_e32 v114, 0x3030303, v114
	;; [unrolled: 1-line block ×3, first 2 shown]
	v_dot4c_i32_i8 v133, v120, v2
	v_dot4c_i32_i8 v127, v105, v3
	;; [unrolled: 1-line block ×4, first 2 shown]
	v_mul_lo_u32 v87, v149, v125
	v_mul_lo_u32 v88, v151, v128
	;; [unrolled: 1-line block ×3, first 2 shown]
	v_dot4c_i32_i8 v123, v156, v2
	v_dot4c_i32_i8 v126, v96, v2
	;; [unrolled: 1-line block ×4, first 2 shown]
	v_and_b32_e32 v140, 15, v140
	v_and_b32_e32 v141, 15, v141
	;; [unrolled: 1-line block ×3, first 2 shown]
	v_dot4c_i32_i8 v133, v121, v3
	v_dot4c_i32_i8 v127, v106, v4
	v_dot4c_i32_i8 v130, v114, v4
	v_mad_u64_u32 v[90:91], null, v95, v124, v[8:9]
	v_dot4c_i32_i8 v123, v156, v3
	v_dot4c_i32_i8 v126, v96, v3
	;; [unrolled: 1-line block ×4, first 2 shown]
	v_and_b32_e32 v134, 15, v134
	v_dot4c_i32_i8 v133, v122, v4
	v_mad_u64_u32 v[91:92], null, v140, v127, v[87:88]
	v_mad_u64_u32 v[87:88], null, v141, v130, v[88:89]
	v_dot4c_i32_i8 v123, v156, v4
	v_dot4c_i32_i8 v126, v96, v4
	;; [unrolled: 1-line block ×4, first 2 shown]
	v_mad_u64_u32 v[1:2], null, v134, v133, v[89:90]
	v_cvt_f32_f16_sdwa v142, v138 dst_sel:DWORD dst_unused:UNUSED_PAD src0_sel:WORD_1
	v_cvt_f32_f16_sdwa v143, v135 dst_sel:DWORD dst_unused:UNUSED_PAD src0_sel:WORD_1
	;; [unrolled: 1-line block ×4, first 2 shown]
	v_cvt_f32_i32_e32 v4, v87
	v_cvt_f32_i32_e32 v8, v123
	;; [unrolled: 1-line block ×8, first 2 shown]
	v_mul_f32_e32 v8, v142, v8
	v_mul_f32_e32 v87, v143, v87
	;; [unrolled: 1-line block ×4, first 2 shown]
	v_add_nc_u32_e32 v6, 4, v6
	v_fma_mix_f32 v2, v138, v2, -v8 op_sel_hi:[1,0,0]
	v_fma_mix_f32 v3, v135, v3, -v87 op_sel_hi:[1,0,0]
	;; [unrolled: 1-line block ×4, first 2 shown]
	v_add_nc_u32_e32 v5, 32, v5
	v_fmac_f32_e32 v29, v7, v2
	v_fmac_f32_e32 v62, v7, v3
	v_fmac_f32_e32 v58, v7, v4
	v_fmac_f32_e32 v25, v7, v1
	s_add_i32 s4, s1, 2
	s_cmp_lt_u32 s1, 30
	s_mov_b32 s1, s4
	s_cbranch_scc1 .LBB188_35
; %bb.36:                               ;   in Loop: Header=BB188_5 Depth=1
	s_barrier
	buffer_gl0_inv
	s_branch .LBB188_4
.LBB188_37:
	s_mul_i32 s0, s14, s11
	s_waitcnt vmcnt(0)
	v_cmp_gt_i32_e32 vcc_lo, s0, v28
	s_and_saveexec_b32 s0, vcc_lo
	s_cbranch_execz .LBB188_46
; %bb.38:
	v_add_nc_u32_e32 v1, s6, v0
	v_mul_lo_u32 v0, v28, s13
	s_mov_b32 s0, exec_lo
	v_cmpx_gt_u32_e64 s13, v1
	s_cbranch_execz .LBB188_40
; %bb.39:
	v_add_nc_u32_e32 v2, v0, v1
	v_mov_b32_e32 v3, 0
	v_lshlrev_b64 v[2:3], 2, v[2:3]
	v_add_co_u32 v2, vcc_lo, s16, v2
	v_add_co_ci_u32_e64 v3, null, s17, v3, vcc_lo
	global_store_dword v[2:3], v29, off
.LBB188_40:
	s_or_b32 exec_lo, exec_lo, s0
	v_add_nc_u32_e32 v2, 32, v1
	s_mov_b32 s0, exec_lo
	v_cmpx_gt_u32_e64 s13, v2
	s_cbranch_execz .LBB188_42
; %bb.41:
	v_add_nc_u32_e32 v2, v0, v2
	v_mov_b32_e32 v3, 0
	v_lshlrev_b64 v[2:3], 2, v[2:3]
	v_add_co_u32 v2, vcc_lo, s16, v2
	v_add_co_ci_u32_e64 v3, null, s17, v3, vcc_lo
	global_store_dword v[2:3], v62, off
.LBB188_42:
	s_or_b32 exec_lo, exec_lo, s0
	v_add_nc_u32_e32 v2, 64, v1
	;; [unrolled: 13-line block ×3, first 2 shown]
	v_cmp_gt_u32_e32 vcc_lo, s13, v1
	s_and_b32 exec_lo, exec_lo, vcc_lo
	s_cbranch_execz .LBB188_46
; %bb.45:
	v_add_nc_u32_e32 v0, v0, v1
	v_mov_b32_e32 v1, 0
	v_lshlrev_b64 v[0:1], 2, v[0:1]
	v_add_co_u32 v0, vcc_lo, s16, v0
	v_add_co_ci_u32_e64 v1, null, s17, v1, vcc_lo
	global_store_dword v[0:1], v25, off
.LBB188_46:
	s_endpgm
	.section	.rodata,"a",@progbits
	.p2align	6, 0x0
	.amdhsa_kernel _ZL8moe_q2_KIfLb1EEvPKvS1_PT_PKiS5_S5_iiiiiii
		.amdhsa_group_segment_fixed_size 23328
		.amdhsa_private_segment_fixed_size 0
		.amdhsa_kernarg_size 76
		.amdhsa_user_sgpr_count 6
		.amdhsa_user_sgpr_private_segment_buffer 1
		.amdhsa_user_sgpr_dispatch_ptr 0
		.amdhsa_user_sgpr_queue_ptr 0
		.amdhsa_user_sgpr_kernarg_segment_ptr 1
		.amdhsa_user_sgpr_dispatch_id 0
		.amdhsa_user_sgpr_flat_scratch_init 0
		.amdhsa_user_sgpr_private_segment_size 0
		.amdhsa_wavefront_size32 1
		.amdhsa_uses_dynamic_stack 0
		.amdhsa_system_sgpr_private_segment_wavefront_offset 0
		.amdhsa_system_sgpr_workgroup_id_x 1
		.amdhsa_system_sgpr_workgroup_id_y 1
		.amdhsa_system_sgpr_workgroup_id_z 0
		.amdhsa_system_sgpr_workgroup_info 0
		.amdhsa_system_vgpr_workitem_id 1
		.amdhsa_next_free_vgpr 159
		.amdhsa_next_free_sgpr 23
		.amdhsa_reserve_vcc 1
		.amdhsa_reserve_flat_scratch 0
		.amdhsa_float_round_mode_32 0
		.amdhsa_float_round_mode_16_64 0
		.amdhsa_float_denorm_mode_32 3
		.amdhsa_float_denorm_mode_16_64 3
		.amdhsa_dx10_clamp 1
		.amdhsa_ieee_mode 1
		.amdhsa_fp16_overflow 0
		.amdhsa_workgroup_processor_mode 1
		.amdhsa_memory_ordered 1
		.amdhsa_forward_progress 1
		.amdhsa_shared_vgpr_count 0
		.amdhsa_exception_fp_ieee_invalid_op 0
		.amdhsa_exception_fp_denorm_src 0
		.amdhsa_exception_fp_ieee_div_zero 0
		.amdhsa_exception_fp_ieee_overflow 0
		.amdhsa_exception_fp_ieee_underflow 0
		.amdhsa_exception_fp_ieee_inexact 0
		.amdhsa_exception_int_div_zero 0
	.end_amdhsa_kernel
	.section	.text._ZL8moe_q2_KIfLb1EEvPKvS1_PT_PKiS5_S5_iiiiiii,"axG",@progbits,_ZL8moe_q2_KIfLb1EEvPKvS1_PT_PKiS5_S5_iiiiiii,comdat
.Lfunc_end188:
	.size	_ZL8moe_q2_KIfLb1EEvPKvS1_PT_PKiS5_S5_iiiiiii, .Lfunc_end188-_ZL8moe_q2_KIfLb1EEvPKvS1_PT_PKiS5_S5_iiiiiii
                                        ; -- End function
	.set _ZL8moe_q2_KIfLb1EEvPKvS1_PT_PKiS5_S5_iiiiiii.num_vgpr, 159
	.set _ZL8moe_q2_KIfLb1EEvPKvS1_PT_PKiS5_S5_iiiiiii.num_agpr, 0
	.set _ZL8moe_q2_KIfLb1EEvPKvS1_PT_PKiS5_S5_iiiiiii.numbered_sgpr, 23
	.set _ZL8moe_q2_KIfLb1EEvPKvS1_PT_PKiS5_S5_iiiiiii.num_named_barrier, 0
	.set _ZL8moe_q2_KIfLb1EEvPKvS1_PT_PKiS5_S5_iiiiiii.private_seg_size, 0
	.set _ZL8moe_q2_KIfLb1EEvPKvS1_PT_PKiS5_S5_iiiiiii.uses_vcc, 1
	.set _ZL8moe_q2_KIfLb1EEvPKvS1_PT_PKiS5_S5_iiiiiii.uses_flat_scratch, 0
	.set _ZL8moe_q2_KIfLb1EEvPKvS1_PT_PKiS5_S5_iiiiiii.has_dyn_sized_stack, 0
	.set _ZL8moe_q2_KIfLb1EEvPKvS1_PT_PKiS5_S5_iiiiiii.has_recursion, 0
	.set _ZL8moe_q2_KIfLb1EEvPKvS1_PT_PKiS5_S5_iiiiiii.has_indirect_call, 0
	.section	.AMDGPU.csdata,"",@progbits
; Kernel info:
; codeLenInByte = 9820
; TotalNumSgprs: 25
; NumVgprs: 159
; ScratchSize: 0
; MemoryBound: 0
; FloatMode: 240
; IeeeMode: 1
; LDSByteSize: 23328 bytes/workgroup (compile time only)
; SGPRBlocks: 0
; VGPRBlocks: 19
; NumSGPRsForWavesPerEU: 25
; NumVGPRsForWavesPerEU: 159
; Occupancy: 6
; WaveLimiterHint : 1
; COMPUTE_PGM_RSRC2:SCRATCH_EN: 0
; COMPUTE_PGM_RSRC2:USER_SGPR: 6
; COMPUTE_PGM_RSRC2:TRAP_HANDLER: 0
; COMPUTE_PGM_RSRC2:TGID_X_EN: 1
; COMPUTE_PGM_RSRC2:TGID_Y_EN: 1
; COMPUTE_PGM_RSRC2:TGID_Z_EN: 0
; COMPUTE_PGM_RSRC2:TIDIG_COMP_CNT: 1
	.section	.text._ZL8moe_q3_KIfLb0EEvPKvS1_PT_PKiS5_S5_iiiiiii,"axG",@progbits,_ZL8moe_q3_KIfLb0EEvPKvS1_PT_PKiS5_S5_iiiiiii,comdat
	.globl	_ZL8moe_q3_KIfLb0EEvPKvS1_PT_PKiS5_S5_iiiiiii ; -- Begin function _ZL8moe_q3_KIfLb0EEvPKvS1_PT_PKiS5_S5_iiiiiii
	.p2align	8
	.type	_ZL8moe_q3_KIfLb0EEvPKvS1_PT_PKiS5_S5_iiiiiii,@function
_ZL8moe_q3_KIfLb0EEvPKvS1_PT_PKiS5_S5_iiiiiii: ; @_ZL8moe_q3_KIfLb0EEvPKvS1_PT_PKiS5_S5_iiiiiii
; %bb.0:
	s_load_dwordx4 s[0:3], s[4:5], 0x18
	s_mov_b32 s8, s7
	s_mov_b32 s9, 0
	s_lshl_b64 s[10:11], s[8:9], 2
	s_waitcnt lgkmcnt(0)
	s_add_u32 s2, s2, s10
	s_addc_u32 s3, s3, s11
	s_load_dword s7, s[2:3], 0x0
	s_waitcnt lgkmcnt(0)
	s_cmpk_gt_u32 s7, 0xff
	s_cbranch_scc1 .LBB189_46
; %bb.1:
	s_load_dwordx2 s[2:3], s[4:5], 0x28
	s_waitcnt lgkmcnt(0)
	s_load_dword s3, s[2:3], 0x0
	s_lshl_b32 s2, s8, 3
	s_waitcnt lgkmcnt(0)
	s_cmp_gt_u32 s2, s3
	s_cbranch_scc1 .LBB189_46
; %bb.2:
	v_add_nc_u32_e32 v2, s2, v1
	v_mov_b32_e32 v3, 0
	s_lshl_b32 s6, s6, 7
	v_lshlrev_b64 v[4:5], 2, v[2:3]
	v_mov_b32_e32 v84, v3
	v_mov_b32_e32 v88, v3
	;; [unrolled: 1-line block ×3, first 2 shown]
	v_add_co_u32 v4, vcc_lo, s0, v4
	v_add_co_ci_u32_e64 v5, null, s1, v5, vcc_lo
	global_load_dword v22, v[4:5], off
	s_clause 0x2
	s_load_dwordx2 s[14:15], s[4:5], 0x30
	s_load_dwordx2 s[12:13], s[4:5], 0x10
	s_load_dwordx4 s[8:11], s[4:5], 0x3c
	s_waitcnt lgkmcnt(0)
	s_cmpk_lt_i32 s15, 0x100
	s_cbranch_scc1 .LBB189_37
; %bb.3:
	s_load_dwordx4 s[0:3], s[4:5], 0x0
	s_ashr_i32 s4, s15, 31
	s_ashr_i32 s5, s9, 31
	s_lshr_b32 s4, s4, 24
	s_lshr_b32 s5, s5, 27
	s_add_i32 s4, s15, s4
	s_mul_i32 s14, s7, s14
	s_ashr_i32 s7, s4, 8
	s_add_i32 s4, s9, s5
	s_mul_i32 s5, s7, s6
	s_ashr_i32 s16, s14, 31
	s_ashr_i32 s9, s4, 5
	s_mul_hi_i32 s4, s5, 0x6e
	s_mulk_i32 s5, 0x6e
	v_lshrrev_b32_e32 v24, 4, v0
	v_and_b32_e32 v2, 15, v0
	v_lshlrev_b32_e32 v4, 4, v1
	v_lshrrev_b32_e32 v5, 1, v0
	v_lshlrev_b32_e32 v6, 1, v1
	v_and_b32_e32 v25, 1, v0
	s_waitcnt lgkmcnt(0)
	s_add_u32 s0, s0, s14
	s_addc_u32 s1, s1, s16
	s_add_u32 s14, s0, s5
	s_addc_u32 s16, s1, s4
	s_lshl_b32 s0, s7, 3
	v_lshlrev_b32_e32 v28, 2, v2
	v_mad_i32_i24 v26, s7, v1, s0
	v_add_nc_u32_e32 v9, v5, v4
	v_add_nc_u32_e32 v11, v24, v6
	v_cmp_lt_u32_e32 vcc_lo, 7, v2
	v_add_nc_u16 v2, v24, v6
	v_add_nc_u32_e32 v27, s0, v26
	v_mov_b32_e32 v8, 2
	v_lshlrev_b32_e32 v10, 2, v25
	v_and_b32_e32 v6, 0x7f, v9
	v_lshrrev_b32_e32 v9, 2, v9
	v_add_nc_u32_e32 v30, s0, v27
	v_lshrrev_b16 v2, 1, v2
	v_add_nc_u32_e32 v13, 16, v11
	v_add_nc_u32_e32 v14, 32, v11
	;; [unrolled: 1-line block ×4, first 2 shown]
	v_mul_i32_i24_e32 v57, s7, v6
	v_lshl_or_b32 v6, v6, 3, v10
	v_and_b32_e32 v9, 28, v9
	v_lshlrev_b32_sdwa v2, v8, v2 dst_sel:DWORD dst_unused:UNUSED_PAD src0_sel:DWORD src1_sel:WORD_0
	v_add_nc_u32_e32 v37, s0, v33
	v_lshlrev_b32_e32 v10, 1, v13
	v_add_nc_u32_e32 v16, 64, v11
	v_lshlrev_b32_e32 v17, 1, v14
	v_lshlrev_b32_e32 v18, 1, v15
	v_add_nc_u32_e32 v42, s0, v37
	v_add3_u32 v60, v6, v9, 0x7380
	v_add3_u32 v6, v2, v28, 0x4200
	v_and_b32_e32 v2, 0xffc, v10
	v_and_b32_e32 v9, 0xffc, v17
	v_add_nc_u32_e32 v47, s0, v42
	v_and_b32_e32 v10, 0xffc, v18
	v_add_nc_u32_e32 v18, 0x50, v11
	v_add3_u32 v17, v2, v28, 0x4200
	v_lshlrev_b32_e32 v2, 1, v16
	v_add_nc_u32_e32 v52, s0, v47
	s_abs_i32 s4, s11
	v_lshlrev_b32_e32 v19, 1, v18
	s_lshl_b32 s1, s7, 4
	v_and_b32_e32 v2, 0xffc, v2
	v_add_nc_u32_e32 v55, s0, v52
	v_mul_i32_i24_e32 v54, s7, v11
	v_lshlrev_b32_e32 v12, 6, v11
	v_mad_i32_i24 v62, s7, v11, s1
	v_add3_u32 v21, v2, v28, 0x4200
	v_and_b32_e32 v2, 0xffc, v19
	v_add_nc_u32_e32 v56, s0, v55
	v_add_nc_u32_e32 v20, 0x60, v11
	;; [unrolled: 1-line block ×3, first 2 shown]
	v_and_b32_e32 v7, 7, v0
	v_add3_u32 v84, v2, v28, 0x4200
	v_cvt_f32_u32_e32 v2, s4
	v_add_nc_u32_e32 v58, s0, v56
	v_lshlrev_b32_e32 v70, 1, v11
	v_cndmask_b32_e64 v31, 0, 1, vcc_lo
	v_and_b32_e32 v75, 3, v0
	v_rcp_iflag_f32_e32 v2, v2
	v_add_nc_u32_e32 v59, s0, v58
	v_and_b32_e32 v72, 0xffc, v70
	v_cmp_lt_u32_e32 vcc_lo, 3, v7
	v_lshrrev_b32_e32 v70, 3, v0
	v_add_nc_u16 v73, v75, -2
	v_add_nc_u32_e32 v61, s0, v59
	v_add3_u32 v88, v72, v28, 0x4200
	v_cndmask_b32_e64 v72, 0, 1, vcc_lo
	v_cmp_gt_u32_e32 vcc_lo, 2, v75
	v_mul_f32_e32 v2, 0x4f7ffffe, v2
	v_add_nc_u32_e32 v63, s0, v61
	v_lshlrev_b32_e32 v32, 2, v7
	v_lshl_add_u32 v78, v1, 2, v70
	v_cndmask_b32_e32 v7, v73, v75, vcc_lo
	v_cvt_u32_f32_e32 v2, v2
	v_add_nc_u32_e32 v65, s0, v63
	s_sub_i32 s0, 0, s4
	s_waitcnt vmcnt(0)
	v_sub_nc_u32_e32 v81, 0, v22
	v_lshlrev_b32_sdwa v74, v8, v7 dst_sel:DWORD dst_unused:UNUSED_PAD src0_sel:DWORD src1_sel:BYTE_0
	v_mul_lo_u32 v79, s0, v2
	v_add_nc_u32_e32 v7, 32, v78
	v_add_nc_u32_e32 v83, 0x60, v78
	v_max_i32_e32 v85, v22, v81
	v_lshlrev_b32_e32 v3, 2, v0
	v_and_b32_e32 v77, 0x7fc, v78
	v_and_b32_e32 v80, 0xffc, v7
	v_mul_i32_i24_e32 v34, s7, v1
	v_mul_hi_u32 v79, v2, v79
	v_mad_u32_u24 v29, 0x84, v1, v3
	s_lshl_b32 s0, s7, 5
	v_add3_u32 v109, v80, v32, 0x6300
	v_and_b32_e32 v80, 0xffc, v83
	v_add3_u32 v8, v77, v32, 0x6300
	v_mad_i32_i24 v77, s7, v78, s0
	v_add_nc_u32_e32 v82, 64, v78
	v_add_nc_u32_e32 v2, v2, v79
	v_add3_u32 v112, v80, v32, 0x6300
	v_lshl_add_u32 v80, v1, 7, 0x77a0
	v_mul_i32_i24_e32 v76, s7, v78
	v_lshlrev_b32_e32 v108, 5, v78
	v_mul_hi_u32 v2, v85, v2
	v_and_b32_e32 v79, 0xffc, v82
	v_add_nc_u32_e32 v78, s0, v77
	v_add_nc_u32_e32 v64, s1, v62
	v_lshlrev_b32_e32 v19, 1, v20
	v_add_nc_u32_e32 v91, 32, v0
	v_add3_u32 v110, v79, v32, 0x6300
	v_add_nc_u32_e32 v79, s0, v78
	v_mul_lo_u32 v1, v2, s4
	v_add_nc_u32_e32 v66, s1, v64
	v_add_nc_u32_e32 v92, 64, v0
	;; [unrolled: 1-line block ×3, first 2 shown]
	v_and_b32_e32 v19, 0xffc, v19
	v_add_nc_u32_e32 v81, 0x7ba0, v4
	v_add_nc_u32_e32 v67, s1, v66
	v_lshlrev_b32_e32 v94, 5, v0
	v_sub_nc_u32_e32 v1, v85, v1
	v_add_nc_u32_e32 v85, 1, v2
	v_lshlrev_b32_e32 v120, 4, v92
	v_add_nc_u32_e32 v68, s1, v67
	v_lshrrev_b32_e32 v119, 1, v92
	v_subrev_nc_u32_e32 v86, s4, v1
	v_cmp_le_u32_e64 s0, s4, v1
	v_lshlrev_b32_e32 v122, 1, v92
	v_lshrrev_b32_e32 v121, 4, v92
	v_lshlrev_b32_e32 v124, 4, v93
	v_lshrrev_b32_e32 v123, 1, v93
	v_cndmask_b32_e64 v2, v2, v85, s0
	v_cndmask_b32_e64 v1, v1, v86, s0
	v_xor_b32_e32 v85, s11, v22
	v_lshlrev_b32_e32 v127, 1, v93
	v_lshrrev_b32_e32 v126, 4, v93
	v_add_nc_u32_e32 v86, 1, v2
	v_cmp_le_u32_e64 s0, s4, v1
	v_ashrrev_i32_e32 v85, 31, v85
	v_lshrrev_b32_e32 v87, 3, v93
	v_and_b32_e32 v93, 0x1fc, v93
	v_and_b32_e32 v95, 0x1fc, v91
	v_cndmask_b32_e64 v1, v2, v86, s0
	v_lshrrev_b32_e32 v86, 3, v92
	v_and_b32_e32 v92, 0x1fc, v92
	v_and_b32_e32 v96, 0xfc, v0
	v_add_nc_u32_e32 v69, s1, v68
	v_xor_b32_e32 v1, v1, v85
	v_and_b32_e32 v90, 28, v3
	v_lshlrev_b32_e32 v13, 6, v13
	v_add3_u32 v9, v9, v28, 0x4200
	v_lshlrev_b32_e32 v14, 6, v14
	v_sub_nc_u32_e32 v1, v1, v85
	v_add3_u32 v10, v10, v28, 0x4200
	v_lshlrev_b32_e32 v15, 6, v15
	v_lshlrev_b32_e32 v16, 6, v16
	;; [unrolled: 1-line block ×3, first 2 shown]
	v_mul_lo_u32 v89, v1, s9
	v_add3_u32 v19, v19, v28, 0x4200
	v_lshlrev_b32_e32 v20, 6, v20
	v_lshlrev_b32_e32 v11, 6, v11
	v_lshlrev_b32_e32 v114, 1, v0
	v_lshlrev_b32_e32 v7, 5, v7
	v_lshlrev_b32_e32 v111, 5, v82
	v_and_b32_e32 v82, 31, v0
	v_lshlrev_b32_e32 v4, 5, v83
	v_add_nc_u32_e32 v83, v81, v3
	v_mul_u32_u24_e32 v3, 33, v0
	v_lshlrev_b32_e32 v113, 4, v0
	v_lshlrev_b32_e32 v116, 4, v91
	v_lshrrev_b32_e32 v115, 1, v91
	v_lshlrev_b32_e32 v118, 1, v91
	v_lshrrev_b32_e32 v117, 4, v91
	v_lshrrev_b32_e32 v85, 3, v91
	v_add_nc_u32_e32 v91, v94, v93
	v_add_nc_u32_e32 v92, v94, v92
	;; [unrolled: 1-line block ×5, first 2 shown]
	v_cmp_gt_u32_e32 vcc_lo, 4, v0
	v_cmp_gt_i32_e64 s0, s8, v1
	v_add_co_u32 v1, s1, s2, v90
	v_mov_b32_e32 v23, 0
	v_add_nc_u32_e32 v35, 0x420, v29
	v_add_nc_u32_e32 v36, 0x840, v29
	;; [unrolled: 1-line block ×15, first 2 shown]
	v_and_b32_e32 v73, 4, v114
	v_lshlrev_b32_e32 v75, 1, v75
	v_lshl_add_u32 v82, v82, 2, v80
	v_add_co_ci_u32_e64 v2, null, s3, 0, s1
	v_lshlrev_b32_e32 v90, 2, v3
	v_ashrrev_i32_e32 v95, 31, v89
	v_add_nc_u32_e32 v96, 0x6f00, v91
	v_add_nc_u32_e32 v97, 0x6b00, v92
	;; [unrolled: 1-line block ×16, first 2 shown]
	v_lshlrev_b32_e32 v112, 2, v5
	v_lshlrev_b32_e32 v113, 2, v113
	;; [unrolled: 1-line block ×16, first 2 shown]
	v_mov_b32_e32 v88, 0
	v_mov_b32_e32 v84, 0
	;; [unrolled: 1-line block ×3, first 2 shown]
	s_mov_b32 s17, 0
	s_and_b32 s18, vcc_lo, s0
	s_branch .LBB189_5
.LBB189_4:                              ;   in Loop: Header=BB189_5 Depth=1
	s_add_i32 s17, s17, 2
	s_cmp_ge_i32 s17, s7
	s_cbranch_scc1 .LBB189_37
.LBB189_5:                              ; =>This Loop Header: Depth=1
                                        ;     Child Loop BB189_11 Depth 2
                                        ;     Child Loop BB189_19 Depth 2
	;; [unrolled: 1-line block ×4, first 2 shown]
	s_mul_i32 s1, s17, 0x6e
	s_mul_hi_u32 s5, s17, 0x6e
	s_add_u32 s4, s14, s1
	s_addc_u32 s5, s16, s5
	v_mad_u64_u32 v[4:5], null, 0x6e, v24, s[4:5]
	v_mad_u64_u32 v[6:7], null, 0x6e, v34, v[4:5]
	v_mad_u64_u32 v[8:9], null, 0x6e, v26, v[4:5]
	v_mad_u64_u32 v[10:11], null, 0x6e, v27, v[4:5]
	v_mad_u64_u32 v[12:13], null, 0x6e, v30, v[4:5]
	v_add_co_u32 v6, s1, v6, v28
	v_mad_u64_u32 v[14:15], null, 0x6e, v33, v[4:5]
	v_add_co_ci_u32_e64 v7, null, 0, v7, s1
	v_add_co_u32 v8, s1, v8, v28
	v_mad_u64_u32 v[16:17], null, 0x6e, v37, v[4:5]
	v_add_co_ci_u32_e64 v9, null, 0, v9, s1
	;; [unrolled: 3-line block ×4, first 2 shown]
	v_add_co_u32 v14, s1, v14, v28
	v_add_co_ci_u32_e64 v15, null, 0, v15, s1
	v_add_co_u32 v16, s1, v16, v28
	v_add_co_ci_u32_e64 v17, null, 0, v17, s1
	;; [unrolled: 2-line block ×3, first 2 shown]
	v_add_co_u32 v20, s1, v20, v28
	v_mad_u64_u32 v[128:129], null, 0x6e, v52, v[4:5]
	v_add_co_ci_u32_e64 v21, null, 0, v21, s1
	s_clause 0x7
	global_load_dword v132, v[6:7], off offset:32
	global_load_dword v133, v[8:9], off offset:32
	;; [unrolled: 1-line block ×8, first 2 shown]
	v_mad_u64_u32 v[6:7], null, 0x6e, v55, v[4:5]
	v_mad_u64_u32 v[10:11], null, 0x6e, v56, v[4:5]
	;; [unrolled: 1-line block ×3, first 2 shown]
	v_add_co_u32 v8, s1, v128, v28
	v_mad_u64_u32 v[14:15], null, 0x6e, v59, v[4:5]
	v_add_co_ci_u32_e64 v9, null, 0, v129, s1
	v_add_co_u32 v6, s1, v6, v28
	v_mad_u64_u32 v[16:17], null, 0x6e, v61, v[4:5]
	v_add_co_ci_u32_e64 v7, null, 0, v7, s1
	;; [unrolled: 3-line block ×5, first 2 shown]
	v_add_co_u32 v16, s1, v16, v28
	v_add_co_ci_u32_e64 v17, null, 0, v17, s1
	v_add_co_u32 v18, s1, v18, v28
	v_add_co_ci_u32_e64 v19, null, 0, v19, s1
	v_add_co_u32 v4, s1, v4, v28
	v_mad_u64_u32 v[128:129], null, 0x6e, v57, s[4:5]
	v_add_co_ci_u32_e64 v5, null, 0, v5, s1
	v_add_co_u32 v20, s1, v20, v32
	v_add_co_ci_u32_e64 v21, null, 0, v21, s1
	s_clause 0x7
	global_load_dword v140, v[8:9], off offset:32
	global_load_dword v141, v[6:7], off offset:32
	global_load_dword v142, v[10:11], off offset:32
	global_load_dword v143, v[12:13], off offset:32
	global_load_dword v144, v[14:15], off offset:32
	global_load_dword v145, v[16:17], off offset:32
	global_load_dword v146, v[18:19], off offset:32
	global_load_dword v147, v[4:5], off offset:32
	v_mad_u64_u32 v[14:15], null, 0x6e, v72, s[4:5]
	v_mad_u64_u32 v[4:5], null, 0x6e, v25, v[128:129]
	;; [unrolled: 1-line block ×10, first 2 shown]
	s_clause 0x7
	global_load_ushort v148, v[4:5], off offset:108
	global_load_dword v149, v[6:7], off
	global_load_dword v150, v[8:9], off
	;; [unrolled: 1-line block ×7, first 2 shown]
	v_mad_u64_u32 v[6:7], null, 0x6e, v77, v[14:15]
	v_mad_u64_u32 v[10:11], null, 0x6e, v78, v[14:15]
	;; [unrolled: 1-line block ×4, first 2 shown]
	v_add_co_u32 v8, s1, v130, v74
	v_add_co_ci_u32_e64 v9, null, 0, v131, s1
	v_add_co_u32 v14, s1, v6, v74
	v_add_co_ci_u32_e64 v15, null, 0, v7, s1
	;; [unrolled: 2-line block ×4, first 2 shown]
	s_clause 0x8
	global_load_dword v4, v[4:5], off
	global_load_dword v5, v[8:9], off offset:96
	global_load_dword v8, v[12:13], off offset:104
	;; [unrolled: 1-line block ×8, first 2 shown]
	s_lshl_b32 s4, s17, 8
	s_cmp_lt_i32 s4, s15
	s_waitcnt vmcnt(16)
	v_cvt_f32_f16_e32 v13, v148
	ds_write_b32 v29, v132
	ds_write_b32 v35, v133
	;; [unrolled: 1-line block ×17, first 2 shown]
	s_waitcnt vmcnt(15)
	v_not_b32_e32 v13, v149
	s_waitcnt vmcnt(14)
	v_not_b32_e32 v14, v150
	;; [unrolled: 2-line block ×6, first 2 shown]
	ds_write_b32 v100, v13
	ds_write_b32 v101, v14
	;; [unrolled: 1-line block ×5, first 2 shown]
	s_waitcnt vmcnt(9)
	v_not_b32_e32 v19, v128
	ds_write_b32 v105, v18
	ds_write_b32 v106, v19
	s_waitcnt vmcnt(8)
	v_not_b32_e32 v4, v4
	s_waitcnt vmcnt(7)
	v_ashrrev_i32_e32 v5, v73, v5
	s_waitcnt vmcnt(6)
	v_ashrrev_i32_e32 v8, v75, v8
	;; [unrolled: 2-line block ×8, first 2 shown]
	v_and_b32_e32 v5, 0xf0f0f0f, v5
	v_lshlrev_b32_e32 v7, 4, v7
	v_and_b32_e32 v10, 0xf0f0f0f, v10
	v_lshlrev_b32_e32 v6, 4, v6
	;; [unrolled: 2-line block ×4, first 2 shown]
	v_and_or_b32 v5, 0x30303030, v7, v5
	v_and_or_b32 v6, 0x30303030, v6, v10
	;; [unrolled: 1-line block ×4, first 2 shown]
	v_lshrrev_b32_e32 v9, 16, v5
	v_and_b32_e32 v10, 0x3f00, v5
	v_lshlrev_b16 v5, 8, v5
	v_lshrrev_b32_e32 v11, 16, v6
	v_lshrrev_b32_e32 v13, 16, v7
	v_and_b32_e32 v12, 0x3f00, v6
	v_lshlrev_b16 v6, 8, v6
	v_lshrrev_b32_e32 v15, 16, v8
	v_and_b32_e32 v17, 0x3f00, v9
	v_lshlrev_b16 v9, 8, v9
	v_add_nc_u16 v5, 0xe000, v5
	v_and_b32_e32 v18, 0x3f00, v11
	v_lshlrev_b16 v11, 8, v11
	v_and_b32_e32 v20, 0x3f00, v13
	v_lshlrev_b16 v13, 8, v13
	v_add_nc_u16 v6, 0xe000, v6
	v_and_b32_e32 v21, 0x3f00, v15
	v_lshlrev_b16 v15, 8, v15
	v_add_nc_u16 v9, 0xe000, v9
	v_or_b32_sdwa v5, v10, v5 dst_sel:DWORD dst_unused:UNUSED_PAD src0_sel:DWORD src1_sel:BYTE_1
	v_add_nc_u16 v10, 0xe000, v11
	v_and_b32_e32 v14, 0x3f00, v7
	v_lshlrev_b16 v7, 8, v7
	v_add_nc_u16 v11, 0xe000, v13
	v_and_b32_e32 v16, 0x3f00, v8
	v_lshlrev_b16 v8, 8, v8
	v_or_b32_sdwa v6, v12, v6 dst_sel:DWORD dst_unused:UNUSED_PAD src0_sel:DWORD src1_sel:BYTE_1
	v_add_nc_u16 v12, 0xe000, v15
	v_or_b32_sdwa v9, v17, v9 dst_sel:DWORD dst_unused:UNUSED_PAD src0_sel:DWORD src1_sel:BYTE_1
	v_or_b32_sdwa v10, v18, v10 dst_sel:DWORD dst_unused:UNUSED_PAD src0_sel:DWORD src1_sel:BYTE_1
	v_add_nc_u16 v7, 0xe000, v7
	v_or_b32_sdwa v11, v20, v11 dst_sel:DWORD dst_unused:UNUSED_PAD src0_sel:DWORD src1_sel:BYTE_1
	v_add_nc_u16 v8, 0xe000, v8
	;; [unrolled: 2-line block ×3, first 2 shown]
	v_add_nc_u16 v10, 0xe000, v10
	v_or_b32_sdwa v7, v14, v7 dst_sel:DWORD dst_unused:UNUSED_PAD src0_sel:DWORD src1_sel:BYTE_1
	v_add_nc_u16 v11, 0xe000, v11
	v_or_b32_sdwa v8, v16, v8 dst_sel:DWORD dst_unused:UNUSED_PAD src0_sel:DWORD src1_sel:BYTE_1
	v_add_nc_u16 v12, 0xe000, v12
	v_add_nc_u16 v5, 0xe000, v5
	v_lshlrev_b32_e32 v9, 16, v9
	v_add_nc_u16 v6, 0xe000, v6
	v_lshlrev_b32_e32 v10, 16, v10
	;; [unrolled: 2-line block ×4, first 2 shown]
	v_or_b32_sdwa v5, v5, v9 dst_sel:DWORD dst_unused:UNUSED_PAD src0_sel:WORD_0 src1_sel:DWORD
	v_or_b32_sdwa v6, v6, v10 dst_sel:DWORD dst_unused:UNUSED_PAD src0_sel:WORD_0 src1_sel:DWORD
	;; [unrolled: 1-line block ×4, first 2 shown]
	ds_write_b32 v107, v4
	ds_write_b32 v108, v5
	;; [unrolled: 1-line block ×5, first 2 shown]
	s_cbranch_scc0 .LBB189_4
; %bb.6:                                ;   in Loop: Header=BB189_5 Depth=1
	s_lshl_b32 s5, s17, 3
	v_add_nc_u32_e32 v4, s5, v70
	v_cmp_gt_i32_e64 s1, s9, v4
	s_and_b32 s19, s0, s1
	s_and_saveexec_b32 s1, s19
	s_cbranch_execz .LBB189_8
; %bb.7:                                ;   in Loop: Header=BB189_5 Depth=1
	v_add_nc_u32_e32 v4, v89, v4
	v_mad_i64_i32 v[4:5], null, v4, 36, v[1:2]
	global_load_dword v4, v[4:5], off offset:4
	s_waitcnt vmcnt(0)
	ds_write_b32 v82, v4
.LBB189_8:                              ;   in Loop: Header=BB189_5 Depth=1
	s_or_b32 exec_lo, exec_lo, s1
	v_add_nc_u32_e32 v128, s5, v0
	v_cmp_gt_i32_e64 s1, s9, v128
	s_and_b32 s19, s18, s1
	s_and_saveexec_b32 s1, s19
	s_cbranch_execz .LBB189_10
; %bb.9:                                ;   in Loop: Header=BB189_5 Depth=1
	v_add_nc_u32_e32 v4, v89, v128
	v_mad_i64_i32 v[4:5], null, v4, 36, s[2:3]
	global_load_dword v4, v[4:5], off
	s_waitcnt vmcnt(0)
	v_cvt_f32_f16_e32 v4, v4
	ds_write_b32 v83, v4
.LBB189_10:                             ;   in Loop: Header=BB189_5 Depth=1
	s_or_b32 exec_lo, exec_lo, s1
	v_mov_b32_e32 v8, v81
	v_mov_b32_e32 v9, v80
	s_mov_b32 s21, -2
	s_mov_b32 s1, 0
	s_mov_b32 s19, 0
	s_waitcnt lgkmcnt(0)
	s_barrier
	buffer_gl0_inv
.LBB189_11:                             ;   Parent Loop BB189_5 Depth=1
                                        ; =>  This Inner Loop Header: Depth=2
	s_add_i32 s20, s21, 2
	s_and_b32 s24, s19, -16
	s_and_b32 s23, s20, 0x3ffffff8
	s_lshr_b32 s22, s20, 4
	v_lshl_add_u32 v10, s23, 2, v90
	s_lshl_b32 s23, s22, 5
	s_lshl_b32 s22, s22, 2
	s_addk_i32 s23, 0x4200
	s_addk_i32 s22, 0x7380
	v_add3_u32 v4, s23, v112, v113
	v_add3_u32 v11, s23, v115, v116
	v_add3_u32 v145, s23, v123, v124
	ds_read2_b32 v[12:13], v10 offset1:1
	ds_read2_b32 v[14:15], v10 offset0:2 offset1:3
	ds_read2_b32 v[16:17], v10 offset0:4 offset1:5
	;; [unrolled: 1-line block ×3, first 2 shown]
	ds_read2_b32 v[146:147], v4 offset1:1
	ds_read2_b32 v[148:149], v4 offset0:2 offset1:3
	ds_read2_b32 v[150:151], v4 offset0:4 offset1:5
	;; [unrolled: 1-line block ×9, first 2 shown]
	s_add_i32 s21, s21, s24
	s_add_i32 s19, s19, 2
	s_waitcnt lgkmcnt(13)
	v_ashrrev_i32_e32 v142, s20, v12
	v_ashrrev_i32_e32 v140, s20, v13
	s_waitcnt lgkmcnt(12)
	v_ashrrev_i32_e32 v138, s20, v14
	v_ashrrev_i32_e32 v136, s20, v15
	s_waitcnt lgkmcnt(9)
	v_ashrrev_i32_e32 v144, s1, v146
	v_and_b32_e32 v183, 0x3030303, v142
	v_ashrrev_i32_e32 v143, s1, v147
	v_bfe_u32 v142, v142, 24, 2
	s_waitcnt lgkmcnt(8)
	v_ashrrev_i32_e32 v141, s1, v148
	v_lshlrev_b32_e32 v144, 2, v144
	v_lshrrev_b16 v184, 8, v183
	v_lshlrev_b32_e32 v143, 2, v143
	v_ashrrev_i32_e32 v139, s1, v149
	v_lshlrev_b32_e32 v141, 2, v141
	v_and_b32_e32 v144, 0x4040404, v144
	s_waitcnt lgkmcnt(7)
	v_ashrrev_i32_e32 v137, s1, v150
	v_and_b32_e32 v143, 0x4040404, v143
	v_lshlrev_b32_e32 v139, 2, v139
	v_and_b32_e32 v141, 0x4040404, v141
	v_lshrrev_b16 v185, 8, v144
	v_ashrrev_i32_e32 v134, s20, v16
	v_lshrrev_b16 v187, 8, v143
	v_and_b32_e32 v139, 0x4040404, v139
	v_lshrrev_b16 v189, 8, v141
	v_sub_nc_u16 v184, v184, v185
	v_lshrrev_b32_e32 v185, 24, v144
	v_lshlrev_b32_e32 v137, 2, v137
	v_lshrrev_b16 v191, 8, v139
	v_add3_u32 v12, s22, v125, v114
	ds_read2_b32 v[146:147], v11 offset1:1
	ds_read_b32 v11, v12
	v_sub_nc_u16 v142, v142, v185
	v_lshrrev_b32_e32 v185, 16, v183
	v_sub_nc_u16 v183, v183, v144
	v_lshrrev_b32_e32 v144, 16, v144
	v_and_b32_e32 v137, 0x4040404, v137
	v_ashrrev_i32_e32 v135, s1, v151
	v_ashrrev_i32_e32 v132, s20, v17
	v_add_nc_u32_e32 v12, 0x1080, v10
	v_sub_nc_u16 v144, v185, v144
	v_and_b32_e32 v185, 0x3030303, v140
	v_bfe_u32 v140, v140, 24, 2
	v_lshrrev_b16 v193, 8, v137
	v_lshlrev_b32_e32 v135, 2, v135
	ds_read2_b32 v[148:149], v12 offset1:1
	v_lshrrev_b16 v186, 8, v185
	v_add_nc_u32_e32 v12, 0x1088, v10
	s_waitcnt lgkmcnt(6)
	v_ashrrev_i32_e32 v129, s1, v158
	v_and_b32_e32 v135, 0x4040404, v135
	v_ashrrev_i32_e32 v20, s1, v159
	v_sub_nc_u16 v186, v186, v187
	v_lshrrev_b32_e32 v187, 24, v143
	s_waitcnt lgkmcnt(2)
	v_ashrrev_i32_e32 v158, s1, v146
	v_lshrrev_b16 v195, 8, v135
	v_ashrrev_i32_e32 v159, s1, v147
	ds_read2_b32 v[146:147], v12 offset1:1
	v_sub_nc_u16 v140, v140, v187
	v_lshrrev_b32_e32 v187, 16, v185
	v_sub_nc_u16 v185, v185, v143
	v_lshrrev_b32_e32 v143, 16, v143
	v_ashrrev_i32_e32 v133, s1, v152
	v_ashrrev_i32_e32 v130, s20, v18
	v_add_nc_u32_e32 v12, s21, v98
	v_ashrrev_i32_e32 v21, s20, v19
	v_sub_nc_u16 v143, v187, v143
	v_and_b32_e32 v187, 0x3030303, v138
	v_bfe_u32 v138, v138, 24, 2
	v_lshlrev_b32_e32 v133, 2, v133
	v_ashrrev_i32_e32 v19, s1, v160
	ds_read_u16 v15, v12 offset:2
	v_lshrrev_b16 v188, 8, v187
	v_add3_u32 v12, s22, v117, v118
	v_and_b32_e32 v133, 0x4040404, v133
	v_ashrrev_i32_e32 v14, s1, v156
	s_waitcnt lgkmcnt(2)
	v_ashrrev_i32_e32 v156, s20, v148
	v_sub_nc_u16 v188, v188, v189
	v_lshrrev_b32_e32 v189, 24, v141
	v_lshrrev_b16 v197, 8, v133
	s_waitcnt lgkmcnt(1)
	v_ashrrev_i32_e32 v160, s20, v146
	v_add_nc_u32_e32 v146, 0x1090, v10
	v_add_nc_u32_e32 v148, 0x1098, v10
	v_sub_nc_u16 v138, v138, v189
	v_lshrrev_b32_e32 v189, 16, v187
	v_sub_nc_u16 v187, v187, v141
	v_lshrrev_b32_e32 v141, 16, v141
	v_ashrrev_i32_e32 v131, s1, v153
	v_ashrrev_i32_e32 v18, s1, v161
	v_ashrrev_i32_e32 v13, s1, v157
	v_ashrrev_i32_e32 v157, s20, v149
	v_sub_nc_u16 v141, v189, v141
	v_and_b32_e32 v189, 0x3030303, v136
	v_bfe_u32 v136, v136, 24, 2
	v_ashrrev_i32_e32 v161, s20, v147
	ds_read_b32 v12, v12
	ds_read2_b32 v[146:147], v146 offset1:1
	ds_read2_b32 v[148:149], v148 offset1:1
	v_lshrrev_b16 v190, 8, v189
	v_lshlrev_b32_e32 v131, 2, v131
	v_ashrrev_i32_e32 v166, s1, v6
	v_add_nc_u32_e32 v6, 0x2100, v10
	v_ashrrev_i32_e32 v17, s1, v154
	v_sub_nc_u16 v190, v190, v191
	v_lshrrev_b32_e32 v191, 24, v139
	v_and_b32_e32 v131, 0x4040404, v131
	v_add3_u32 v154, s23, v119, v120
	v_ashrrev_i32_e32 v167, s1, v7
	v_lshlrev_b32_e32 v129, 2, v129
	v_sub_nc_u16 v136, v136, v191
	v_lshrrev_b32_e32 v191, 16, v189
	v_sub_nc_u16 v189, v189, v139
	v_lshrrev_b32_e32 v139, 16, v139
	v_lshrrev_b16 v199, 8, v131
	v_and_b32_e32 v129, 0x4040404, v129
	v_add_nc_u32_e32 v152, 0x2118, v10
	s_waitcnt lgkmcnt(1)
	v_ashrrev_i32_e32 v162, s20, v146
	v_sub_nc_u16 v139, v191, v139
	v_and_b32_e32 v191, 0x3030303, v134
	v_bfe_u32 v134, v134, 24, 2
	v_ashrrev_i32_e32 v163, s20, v147
	s_waitcnt lgkmcnt(0)
	v_ashrrev_i32_e32 v164, s20, v148
	v_ashrrev_i32_e32 v165, s20, v149
	v_lshrrev_b16 v192, 8, v191
	ds_read2_b32 v[6:7], v6 offset1:1
	ds_read2_b32 v[146:147], v154 offset1:1
	ds_read2_b32 v[148:149], v154 offset0:2 offset1:3
	ds_read2_b32 v[150:151], v154 offset0:4 offset1:5
	v_lshrrev_b16 v201, 8, v129
	v_ashrrev_i32_e32 v16, s1, v155
	v_lshlrev_b32_e32 v20, 2, v20
	v_sub_nc_u16 v192, v192, v193
	v_lshrrev_b32_e32 v193, 24, v137
	v_lshlrev_b32_e32 v19, 2, v19
	v_lshlrev_b32_e32 v18, 2, v18
	v_and_b32_e32 v20, 0x4040404, v20
	v_lshlrev_b32_e32 v17, 2, v17
	v_sub_nc_u16 v134, v134, v193
	v_lshrrev_b32_e32 v193, 16, v191
	v_sub_nc_u16 v191, v191, v137
	v_lshrrev_b32_e32 v137, 16, v137
	v_lshrrev_b16 v203, 8, v20
	v_and_b32_e32 v19, 0x4040404, v19
	v_and_b32_e32 v18, 0x4040404, v18
	s_waitcnt lgkmcnt(3)
	v_ashrrev_i32_e32 v168, s20, v6
	v_sub_nc_u16 v137, v193, v137
	v_and_b32_e32 v193, 0x3030303, v132
	v_bfe_u32 v132, v132, 24, 2
	v_add_nc_u32_e32 v6, 0x2108, v10
	s_waitcnt lgkmcnt(2)
	v_ashrrev_i32_e32 v170, s1, v146
	v_add_nc_u32_e32 v146, 0x2110, v10
	v_lshrrev_b16 v194, 8, v193
	v_ashrrev_i32_e32 v169, s20, v7
	v_ashrrev_i32_e32 v171, s1, v147
	ds_read2_b32 v[6:7], v6 offset1:1
	ds_read2_b32 v[146:147], v146 offset1:1
	;; [unrolled: 1-line block ×3, first 2 shown]
	ds_read2_b32 v[154:155], v154 offset0:6 offset1:7
	v_lshrrev_b16 v205, 8, v19
	v_sub_nc_u16 v194, v194, v195
	v_lshrrev_b32_e32 v195, 24, v135
	s_waitcnt lgkmcnt(5)
	v_ashrrev_i32_e32 v174, s1, v148
	v_lshrrev_b16 v207, 8, v18
	v_and_b32_e32 v17, 0x4040404, v17
	v_lshlrev_b32_e32 v16, 2, v16
	v_sub_nc_u16 v132, v132, v195
	v_lshrrev_b32_e32 v195, 16, v193
	v_sub_nc_u16 v193, v193, v135
	v_lshrrev_b32_e32 v135, 16, v135
	v_lshrrev_b16 v209, 8, v17
	v_and_b32_e32 v16, 0x4040404, v16
	v_lshlrev_b32_e32 v14, 2, v14
	v_lshlrev_b32_e32 v13, 2, v13
	v_sub_nc_u16 v135, v195, v135
	v_and_b32_e32 v195, 0x3030303, v130
	v_bfe_u32 v130, v130, 24, 2
	s_waitcnt lgkmcnt(3)
	v_ashrrev_i32_e32 v172, s20, v6
	v_add3_u32 v6, s22, v121, v122
	s_waitcnt lgkmcnt(2)
	v_ashrrev_i32_e32 v175, s20, v146
	v_lshrrev_b16 v196, 8, v195
	ds_read2_b32 v[145:146], v145 offset1:1
	ds_read_b32 v6, v6
	v_ashrrev_i32_e32 v173, s20, v7
	v_add_nc_u32_e32 v7, 0x3180, v10
	v_sub_nc_u16 v196, v196, v197
	v_lshrrev_b32_e32 v197, 24, v133
	v_ashrrev_i32_e32 v176, s20, v147
	v_lshrrev_b16 v211, 8, v16
	ds_read2_b32 v[147:148], v7 offset1:1
	v_add_nc_u32_e32 v7, 0x3188, v10
	v_sub_nc_u16 v130, v130, v197
	v_lshrrev_b32_e32 v197, 16, v195
	v_sub_nc_u16 v195, v195, v133
	v_lshrrev_b32_e32 v133, 16, v133
	v_and_b32_e32 v14, 0x4040404, v14
	v_and_b32_e32 v13, 0x4040404, v13
	v_lshlrev_b32_e32 v158, 2, v158
	v_lshlrev_b32_e32 v159, 2, v159
	v_sub_nc_u16 v133, v197, v133
	v_and_b32_e32 v197, 0x3030303, v21
	v_bfe_u32 v21, v21, 24, 2
	s_waitcnt lgkmcnt(2)
	v_ashrrev_i32_e32 v179, s1, v145
	v_ashrrev_i32_e32 v180, s1, v146
	ds_read2_b32 v[145:146], v7 offset1:1
	v_lshrrev_b16 v198, 8, v197
	v_add_nc_u32_e32 v7, s21, v96
	v_lshrrev_b16 v213, 8, v14
	v_lshrrev_b16 v215, 8, v13
	s_waitcnt lgkmcnt(1)
	v_ashrrev_i32_e32 v177, s20, v147
	v_sub_nc_u16 v198, v198, v199
	v_lshrrev_b32_e32 v199, 24, v131
	v_add_nc_u32_e32 v147, 0x3198, v10
	v_ashrrev_i32_e32 v178, s20, v148
	v_and_b32_e32 v158, 0x4040404, v158
	v_and_b32_e32 v159, 0x4040404, v159
	v_sub_nc_u16 v21, v21, v199
	v_lshrrev_b32_e32 v199, 16, v197
	v_sub_nc_u16 v197, v197, v131
	v_lshrrev_b32_e32 v131, 16, v131
	v_lshrrev_b16 v217, 8, v158
	v_lshrrev_b16 v219, 8, v159
	v_lshlrev_b32_e32 v166, 2, v166
	v_lshlrev_b32_e32 v167, 2, v167
	v_sub_nc_u16 v131, v199, v131
	v_and_b32_e32 v199, 0x3030303, v160
	v_bfe_u32 v160, v160, 24, 2
	s_waitcnt lgkmcnt(0)
	v_ashrrev_i32_e32 v181, s20, v145
	v_add_nc_u32_e32 v145, 0x3190, v10
	ds_read_u16 v10, v7 offset:2
	v_lshrrev_b16 v200, 8, v199
	v_add3_u32 v7, s22, v126, v127
	v_ashrrev_i32_e32 v182, s20, v146
	ds_read_b32 v7, v7
	ds_read2_b32 v[145:146], v145 offset1:1
	ds_read2_b32 v[147:148], v147 offset1:1
	v_sub_nc_u16 v200, v200, v201
	v_lshrrev_b32_e32 v201, 24, v129
	v_and_b32_e32 v166, 0x4040404, v166
	v_and_b32_e32 v167, 0x4040404, v167
	v_lshlrev_b32_e32 v170, 2, v170
	v_lshlrev_b32_e32 v171, 2, v171
	v_sub_nc_u16 v160, v160, v201
	v_lshrrev_b32_e32 v201, 16, v199
	v_sub_nc_u16 v199, v199, v129
	v_lshrrev_b32_e32 v129, 16, v129
	v_lshrrev_b16 v221, 8, v166
	v_lshrrev_b16 v223, 8, v167
	v_and_b32_e32 v170, 0x4040404, v170
	v_and_b32_e32 v171, 0x4040404, v171
	v_sub_nc_u16 v129, v201, v129
	v_and_b32_e32 v201, 0x3030303, v161
	v_bfe_u32 v161, v161, 24, 2
	v_lshrrev_b16 v225, 8, v170
	s_waitcnt lgkmcnt(1)
	v_ashrrev_i32_e32 v145, s20, v145
	v_ashrrev_i32_e32 v146, s20, v146
	v_lshrrev_b16 v202, 8, v201
	v_lshrrev_b16 v227, 8, v171
	v_lshlrev_b32_e32 v174, 2, v174
	v_ashrrev_i32_e32 v149, s1, v149
	v_ashrrev_i32_e32 v150, s1, v150
	v_sub_nc_u16 v202, v202, v203
	v_lshrrev_b32_e32 v203, 24, v20
	v_and_b32_e32 v174, 0x4040404, v174
	v_lshlrev_b32_e32 v149, 2, v149
	v_lshlrev_b32_e32 v150, 2, v150
	v_ashrrev_i32_e32 v151, s1, v151
	v_sub_nc_u16 v161, v161, v203
	v_lshrrev_b32_e32 v203, 16, v201
	v_sub_nc_u16 v201, v201, v20
	v_lshrrev_b32_e32 v20, 16, v20
	v_lshrrev_b16 v229, 8, v174
	v_and_b32_e32 v149, 0x4040404, v149
	v_and_b32_e32 v150, 0x4040404, v150
	v_lshlrev_b32_e32 v151, 2, v151
	v_sub_nc_u16 v20, v203, v20
	v_and_b32_e32 v203, 0x3030303, v162
	v_bfe_u32 v162, v162, 24, 2
	v_lshrrev_b16 v231, 8, v149
	v_lshrrev_b16 v233, 8, v150
	v_and_b32_e32 v151, 0x4040404, v151
	v_lshrrev_b16 v204, 8, v203
	v_ashrrev_i32_e32 v154, s1, v154
	v_ashrrev_i32_e32 v152, s20, v152
	;; [unrolled: 1-line block ×3, first 2 shown]
	v_lshrrev_b16 v235, 8, v151
	v_sub_nc_u16 v204, v204, v205
	v_lshrrev_b32_e32 v205, 24, v19
	v_lshlrev_b32_e32 v154, 2, v154
	v_ashrrev_i32_e32 v153, s20, v153
	v_lshlrev_b32_e32 v155, 2, v155
	v_lshlrev_b32_e32 v179, 2, v179
	v_sub_nc_u16 v162, v162, v205
	v_lshrrev_b32_e32 v205, 16, v203
	v_sub_nc_u16 v203, v203, v19
	v_lshrrev_b32_e32 v19, 16, v19
	v_and_b32_e32 v154, 0x4040404, v154
	v_and_b32_e32 v155, 0x4040404, v155
	;; [unrolled: 1-line block ×3, first 2 shown]
	v_lshlrev_b32_e32 v180, 2, v180
	v_sub_nc_u16 v19, v205, v19
	v_and_b32_e32 v205, 0x3030303, v163
	v_bfe_u32 v163, v163, 24, 2
	v_lshrrev_b16 v237, 8, v154
	v_lshrrev_b16 v239, 8, v155
	;; [unrolled: 1-line block ×4, first 2 shown]
	v_and_b32_e32 v180, 0x4040404, v180
	v_ashrrev_i32_e32 v4, s1, v4
	s_waitcnt lgkmcnt(0)
	v_ashrrev_i32_e32 v147, s20, v147
	v_ashrrev_i32_e32 v5, s1, v5
	v_sub_nc_u16 v206, v206, v207
	v_lshrrev_b32_e32 v207, 24, v18
	v_lshrrev_b16 v243, 8, v180
	v_lshlrev_b32_e32 v4, 2, v4
	v_ashrrev_i32_e32 v148, s20, v148
	v_lshlrev_b32_e32 v5, 2, v5
	v_sub_nc_u16 v163, v163, v207
	v_lshrrev_b32_e32 v207, 16, v205
	v_sub_nc_u16 v205, v205, v18
	v_lshrrev_b32_e32 v18, 16, v18
	v_and_b32_e32 v4, 0x4040404, v4
	v_and_b32_e32 v5, 0x4040404, v5
	v_lshlrev_b16 v142, 8, v142
	v_lshlrev_b16 v140, 8, v140
	v_sub_nc_u16 v18, v207, v18
	v_and_b32_e32 v207, 0x3030303, v181
	v_bfe_u32 v181, v181, 24, 2
	v_lshrrev_b16 v245, 8, v4
	v_lshlrev_b16 v138, 8, v138
	v_lshlrev_b16 v136, 8, v136
	v_lshrrev_b16 v208, 8, v207
	v_lshlrev_b16 v134, 8, v134
	v_lshlrev_b16 v132, 8, v132
	;; [unrolled: 1-line block ×4, first 2 shown]
	v_sub_nc_u16 v208, v208, v209
	v_lshrrev_b32_e32 v209, 24, v17
	v_lshlrev_b16 v161, 8, v161
	v_lshlrev_b16 v162, 8, v162
	;; [unrolled: 1-line block ×3, first 2 shown]
	v_lshrrev_b16 v247, 8, v5
	v_sub_nc_u16 v181, v181, v209
	v_lshrrev_b32_e32 v209, 16, v207
	v_sub_nc_u16 v207, v207, v17
	v_lshrrev_b32_e32 v17, 16, v17
	v_or_b32_sdwa v142, v144, v142 dst_sel:WORD_1 dst_unused:UNUSED_PAD src0_sel:BYTE_0 src1_sel:DWORD
	v_lshlrev_b16 v181, 8, v181
	v_lshlrev_b16 v144, 8, v186
	v_or_b32_sdwa v140, v143, v140 dst_sel:WORD_1 dst_unused:UNUSED_PAD src0_sel:BYTE_0 src1_sel:DWORD
	v_sub_nc_u16 v17, v209, v17
	v_and_b32_e32 v209, 0x3030303, v182
	v_bfe_u32 v182, v182, 24, 2
	v_lshlrev_b16 v143, 8, v188
	v_or_b32_sdwa v138, v141, v138 dst_sel:WORD_1 dst_unused:UNUSED_PAD src0_sel:BYTE_0 src1_sel:DWORD
	v_lshlrev_b16 v141, 8, v190
	v_lshrrev_b16 v210, 8, v209
	v_or_b32_sdwa v136, v139, v136 dst_sel:WORD_1 dst_unused:UNUSED_PAD src0_sel:BYTE_0 src1_sel:DWORD
	v_lshlrev_b16 v139, 8, v192
	v_or_b32_sdwa v134, v137, v134 dst_sel:WORD_1 dst_unused:UNUSED_PAD src0_sel:BYTE_0 src1_sel:DWORD
	v_lshlrev_b16 v137, 8, v194
	v_sub_nc_u16 v210, v210, v211
	v_lshrrev_b32_e32 v211, 24, v16
	v_or_b32_sdwa v132, v135, v132 dst_sel:WORD_1 dst_unused:UNUSED_PAD src0_sel:BYTE_0 src1_sel:DWORD
	v_lshlrev_b16 v135, 8, v196
	v_or_b32_sdwa v130, v133, v130 dst_sel:WORD_1 dst_unused:UNUSED_PAD src0_sel:BYTE_0 src1_sel:DWORD
	v_lshlrev_b16 v133, 8, v198
	v_sub_nc_u16 v182, v182, v211
	v_lshrrev_b32_e32 v211, 16, v209
	v_sub_nc_u16 v209, v209, v16
	v_lshrrev_b32_e32 v16, 16, v16
	v_or_b32_sdwa v21, v131, v21 dst_sel:WORD_1 dst_unused:UNUSED_PAD src0_sel:BYTE_0 src1_sel:DWORD
	v_lshlrev_b16 v131, 8, v200
	v_lshlrev_b16 v160, 8, v160
	v_or_b32_sdwa v20, v20, v161 dst_sel:WORD_1 dst_unused:UNUSED_PAD src0_sel:BYTE_0 src1_sel:DWORD
	v_sub_nc_u16 v16, v211, v16
	v_and_b32_e32 v211, 0x3030303, v145
	v_bfe_u32 v145, v145, 24, 2
	v_lshlrev_b16 v161, 8, v204
	v_or_b32_sdwa v19, v19, v162 dst_sel:WORD_1 dst_unused:UNUSED_PAD src0_sel:BYTE_0 src1_sel:DWORD
	v_lshlrev_b16 v162, 8, v206
	v_lshrrev_b16 v212, 8, v211
	v_or_b32_sdwa v18, v18, v163 dst_sel:WORD_1 dst_unused:UNUSED_PAD src0_sel:BYTE_0 src1_sel:DWORD
	v_lshlrev_b16 v163, 8, v208
	v_or_b32_sdwa v17, v17, v181 dst_sel:WORD_1 dst_unused:UNUSED_PAD src0_sel:BYTE_0 src1_sel:DWORD
	v_lshlrev_b16 v181, 8, v210
	v_sub_nc_u16 v212, v212, v213
	v_lshrrev_b32_e32 v213, 24, v14
	v_lshlrev_b16 v182, 8, v182
	v_or_b32_sdwa v144, v185, v144 dst_sel:DWORD dst_unused:UNUSED_PAD src0_sel:BYTE_0 src1_sel:DWORD
	v_or_b32_sdwa v143, v187, v143 dst_sel:DWORD dst_unused:UNUSED_PAD src0_sel:BYTE_0 src1_sel:DWORD
	v_or_b32_sdwa v141, v189, v141 dst_sel:DWORD dst_unused:UNUSED_PAD src0_sel:BYTE_0 src1_sel:DWORD
	v_sub_nc_u16 v145, v145, v213
	v_lshrrev_b32_e32 v213, 16, v211
	v_sub_nc_u16 v211, v211, v14
	v_lshrrev_b32_e32 v14, 16, v14
	v_or_b32_sdwa v139, v191, v139 dst_sel:DWORD dst_unused:UNUSED_PAD src0_sel:BYTE_0 src1_sel:DWORD
	v_or_b32_sdwa v137, v193, v137 dst_sel:DWORD dst_unused:UNUSED_PAD src0_sel:BYTE_0 src1_sel:DWORD
	;; [unrolled: 1-line block ×4, first 2 shown]
	v_sub_nc_u16 v14, v213, v14
	v_and_b32_e32 v213, 0x3030303, v146
	v_bfe_u32 v146, v146, 24, 2
	v_or_b32_sdwa v131, v199, v131 dst_sel:DWORD dst_unused:UNUSED_PAD src0_sel:BYTE_0 src1_sel:DWORD
	v_or_b32_sdwa v129, v129, v160 dst_sel:WORD_1 dst_unused:UNUSED_PAD src0_sel:BYTE_0 src1_sel:DWORD
	v_or_b32_sdwa v161, v203, v161 dst_sel:DWORD dst_unused:UNUSED_PAD src0_sel:BYTE_0 src1_sel:DWORD
	v_lshrrev_b16 v214, 8, v213
	v_or_b32_sdwa v162, v205, v162 dst_sel:DWORD dst_unused:UNUSED_PAD src0_sel:BYTE_0 src1_sel:DWORD
	v_or_b32_sdwa v163, v207, v163 dst_sel:DWORD dst_unused:UNUSED_PAD src0_sel:BYTE_0 src1_sel:DWORD
	;; [unrolled: 1-line block ×3, first 2 shown]
	v_or_b32_sdwa v16, v16, v182 dst_sel:WORD_1 dst_unused:UNUSED_PAD src0_sel:BYTE_0 src1_sel:DWORD
	v_sub_nc_u16 v214, v214, v215
	v_lshrrev_b32_e32 v215, 24, v13
	v_or_b32_sdwa v140, v144, v140 dst_sel:DWORD dst_unused:UNUSED_PAD src0_sel:WORD_0 src1_sel:DWORD
	v_or_b32_sdwa v138, v143, v138 dst_sel:DWORD dst_unused:UNUSED_PAD src0_sel:WORD_0 src1_sel:DWORD
	;; [unrolled: 1-line block ×4, first 2 shown]
	v_sub_nc_u16 v146, v146, v215
	v_lshrrev_b32_e32 v215, 16, v213
	v_sub_nc_u16 v213, v213, v13
	v_lshrrev_b32_e32 v13, 16, v13
	v_or_b32_sdwa v137, v137, v132 dst_sel:DWORD dst_unused:UNUSED_PAD src0_sel:WORD_0 src1_sel:DWORD
	v_or_b32_sdwa v135, v135, v130 dst_sel:DWORD dst_unused:UNUSED_PAD src0_sel:WORD_0 src1_sel:DWORD
	;; [unrolled: 1-line block ×4, first 2 shown]
	v_sub_nc_u16 v13, v215, v13
	v_and_b32_e32 v215, 0x3030303, v156
	v_bfe_u32 v156, v156, 24, 2
	v_or_b32_sdwa v139, v161, v19 dst_sel:DWORD dst_unused:UNUSED_PAD src0_sel:WORD_0 src1_sel:DWORD
	v_or_b32_sdwa v141, v162, v18 dst_sel:DWORD dst_unused:UNUSED_PAD src0_sel:WORD_0 src1_sel:DWORD
	;; [unrolled: 1-line block ×3, first 2 shown]
	v_lshrrev_b16 v216, 8, v215
	v_or_b32_sdwa v144, v181, v16 dst_sel:DWORD dst_unused:UNUSED_PAD src0_sel:WORD_0 src1_sel:DWORD
	ds_read_b128 v[16:19], v9
	ds_read_b128 v[129:132], v9 offset:16
	v_lshlrev_b16 v184, 8, v184
	v_lshlrev_b16 v182, 8, v212
	v_sub_nc_u16 v216, v216, v217
	v_lshrrev_b32_e32 v217, 24, v158
	v_lshlrev_b16 v145, 8, v145
	v_or_b32_sdwa v183, v183, v184 dst_sel:DWORD dst_unused:UNUSED_PAD src0_sel:BYTE_0 src1_sel:DWORD
	v_lshlrev_b16 v146, 8, v146
	v_or_b32_sdwa v182, v211, v182 dst_sel:DWORD dst_unused:UNUSED_PAD src0_sel:BYTE_0 src1_sel:DWORD
	v_sub_nc_u16 v156, v156, v217
	v_lshrrev_b32_e32 v217, 16, v215
	v_sub_nc_u16 v215, v215, v158
	v_lshrrev_b32_e32 v158, 16, v158
	v_or_b32_sdwa v142, v183, v142 dst_sel:DWORD dst_unused:UNUSED_PAD src0_sel:WORD_0 src1_sel:DWORD
	v_or_b32_sdwa v14, v14, v145 dst_sel:WORD_1 dst_unused:UNUSED_PAD src0_sel:BYTE_0 src1_sel:DWORD
	v_lshlrev_b16 v145, 8, v214
	v_or_b32_sdwa v13, v13, v146 dst_sel:WORD_1 dst_unused:UNUSED_PAD src0_sel:BYTE_0 src1_sel:DWORD
	v_sub_nc_u16 v158, v217, v158
	v_and_b32_e32 v217, 0x3030303, v157
	v_bfe_u32 v157, v157, 24, 2
	v_lshlrev_b16 v146, 8, v216
	v_lshlrev_b16 v156, 8, v156
	v_or_b32_sdwa v145, v213, v145 dst_sel:DWORD dst_unused:UNUSED_PAD src0_sel:BYTE_0 src1_sel:DWORD
	v_lshrrev_b16 v218, 8, v217
	v_or_b32_sdwa v14, v182, v14 dst_sel:DWORD dst_unused:UNUSED_PAD src0_sel:WORD_0 src1_sel:DWORD
	v_or_b32_sdwa v146, v215, v146 dst_sel:DWORD dst_unused:UNUSED_PAD src0_sel:BYTE_0 src1_sel:DWORD
	v_or_b32_sdwa v156, v158, v156 dst_sel:WORD_1 dst_unused:UNUSED_PAD src0_sel:BYTE_0 src1_sel:DWORD
	v_or_b32_sdwa v13, v145, v13 dst_sel:DWORD dst_unused:UNUSED_PAD src0_sel:WORD_0 src1_sel:DWORD
	v_sub_nc_u16 v218, v218, v219
	v_lshrrev_b32_e32 v219, 24, v159
	v_lshlrev_b16 v160, 8, v202
	v_or_b32_sdwa v145, v146, v156 dst_sel:DWORD dst_unused:UNUSED_PAD src0_sel:WORD_0 src1_sel:DWORD
	v_add_nc_u32_e32 v9, 32, v9
	v_lshlrev_b16 v158, 8, v218
	v_sub_nc_u16 v157, v157, v219
	v_lshrrev_b32_e32 v219, 16, v217
	v_sub_nc_u16 v217, v217, v159
	v_lshrrev_b32_e32 v159, 16, v159
	v_or_b32_sdwa v160, v201, v160 dst_sel:DWORD dst_unused:UNUSED_PAD src0_sel:BYTE_0 src1_sel:DWORD
	v_lshlrev_b16 v157, 8, v157
	s_add_i32 s1, s1, 1
	v_or_b32_sdwa v158, v217, v158 dst_sel:DWORD dst_unused:UNUSED_PAD src0_sel:BYTE_0 src1_sel:DWORD
	v_sub_nc_u16 v159, v219, v159
	v_and_b32_e32 v219, 0x3030303, v164
	v_bfe_u32 v164, v164, 24, 2
	v_or_b32_sdwa v20, v160, v20 dst_sel:DWORD dst_unused:UNUSED_PAD src0_sel:WORD_0 src1_sel:DWORD
	s_cmp_lt_u32 s20, 6
	v_or_b32_sdwa v157, v159, v157 dst_sel:WORD_1 dst_unused:UNUSED_PAD src0_sel:BYTE_0 src1_sel:DWORD
	v_lshrrev_b16 v220, 8, v219
	v_or_b32_sdwa v146, v158, v157 dst_sel:DWORD dst_unused:UNUSED_PAD src0_sel:WORD_0 src1_sel:DWORD
	v_sub_nc_u16 v220, v220, v221
	v_lshrrev_b32_e32 v221, 24, v166
	v_lshlrev_b16 v159, 8, v220
	v_sub_nc_u16 v164, v164, v221
	v_lshrrev_b32_e32 v221, 16, v219
	v_sub_nc_u16 v219, v219, v166
	v_lshrrev_b32_e32 v166, 16, v166
	v_lshlrev_b16 v164, 8, v164
	v_or_b32_sdwa v159, v219, v159 dst_sel:DWORD dst_unused:UNUSED_PAD src0_sel:BYTE_0 src1_sel:DWORD
	v_sub_nc_u16 v166, v221, v166
	v_and_b32_e32 v221, 0x3030303, v165
	v_bfe_u32 v165, v165, 24, 2
	v_or_b32_sdwa v164, v166, v164 dst_sel:WORD_1 dst_unused:UNUSED_PAD src0_sel:BYTE_0 src1_sel:DWORD
	v_lshrrev_b16 v222, 8, v221
	v_sub_nc_u16 v222, v222, v223
	v_lshrrev_b32_e32 v223, 24, v167
	v_lshlrev_b16 v166, 8, v222
	v_sub_nc_u16 v165, v165, v223
	v_lshrrev_b32_e32 v223, 16, v221
	v_sub_nc_u16 v221, v221, v167
	v_lshrrev_b32_e32 v167, 16, v167
	v_lshlrev_b16 v165, 8, v165
	v_or_b32_sdwa v166, v221, v166 dst_sel:DWORD dst_unused:UNUSED_PAD src0_sel:BYTE_0 src1_sel:DWORD
	v_sub_nc_u16 v167, v223, v167
	v_and_b32_e32 v223, 0x3030303, v168
	v_bfe_u32 v168, v168, 24, 2
	v_or_b32_sdwa v165, v167, v165 dst_sel:WORD_1 dst_unused:UNUSED_PAD src0_sel:BYTE_0 src1_sel:DWORD
	v_lshrrev_b16 v224, 8, v223
	v_or_b32_sdwa v156, v166, v165 dst_sel:DWORD dst_unused:UNUSED_PAD src0_sel:WORD_0 src1_sel:DWORD
	v_sub_nc_u16 v224, v224, v225
	v_lshrrev_b32_e32 v225, 24, v170
	v_lshlrev_b16 v167, 8, v224
	v_sub_nc_u16 v168, v168, v225
	v_lshrrev_b32_e32 v225, 16, v223
	v_sub_nc_u16 v223, v223, v170
	v_lshrrev_b32_e32 v170, 16, v170
	v_lshlrev_b16 v168, 8, v168
	v_or_b32_sdwa v167, v223, v167 dst_sel:DWORD dst_unused:UNUSED_PAD src0_sel:BYTE_0 src1_sel:DWORD
	v_sub_nc_u16 v170, v225, v170
	v_and_b32_e32 v225, 0x3030303, v169
	v_bfe_u32 v169, v169, 24, 2
	v_or_b32_sdwa v168, v170, v168 dst_sel:WORD_1 dst_unused:UNUSED_PAD src0_sel:BYTE_0 src1_sel:DWORD
	v_lshrrev_b16 v226, 8, v225
	v_or_b32_sdwa v157, v167, v168 dst_sel:DWORD dst_unused:UNUSED_PAD src0_sel:WORD_0 src1_sel:DWORD
	;; [unrolled: 15-line block ×3, first 2 shown]
	v_sub_nc_u16 v228, v228, v229
	v_lshrrev_b32_e32 v229, 24, v174
	v_lshlrev_b16 v171, 8, v228
	v_sub_nc_u16 v172, v172, v229
	v_lshrrev_b32_e32 v229, 16, v227
	v_sub_nc_u16 v227, v227, v174
	v_lshrrev_b32_e32 v174, 16, v174
	v_lshlrev_b16 v172, 8, v172
	v_or_b32_sdwa v171, v227, v171 dst_sel:DWORD dst_unused:UNUSED_PAD src0_sel:BYTE_0 src1_sel:DWORD
	v_sub_nc_u16 v174, v229, v174
	v_and_b32_e32 v229, 0x3030303, v173
	v_bfe_u32 v173, v173, 24, 2
	v_or_b32_sdwa v172, v174, v172 dst_sel:WORD_1 dst_unused:UNUSED_PAD src0_sel:BYTE_0 src1_sel:DWORD
	v_lshrrev_b16 v230, 8, v229
	v_sub_nc_u16 v230, v230, v231
	v_lshrrev_b32_e32 v231, 24, v149
	v_lshlrev_b16 v174, 8, v230
	v_sub_nc_u16 v173, v173, v231
	v_lshrrev_b32_e32 v231, 16, v229
	v_sub_nc_u16 v229, v229, v149
	v_lshrrev_b32_e32 v149, 16, v149
	v_lshlrev_b16 v173, 8, v173
	v_or_b32_sdwa v174, v229, v174 dst_sel:DWORD dst_unused:UNUSED_PAD src0_sel:BYTE_0 src1_sel:DWORD
	v_sub_nc_u16 v149, v231, v149
	v_and_b32_e32 v231, 0x3030303, v175
	v_bfe_u32 v175, v175, 24, 2
	v_or_b32_sdwa v149, v149, v173 dst_sel:WORD_1 dst_unused:UNUSED_PAD src0_sel:BYTE_0 src1_sel:DWORD
	v_lshrrev_b16 v232, 8, v231
	v_or_b32_sdwa v149, v174, v149 dst_sel:DWORD dst_unused:UNUSED_PAD src0_sel:WORD_0 src1_sel:DWORD
	v_sub_nc_u16 v232, v232, v233
	v_lshrrev_b32_e32 v233, 24, v150
	v_lshlrev_b16 v173, 8, v232
	v_sub_nc_u16 v175, v175, v233
	v_lshrrev_b32_e32 v233, 16, v231
	v_sub_nc_u16 v231, v231, v150
	v_lshrrev_b32_e32 v150, 16, v150
	v_lshlrev_b16 v175, 8, v175
	v_or_b32_sdwa v173, v231, v173 dst_sel:DWORD dst_unused:UNUSED_PAD src0_sel:BYTE_0 src1_sel:DWORD
	v_sub_nc_u16 v150, v233, v150
	v_and_b32_e32 v233, 0x3030303, v176
	v_bfe_u32 v176, v176, 24, 2
	v_or_b32_sdwa v150, v150, v175 dst_sel:WORD_1 dst_unused:UNUSED_PAD src0_sel:BYTE_0 src1_sel:DWORD
	v_lshrrev_b16 v234, 8, v233
	v_or_b32_sdwa v150, v173, v150 dst_sel:DWORD dst_unused:UNUSED_PAD src0_sel:WORD_0 src1_sel:DWORD
	;; [unrolled: 15-line block ×8, first 2 shown]
	v_sub_nc_u16 v246, v246, v247
	v_lshrrev_b32_e32 v247, 24, v5
	v_lshlrev_b16 v147, 8, v246
	v_sub_nc_u16 v148, v148, v247
	v_lshrrev_b32_e32 v247, 16, v245
	v_sub_nc_u16 v245, v245, v5
	v_lshrrev_b32_e32 v5, 16, v5
	v_lshlrev_b16 v148, 8, v148
	v_or_b32_sdwa v147, v245, v147 dst_sel:DWORD dst_unused:UNUSED_PAD src0_sel:BYTE_0 src1_sel:DWORD
	v_sub_nc_u16 v5, v247, v5
	v_or_b32_sdwa v5, v5, v148 dst_sel:WORD_1 dst_unused:UNUSED_PAD src0_sel:BYTE_0 src1_sel:DWORD
	v_or_b32_sdwa v148, v159, v164 dst_sel:DWORD dst_unused:UNUSED_PAD src0_sel:WORD_0 src1_sel:DWORD
	v_or_b32_sdwa v159, v171, v172 dst_sel:DWORD dst_unused:UNUSED_PAD src0_sel:WORD_0 src1_sel:DWORD
	;; [unrolled: 1-line block ×3, first 2 shown]
	v_mov_b32_e32 v147, 0
	s_waitcnt lgkmcnt(1)
	v_dot4c_i32_i8 v147, v142, v16
	v_mov_b32_e32 v142, 0
	v_dot4c_i32_i8 v147, v140, v17
	s_waitcnt lgkmcnt(0)
	v_dot4c_i32_i8 v142, v134, v129
	v_mov_b32_e32 v134, 0
	v_dot4c_i32_i8 v147, v138, v18
	v_dot4c_i32_i8 v142, v137, v130
	;; [unrolled: 1-line block ×3, first 2 shown]
	v_mov_b32_e32 v139, 0
	v_dot4c_i32_i8 v147, v136, v19
	v_dot4c_i32_i8 v142, v135, v131
	;; [unrolled: 1-line block ×4, first 2 shown]
	v_mov_b32_e32 v14, 0
	v_dot4c_i32_i8 v142, v21, v132
	v_dot4c_i32_i8 v134, v148, v131
	;; [unrolled: 1-line block ×4, first 2 shown]
	v_mov_b32_e32 v145, 0
	v_add_nc_u32_e32 v13, s21, v97
	v_dot4c_i32_i8 v134, v156, v132
	v_dot4c_i32_i8 v139, v4, v131
	v_add_nc_u32_e32 v4, s21, v99
	v_dot4c_i32_i8 v145, v157, v16
	v_mov_b32_e32 v157, 0
	v_dot4c_i32_i8 v14, v146, v17
	v_dot4c_i32_i8 v139, v5, v132
	s_mov_b32 s21, s20
	v_dot4c_i32_i8 v145, v158, v17
	v_dot4c_i32_i8 v157, v150, v129
	v_mov_b32_e32 v129, 0
	v_dot4c_i32_i8 v14, v133, v18
	v_dot4c_i32_i8 v145, v159, v18
	;; [unrolled: 1-line block ×3, first 2 shown]
	ds_read_b32 v130, v8
	ds_read_u16 v4, v4 offset:2
	ds_read_u16 v13, v13 offset:2
	v_dot4c_i32_i8 v129, v154, v16
	v_dot4c_i32_i8 v14, v20, v19
	;; [unrolled: 1-line block ×3, first 2 shown]
	v_bfe_i32 v20, v10, 0, 8
	v_dot4c_i32_i8 v157, v152, v131
	v_dot4c_i32_i8 v129, v155, v17
	v_lshrrev_b16 v17, 8, v15
	v_bfe_i32 v15, v15, 0, 8
	v_add_nc_u32_e32 v8, 4, v8
	v_dot4c_i32_i8 v157, v153, v132
	v_dot4c_i32_i8 v129, v143, v18
	v_lshrrev_b16 v18, 8, v10
	v_bfe_i32 v17, v17, 0, 8
	v_dot4c_i32_i8 v129, v144, v19
	v_bfe_i32 v18, v18, 0, 8
	s_waitcnt lgkmcnt(1)
	v_lshrrev_b16 v16, 8, v4
	v_bfe_i32 v4, v4, 0, 8
	s_waitcnt lgkmcnt(0)
	v_lshrrev_b16 v5, 8, v13
	v_bfe_i32 v13, v13, 0, 8
	v_mul_f32_e32 v7, v130, v7
	v_bfe_i32 v16, v16, 0, 8
	v_mul_lo_u32 v4, v147, v4
	v_bfe_i32 v21, v5, 0, 8
	v_mul_lo_u32 v5, v14, v15
	v_mul_lo_u32 v10, v145, v13
	;; [unrolled: 1-line block ×3, first 2 shown]
	v_mad_u64_u32 v[14:15], null, v142, v16, v[4:5]
	v_mad_u64_u32 v[15:16], null, v157, v21, v[10:11]
	;; [unrolled: 1-line block ×3, first 2 shown]
	v_mul_f32_e32 v5, v130, v11
	v_mul_f32_e32 v10, v130, v12
	v_mad_u64_u32 v[16:17], null, v139, v18, v[13:14]
	v_mul_f32_e32 v6, v130, v6
	v_cvt_f32_i32_e32 v11, v14
	v_cvt_f32_i32_e32 v4, v4
	;; [unrolled: 1-line block ×4, first 2 shown]
	v_fmac_f32_e32 v23, v5, v11
	v_fmac_f32_e32 v88, v10, v4
	;; [unrolled: 1-line block ×4, first 2 shown]
	s_cbranch_scc1 .LBB189_11
; %bb.12:                               ;   in Loop: Header=BB189_5 Depth=1
	s_or_b32 s1, s4, 0x80
	s_cmp_ge_i32 s1, s15
	s_barrier
	buffer_gl0_inv
	s_cbranch_scc1 .LBB189_4
; %bb.13:                               ;   in Loop: Header=BB189_5 Depth=1
	v_add_nc_u32_e32 v4, s5, v85
	v_cmp_gt_i32_e64 s1, s9, v4
	s_and_b32 s19, s0, s1
	s_and_saveexec_b32 s1, s19
	s_cbranch_execz .LBB189_15
; %bb.14:                               ;   in Loop: Header=BB189_5 Depth=1
	v_add_nc_u32_e32 v4, v89, v4
	v_mad_i64_i32 v[4:5], null, v4, 36, v[1:2]
	global_load_dword v4, v[4:5], off offset:4
	s_waitcnt vmcnt(0)
	ds_write_b32 v82, v4
.LBB189_15:                             ;   in Loop: Header=BB189_5 Depth=1
	s_or_b32 exec_lo, exec_lo, s1
	s_and_saveexec_b32 s19, vcc_lo
	s_cbranch_execz .LBB189_18
; %bb.16:                               ;   in Loop: Header=BB189_5 Depth=1
	v_or_b32_e32 v4, 4, v128
	v_cmp_gt_i32_e64 s1, s9, v4
	s_and_b32 s1, s0, s1
	s_and_b32 exec_lo, exec_lo, s1
	s_cbranch_execz .LBB189_18
; %bb.17:                               ;   in Loop: Header=BB189_5 Depth=1
	v_ashrrev_i32_e32 v4, 31, v128
	v_add_co_u32 v5, s1, v89, v128
	v_add_co_ci_u32_e64 v6, null, v95, v4, s1
	v_mad_u64_u32 v[4:5], null, v5, 36, s[2:3]
	v_mad_i32_i24 v5, v6, 36, v5
	global_load_dword v4, v[4:5], off offset:144
	s_waitcnt vmcnt(0)
	v_cvt_f32_f16_e32 v4, v4
	ds_write_b32 v83, v4
.LBB189_18:                             ;   in Loop: Header=BB189_5 Depth=1
	s_or_b32 exec_lo, exec_lo, s19
	v_mov_b32_e32 v129, v80
	v_mov_b32_e32 v130, v81
	s_mov_b32 s1, 8
	s_mov_b32 s21, 6
	;; [unrolled: 1-line block ×3, first 2 shown]
	s_waitcnt lgkmcnt(0)
	s_barrier
	buffer_gl0_inv
.LBB189_19:                             ;   Parent Loop BB189_5 Depth=1
                                        ; =>  This Inner Loop Header: Depth=2
	s_add_i32 s20, s21, 2
	s_add_i32 s22, s21, -6
	s_lshr_b32 s23, s20, 4
	s_and_b32 s24, s20, 0x3ffffff8
	s_lshl_b32 s25, s23, 5
	v_lshl_add_u32 v131, s24, 2, v90
	s_add_i32 s24, s25, 0x4200
	s_lshl_b32 s23, s23, 2
	v_add3_u32 v8, s24, v112, v113
	v_add3_u32 v9, s24, v115, v116
	;; [unrolled: 1-line block ×3, first 2 shown]
	v_add_nc_u32_e32 v21, 0x1080, v131
	ds_read2_b32 v[18:19], v131 offset1:1
	ds_read2_b32 v[16:17], v131 offset0:2 offset1:3
	ds_read2_b32 v[4:5], v131 offset0:4 offset1:5
	;; [unrolled: 1-line block ×3, first 2 shown]
	ds_read2_b32 v[133:134], v8 offset1:1
	ds_read2_b32 v[135:136], v8 offset0:2 offset1:3
	ds_read2_b32 v[137:138], v9 offset1:1
	ds_read2_b32 v[139:140], v9 offset0:2 offset1:3
	ds_read2_b32 v[146:147], v132 offset0:2 offset1:3
	;; [unrolled: 1-line block ×5, first 2 shown]
	ds_read2_b32 v[148:149], v21 offset1:1
	ds_read2_b32 v[8:9], v9 offset0:6 offset1:7
	v_add_nc_u32_e32 v20, 0x2100, v131
	s_addk_i32 s23, 0x7380
	v_add_nc_u32_e32 v152, 0x2118, v131
	s_waitcnt lgkmcnt(13)
	v_ashrrev_i32_e32 v156, s22, v18
	v_ashrrev_i32_e32 v157, s22, v19
	s_waitcnt lgkmcnt(12)
	v_ashrrev_i32_e32 v158, s22, v16
	v_ashrrev_i32_e32 v159, s22, v17
	s_waitcnt lgkmcnt(9)
	v_ashrrev_i32_e32 v160, s19, v133
	v_and_b32_e32 v172, 0x3030303, v156
	v_ashrrev_i32_e32 v161, s19, v134
	v_bfe_u32 v156, v156, 24, 2
	ds_read2_b32 v[16:17], v132 offset0:4 offset1:5
	ds_read2_b32 v[150:151], v20 offset1:1
	ds_read2_b32 v[18:19], v132 offset1:1
	v_lshlrev_b32_e32 v160, 2, v160
	v_lshrrev_b16 v173, 8, v172
	v_lshlrev_b32_e32 v161, 2, v161
	s_waitcnt lgkmcnt(11)
	v_ashrrev_i32_e32 v162, s19, v135
	v_add3_u32 v20, s24, v123, v124
	v_and_b32_e32 v160, 0x4040404, v160
	v_ashrrev_i32_e32 v163, s19, v136
	v_and_b32_e32 v161, 0x4040404, v161
	v_lshlrev_b32_e32 v162, 2, v162
	s_waitcnt lgkmcnt(10)
	v_ashrrev_i32_e32 v144, s19, v138
	v_lshrrev_b16 v174, 8, v160
	s_waitcnt lgkmcnt(9)
	v_ashrrev_i32_e32 v143, s19, v139
	v_lshrrev_b16 v176, 8, v161
	v_and_b32_e32 v162, 0x4040404, v162
	v_ashrrev_i32_e32 v142, s19, v140
	v_sub_nc_u16 v173, v173, v174
	v_lshrrev_b32_e32 v174, 24, v160
	s_waitcnt lgkmcnt(8)
	v_ashrrev_i32_e32 v139, s19, v146
	v_lshrrev_b16 v178, 8, v162
	s_waitcnt lgkmcnt(0)
	v_ashrrev_i32_e32 v141, s19, v18
	v_add_nc_u32_e32 v18, 0x3180, v131
	v_sub_nc_u16 v156, v156, v174
	v_lshrrev_b32_e32 v174, 16, v172
	v_sub_nc_u16 v172, v172, v160
	v_lshrrev_b32_e32 v160, 16, v160
	v_ashrrev_i32_e32 v140, s19, v19
	v_ashrrev_i32_e32 v138, s19, v147
	ds_read2_b32 v[146:147], v18 offset1:1
	ds_read2_b32 v[18:19], v20 offset1:1
	v_lshlrev_b32_e32 v163, 2, v163
	v_sub_nc_u16 v160, v174, v160
	v_and_b32_e32 v174, 0x3030303, v157
	v_bfe_u32 v157, v157, 24, 2
	v_ashrrev_i32_e32 v145, s19, v137
	v_and_b32_e32 v163, 0x4040404, v163
	v_ashrrev_i32_e32 v164, s22, v148
	v_lshrrev_b16 v175, 8, v174
	v_add_nc_u32_e32 v148, 0x1088, v131
	v_lshlrev_b32_e32 v145, 2, v145
	v_lshrrev_b16 v180, 8, v163
	v_ashrrev_i32_e32 v165, s22, v149
	v_sub_nc_u16 v175, v175, v176
	v_lshrrev_b32_e32 v176, 24, v161
	v_and_b32_e32 v145, 0x4040404, v145
	v_lshlrev_b32_e32 v144, 2, v144
	v_lshlrev_b32_e32 v143, 2, v143
	;; [unrolled: 1-line block ×3, first 2 shown]
	v_sub_nc_u16 v157, v157, v176
	v_lshrrev_b32_e32 v176, 16, v174
	v_sub_nc_u16 v174, v174, v161
	v_lshrrev_b32_e32 v161, 16, v161
	s_waitcnt lgkmcnt(0)
	v_ashrrev_i32_e32 v137, s19, v18
	v_ashrrev_i32_e32 v135, s19, v19
	ds_read2_b32 v[133:134], v20 offset0:2 offset1:3
	ds_read2_b32 v[18:19], v20 offset0:4 offset1:5
	;; [unrolled: 1-line block ×3, first 2 shown]
	v_lshrrev_b16 v182, 8, v145
	v_sub_nc_u16 v161, v176, v161
	v_and_b32_e32 v176, 0x3030303, v158
	v_bfe_u32 v158, v158, 24, 2
	ds_read2_b32 v[148:149], v148 offset1:1
	v_and_b32_e32 v144, 0x4040404, v144
	v_and_b32_e32 v143, 0x4040404, v143
	v_lshrrev_b16 v177, 8, v176
	v_and_b32_e32 v142, 0x4040404, v142
	v_ashrrev_i32_e32 v168, s22, v150
	v_lshrrev_b16 v184, 8, v144
	v_lshrrev_b16 v186, 8, v143
	v_sub_nc_u16 v177, v177, v178
	v_lshrrev_b32_e32 v178, 24, v162
	v_lshrrev_b16 v188, 8, v142
	v_lshlrev_b32_e32 v141, 2, v141
	v_add_nc_u32_e32 v150, 0x2110, v131
	s_waitcnt lgkmcnt(3)
	v_ashrrev_i32_e32 v136, s19, v133
	v_sub_nc_u16 v158, v158, v178
	v_lshrrev_b32_e32 v178, 16, v176
	v_sub_nc_u16 v176, v176, v162
	v_lshrrev_b32_e32 v162, 16, v162
	v_add3_u32 v133, s23, v125, v114
	v_and_b32_e32 v141, 0x4040404, v141
	s_waitcnt lgkmcnt(0)
	v_ashrrev_i32_e32 v166, s22, v148
	v_ashrrev_i32_e32 v167, s22, v149
	v_sub_nc_u16 v162, v178, v162
	v_and_b32_e32 v178, 0x3030303, v159
	v_bfe_u32 v159, v159, 24, 2
	ds_read_b32 v133, v133
	v_lshrrev_b16 v190, 8, v141
	v_add_nc_u32_e32 v148, 0x2108, v131
	v_lshrrev_b16 v179, 8, v178
	v_ashrrev_i32_e32 v169, s22, v151
	v_lshlrev_b32_e32 v140, 2, v140
	ds_read2_b32 v[148:149], v148 offset1:1
	ds_read2_b32 v[150:151], v150 offset1:1
	;; [unrolled: 1-line block ×3, first 2 shown]
	ds_read2_b32 v[154:155], v132 offset0:6 offset1:7
	v_sub_nc_u16 v179, v179, v180
	v_lshrrev_b32_e32 v180, 24, v163
	v_and_b32_e32 v140, 0x4040404, v140
	v_lshlrev_b32_e32 v139, 2, v139
	v_lshlrev_b32_e32 v138, 2, v138
	v_ashrrev_i32_e32 v170, s22, v146
	v_sub_nc_u16 v159, v159, v180
	v_lshrrev_b32_e32 v180, 16, v178
	v_sub_nc_u16 v178, v178, v163
	v_lshrrev_b32_e32 v163, 16, v163
	v_lshrrev_b16 v192, 8, v140
	v_and_b32_e32 v139, 0x4040404, v139
	v_and_b32_e32 v138, 0x4040404, v138
	v_lshlrev_b32_e32 v137, 2, v137
	v_sub_nc_u16 v163, v180, v163
	v_and_b32_e32 v180, 0x3030303, v164
	v_bfe_u32 v164, v164, 24, 2
	s_waitcnt lgkmcnt(3)
	v_ashrrev_i32_e32 v148, s22, v148
	v_lshrrev_b16 v194, 8, v139
	v_ashrrev_i32_e32 v149, s22, v149
	v_lshrrev_b16 v181, 8, v180
	v_lshrrev_b16 v196, 8, v138
	v_and_b32_e32 v137, 0x4040404, v137
	v_add3_u32 v132, s23, v121, v122
	v_add_nc_u32_e32 v146, 0x3188, v131
	v_sub_nc_u16 v181, v181, v182
	v_lshrrev_b32_e32 v182, 24, v145
	v_lshrrev_b16 v198, 8, v137
	ds_read_b32 v132, v132
	v_ashrrev_i32_e32 v171, s22, v147
	ds_read2_b32 v[146:147], v146 offset1:1
	v_sub_nc_u16 v164, v164, v182
	v_lshrrev_b32_e32 v182, 16, v180
	v_sub_nc_u16 v180, v180, v145
	v_lshrrev_b32_e32 v145, 16, v145
	v_lshlrev_b32_e32 v135, 2, v135
	v_lshlrev_b32_e32 v136, 2, v136
	v_ashrrev_i32_e32 v134, s19, v134
	v_lshlrev_b16 v156, 8, v156
	v_sub_nc_u16 v145, v182, v145
	v_and_b32_e32 v182, 0x3030303, v165
	v_bfe_u32 v165, v165, 24, 2
	v_and_b32_e32 v135, 0x4040404, v135
	v_and_b32_e32 v136, 0x4040404, v136
	v_lshlrev_b32_e32 v134, 2, v134
	v_lshrrev_b16 v183, 8, v182
	v_lshlrev_b16 v157, 8, v157
	v_lshrrev_b16 v200, 8, v135
	v_lshrrev_b16 v202, 8, v136
	v_and_b32_e32 v134, 0x4040404, v134
	v_sub_nc_u16 v183, v183, v184
	v_lshrrev_b32_e32 v184, 24, v144
	s_waitcnt lgkmcnt(0)
	v_ashrrev_i32_e32 v146, s22, v146
	v_ashrrev_i32_e32 v147, s22, v147
	v_lshrrev_b16 v204, 8, v134
	v_lshlrev_b16 v158, 8, v158
	v_sub_nc_u16 v165, v165, v184
	v_lshrrev_b32_e32 v184, 16, v182
	v_sub_nc_u16 v182, v182, v144
	v_lshrrev_b32_e32 v144, 16, v144
	v_lshlrev_b16 v159, 8, v159
	v_lshlrev_b16 v173, 8, v173
	v_or_b32_sdwa v156, v160, v156 dst_sel:WORD_1 dst_unused:UNUSED_PAD src0_sel:BYTE_0 src1_sel:DWORD
	v_lshlrev_b16 v160, 8, v175
	v_sub_nc_u16 v144, v184, v144
	v_and_b32_e32 v184, 0x3030303, v166
	v_bfe_u32 v166, v166, 24, 2
	v_or_b32_sdwa v157, v161, v157 dst_sel:WORD_1 dst_unused:UNUSED_PAD src0_sel:BYTE_0 src1_sel:DWORD
	v_lshlrev_b16 v161, 8, v177
	v_or_b32_sdwa v158, v162, v158 dst_sel:WORD_1 dst_unused:UNUSED_PAD src0_sel:BYTE_0 src1_sel:DWORD
	v_lshrrev_b16 v185, 8, v184
	v_lshlrev_b16 v162, 8, v179
	v_or_b32_sdwa v159, v163, v159 dst_sel:WORD_1 dst_unused:UNUSED_PAD src0_sel:BYTE_0 src1_sel:DWORD
	v_lshlrev_b16 v163, 8, v181
	v_lshlrev_b16 v164, 8, v164
	v_sub_nc_u16 v185, v185, v186
	v_lshrrev_b32_e32 v186, 24, v143
	v_or_b32_sdwa v172, v172, v173 dst_sel:DWORD dst_unused:UNUSED_PAD src0_sel:BYTE_0 src1_sel:DWORD
	v_or_b32_sdwa v160, v174, v160 dst_sel:DWORD dst_unused:UNUSED_PAD src0_sel:BYTE_0 src1_sel:DWORD
	v_or_b32_sdwa v161, v176, v161 dst_sel:DWORD dst_unused:UNUSED_PAD src0_sel:BYTE_0 src1_sel:DWORD
	v_or_b32_sdwa v162, v178, v162 dst_sel:DWORD dst_unused:UNUSED_PAD src0_sel:BYTE_0 src1_sel:DWORD
	v_sub_nc_u16 v166, v166, v186
	v_lshrrev_b32_e32 v186, 16, v184
	v_sub_nc_u16 v184, v184, v143
	v_lshrrev_b32_e32 v143, 16, v143
	v_or_b32_sdwa v163, v180, v163 dst_sel:DWORD dst_unused:UNUSED_PAD src0_sel:BYTE_0 src1_sel:DWORD
	v_or_b32_sdwa v145, v145, v164 dst_sel:WORD_1 dst_unused:UNUSED_PAD src0_sel:BYTE_0 src1_sel:DWORD
	v_lshlrev_b16 v164, 8, v183
	v_lshlrev_b16 v165, 8, v165
	v_sub_nc_u16 v143, v186, v143
	v_and_b32_e32 v186, 0x3030303, v167
	v_bfe_u32 v167, v167, 24, 2
	v_or_b32_sdwa v145, v163, v145 dst_sel:DWORD dst_unused:UNUSED_PAD src0_sel:WORD_0 src1_sel:DWORD
	v_or_b32_sdwa v164, v182, v164 dst_sel:DWORD dst_unused:UNUSED_PAD src0_sel:BYTE_0 src1_sel:DWORD
	v_or_b32_sdwa v144, v144, v165 dst_sel:WORD_1 dst_unused:UNUSED_PAD src0_sel:BYTE_0 src1_sel:DWORD
	v_lshrrev_b16 v187, 8, v186
	v_ashrrev_i32_e32 v10, s19, v10
	v_ashrrev_i32_e32 v11, s19, v11
	v_lshlrev_b16 v165, 8, v185
	v_or_b32_sdwa v144, v164, v144 dst_sel:DWORD dst_unused:UNUSED_PAD src0_sel:WORD_0 src1_sel:DWORD
	v_sub_nc_u16 v187, v187, v188
	v_lshrrev_b32_e32 v188, 24, v142
	v_mov_b32_e32 v164, 0
	v_lshlrev_b32_e32 v10, 2, v10
	v_lshlrev_b32_e32 v11, 2, v11
	v_lshlrev_b16 v166, 8, v166
	v_sub_nc_u16 v167, v167, v188
	v_lshrrev_b32_e32 v188, 16, v186
	v_sub_nc_u16 v186, v186, v142
	v_lshrrev_b32_e32 v142, 16, v142
	v_and_b32_e32 v10, 0x4040404, v10
	v_lshlrev_b16 v167, 8, v167
	v_and_b32_e32 v11, 0x4040404, v11
	v_or_b32_sdwa v165, v184, v165 dst_sel:DWORD dst_unused:UNUSED_PAD src0_sel:BYTE_0 src1_sel:DWORD
	v_sub_nc_u16 v142, v188, v142
	v_and_b32_e32 v188, 0x3030303, v168
	v_bfe_u32 v168, v168, 24, 2
	v_or_b32_sdwa v143, v143, v166 dst_sel:WORD_1 dst_unused:UNUSED_PAD src0_sel:BYTE_0 src1_sel:DWORD
	v_ashrrev_i32_e32 v12, s19, v12
	v_or_b32_sdwa v142, v142, v167 dst_sel:WORD_1 dst_unused:UNUSED_PAD src0_sel:BYTE_0 src1_sel:DWORD
	v_lshrrev_b16 v189, 8, v188
	s_and_b32 s24, s1, -16
	v_or_b32_sdwa v143, v165, v143 dst_sel:DWORD dst_unused:UNUSED_PAD src0_sel:WORD_0 src1_sel:DWORD
	v_lshlrev_b32_e32 v12, 2, v12
	s_add_i32 s21, s21, s24
	v_sub_nc_u16 v189, v189, v190
	v_lshrrev_b32_e32 v190, 24, v141
	v_lshlrev_b16 v166, 8, v187
	v_and_b32_e32 v12, 0x4040404, v12
	v_ashrrev_i32_e32 v13, s19, v13
	v_lshlrev_b16 v167, 8, v189
	v_sub_nc_u16 v168, v168, v190
	v_lshrrev_b32_e32 v190, 16, v188
	v_sub_nc_u16 v188, v188, v141
	v_lshrrev_b32_e32 v141, 16, v141
	v_or_b32_sdwa v166, v186, v166 dst_sel:DWORD dst_unused:UNUSED_PAD src0_sel:BYTE_0 src1_sel:DWORD
	v_lshlrev_b16 v168, 8, v168
	v_lshrrev_b16 v165, 8, v12
	v_or_b32_sdwa v167, v188, v167 dst_sel:DWORD dst_unused:UNUSED_PAD src0_sel:BYTE_0 src1_sel:DWORD
	v_sub_nc_u16 v141, v190, v141
	v_and_b32_e32 v190, 0x3030303, v169
	v_bfe_u32 v169, v169, 24, 2
	v_or_b32_sdwa v142, v166, v142 dst_sel:DWORD dst_unused:UNUSED_PAD src0_sel:WORD_0 src1_sel:DWORD
	v_lshlrev_b32_e32 v13, 2, v13
	v_or_b32_sdwa v141, v141, v168 dst_sel:WORD_1 dst_unused:UNUSED_PAD src0_sel:BYTE_0 src1_sel:DWORD
	v_lshrrev_b16 v191, 8, v190
	v_ashrrev_i32_e32 v14, s19, v14
	v_ashrrev_i32_e32 v15, s19, v15
	v_and_b32_e32 v13, 0x4040404, v13
	v_ashrrev_i32_e32 v16, s19, v16
	v_sub_nc_u16 v191, v191, v192
	v_lshrrev_b32_e32 v192, 24, v140
	v_lshlrev_b32_e32 v14, 2, v14
	v_lshlrev_b32_e32 v15, 2, v15
	v_ashrrev_i32_e32 v150, s22, v150
	v_lshlrev_b16 v168, 8, v191
	v_sub_nc_u16 v169, v169, v192
	v_lshrrev_b32_e32 v192, 16, v190
	v_sub_nc_u16 v190, v190, v140
	v_lshrrev_b32_e32 v140, 16, v140
	v_and_b32_e32 v14, 0x4040404, v14
	v_lshlrev_b16 v169, 8, v169
	v_and_b32_e32 v15, 0x4040404, v15
	v_or_b32_sdwa v168, v190, v168 dst_sel:DWORD dst_unused:UNUSED_PAD src0_sel:BYTE_0 src1_sel:DWORD
	v_sub_nc_u16 v140, v192, v140
	v_and_b32_e32 v192, 0x3030303, v148
	v_bfe_u32 v148, v148, 24, 2
	v_lshlrev_b32_e32 v16, 2, v16
	v_ashrrev_i32_e32 v17, s19, v17
	v_or_b32_sdwa v140, v140, v169 dst_sel:WORD_1 dst_unused:UNUSED_PAD src0_sel:BYTE_0 src1_sel:DWORD
	v_lshrrev_b16 v193, 8, v192
	v_ashrrev_i32_e32 v151, s22, v151
	v_and_b32_e32 v16, 0x4040404, v16
	v_lshlrev_b32_e32 v17, 2, v17
	v_ashrrev_i32_e32 v18, s19, v18
	v_sub_nc_u16 v193, v193, v194
	v_lshrrev_b32_e32 v194, 24, v139
	v_lshrrev_b16 v173, 8, v16
	v_and_b32_e32 v17, 0x4040404, v17
	v_lshlrev_b32_e32 v18, 2, v18
	v_lshlrev_b16 v169, 8, v193
	v_sub_nc_u16 v148, v148, v194
	v_lshrrev_b32_e32 v194, 16, v192
	v_sub_nc_u16 v192, v192, v139
	v_lshrrev_b32_e32 v139, 16, v139
	v_lshrrev_b16 v175, 8, v17
	v_lshlrev_b16 v148, 8, v148
	v_and_b32_e32 v18, 0x4040404, v18
	v_or_b32_sdwa v169, v192, v169 dst_sel:DWORD dst_unused:UNUSED_PAD src0_sel:BYTE_0 src1_sel:DWORD
	v_sub_nc_u16 v139, v194, v139
	v_and_b32_e32 v194, 0x3030303, v149
	v_bfe_u32 v149, v149, 24, 2
	v_lshrrev_b16 v177, 8, v18
	v_ashrrev_i32_e32 v19, s19, v19
	v_or_b32_sdwa v139, v139, v148 dst_sel:WORD_1 dst_unused:UNUSED_PAD src0_sel:BYTE_0 src1_sel:DWORD
	v_lshrrev_b16 v195, 8, v194
	v_ashrrev_i32_e32 v8, s19, v8
	v_ashrrev_i32_e32 v9, s19, v9
	v_lshlrev_b32_e32 v19, 2, v19
	v_ashrrev_i32_e32 v152, s22, v152
	v_sub_nc_u16 v195, v195, v196
	v_lshrrev_b32_e32 v196, 24, v138
	v_lshlrev_b32_e32 v8, 2, v8
	v_and_b32_e32 v19, 0x4040404, v19
	v_lshlrev_b32_e32 v9, 2, v9
	v_lshlrev_b16 v148, 8, v195
	v_sub_nc_u16 v149, v149, v196
	v_lshrrev_b32_e32 v196, 16, v194
	v_sub_nc_u16 v194, v194, v138
	v_lshrrev_b32_e32 v138, 16, v138
	v_lshrrev_b16 v179, 8, v19
	v_lshlrev_b16 v149, 8, v149
	v_and_b32_e32 v8, 0x4040404, v8
	v_or_b32_sdwa v148, v194, v148 dst_sel:DWORD dst_unused:UNUSED_PAD src0_sel:BYTE_0 src1_sel:DWORD
	v_sub_nc_u16 v138, v196, v138
	v_and_b32_e32 v196, 0x3030303, v170
	v_bfe_u32 v170, v170, 24, 2
	v_lshrrev_b16 v181, 8, v8
	v_and_b32_e32 v9, 0x4040404, v9
	v_or_b32_sdwa v138, v138, v149 dst_sel:WORD_1 dst_unused:UNUSED_PAD src0_sel:BYTE_0 src1_sel:DWORD
	v_lshrrev_b16 v197, 8, v196
	v_ashrrev_i32_e32 v153, s22, v153
	v_ashrrev_i32_e32 v20, s19, v20
	v_lshrrev_b16 v183, 8, v9
	v_or_b32_sdwa v148, v148, v138 dst_sel:DWORD dst_unused:UNUSED_PAD src0_sel:WORD_0 src1_sel:DWORD
	v_sub_nc_u16 v197, v197, v198
	v_lshrrev_b32_e32 v198, 24, v137
	v_lshlrev_b32_e32 v20, 2, v20
	v_ashrrev_i32_e32 v21, s19, v21
	s_add_i32 s1, s1, 2
	v_lshlrev_b16 v149, 8, v197
	v_sub_nc_u16 v170, v170, v198
	v_lshrrev_b32_e32 v198, 16, v196
	v_sub_nc_u16 v196, v196, v137
	v_lshrrev_b32_e32 v137, 16, v137
	v_and_b32_e32 v20, 0x4040404, v20
	v_lshlrev_b16 v170, 8, v170
	v_lshlrev_b32_e32 v21, 2, v21
	v_or_b32_sdwa v149, v196, v149 dst_sel:DWORD dst_unused:UNUSED_PAD src0_sel:BYTE_0 src1_sel:DWORD
	v_sub_nc_u16 v137, v198, v137
	v_and_b32_e32 v198, 0x3030303, v171
	v_bfe_u32 v171, v171, 24, 2
	v_lshrrev_b16 v189, 8, v20
	v_and_b32_e32 v21, 0x4040404, v21
	v_or_b32_sdwa v137, v137, v170 dst_sel:WORD_1 dst_unused:UNUSED_PAD src0_sel:BYTE_0 src1_sel:DWORD
	v_lshrrev_b16 v199, 8, v198
	v_lshrrev_b16 v191, 8, v21
	v_or_b32_sdwa v149, v149, v137 dst_sel:DWORD dst_unused:UNUSED_PAD src0_sel:WORD_0 src1_sel:DWORD
	v_sub_nc_u16 v199, v199, v200
	v_lshrrev_b32_e32 v200, 24, v135
	v_lshlrev_b16 v170, 8, v199
	v_sub_nc_u16 v171, v171, v200
	v_lshrrev_b32_e32 v200, 16, v198
	v_sub_nc_u16 v198, v198, v135
	v_lshrrev_b32_e32 v135, 16, v135
	v_lshlrev_b16 v171, 8, v171
	v_or_b32_sdwa v170, v198, v170 dst_sel:DWORD dst_unused:UNUSED_PAD src0_sel:BYTE_0 src1_sel:DWORD
	v_sub_nc_u16 v135, v200, v135
	v_and_b32_e32 v200, 0x3030303, v146
	v_bfe_u32 v146, v146, 24, 2
	v_or_b32_sdwa v135, v135, v171 dst_sel:WORD_1 dst_unused:UNUSED_PAD src0_sel:BYTE_0 src1_sel:DWORD
	v_lshrrev_b16 v201, 8, v200
	v_sub_nc_u16 v201, v201, v202
	v_lshrrev_b32_e32 v202, 24, v136
	v_lshlrev_b16 v171, 8, v201
	v_sub_nc_u16 v146, v146, v202
	v_lshrrev_b32_e32 v202, 16, v200
	v_sub_nc_u16 v200, v200, v136
	v_lshrrev_b32_e32 v136, 16, v136
	v_lshlrev_b16 v146, 8, v146
	v_or_b32_sdwa v171, v200, v171 dst_sel:DWORD dst_unused:UNUSED_PAD src0_sel:BYTE_0 src1_sel:DWORD
	v_sub_nc_u16 v136, v202, v136
	v_and_b32_e32 v202, 0x3030303, v147
	v_bfe_u32 v147, v147, 24, 2
	v_or_b32_sdwa v136, v136, v146 dst_sel:WORD_1 dst_unused:UNUSED_PAD src0_sel:BYTE_0 src1_sel:DWORD
	v_lshrrev_b16 v203, 8, v202
	v_or_b32_sdwa v163, v171, v136 dst_sel:DWORD dst_unused:UNUSED_PAD src0_sel:WORD_0 src1_sel:DWORD
	v_sub_nc_u16 v203, v203, v204
	v_lshrrev_b32_e32 v204, 24, v134
	v_lshrrev_b16 v171, 8, v15
	v_lshlrev_b16 v146, 8, v203
	v_sub_nc_u16 v147, v147, v204
	v_lshrrev_b32_e32 v204, 16, v202
	v_sub_nc_u16 v202, v202, v134
	v_lshrrev_b32_e32 v134, 16, v134
	v_lshlrev_b16 v147, 8, v147
	v_or_b32_sdwa v146, v202, v146 dst_sel:DWORD dst_unused:UNUSED_PAD src0_sel:BYTE_0 src1_sel:DWORD
	v_sub_nc_u16 v134, v204, v134
	v_or_b32_sdwa v134, v134, v147 dst_sel:WORD_1 dst_unused:UNUSED_PAD src0_sel:BYTE_0 src1_sel:DWORD
	v_or_b32_sdwa v147, v172, v156 dst_sel:DWORD dst_unused:UNUSED_PAD src0_sel:WORD_0 src1_sel:DWORD
	v_or_b32_sdwa v156, v160, v157 dst_sel:DWORD dst_unused:UNUSED_PAD src0_sel:WORD_0 src1_sel:DWORD
	;; [unrolled: 1-line block ×9, first 2 shown]
	ds_read_b128 v[134:137], v129
	ds_read_b128 v[138:141], v129 offset:16
	v_lshrrev_b16 v167, 8, v13
	v_lshrrev_b16 v169, 8, v14
	v_add_nc_u32_e32 v129, 32, v129
	s_waitcnt lgkmcnt(1)
	v_dot4c_i32_i8 v164, v147, v134
	v_mov_b32_e32 v147, 0
	v_dot4c_i32_i8 v164, v156, v135
	v_dot4c_i32_i8 v147, v145, v134
	v_mov_b32_e32 v145, 0
	v_dot4c_i32_i8 v164, v157, v136
	v_dot4c_i32_i8 v147, v144, v135
	;; [unrolled: 1-line block ×3, first 2 shown]
	v_mov_b32_e32 v159, 0
	v_dot4c_i32_i8 v164, v158, v137
	v_dot4c_i32_i8 v147, v143, v136
	;; [unrolled: 1-line block ×4, first 2 shown]
	v_ashrrev_i32_e32 v134, s22, v4
	v_lshrrev_b16 v160, 8, v10
	v_add_nc_u32_e32 v4, s21, v93
	v_dot4c_i32_i8 v145, v161, v136
	v_dot4c_i32_i8 v159, v162, v135
	v_and_b32_e32 v157, 0x3030303, v134
	v_bfe_u32 v134, v134, 24, 2
	v_ashrrev_i32_e32 v135, s22, v5
	v_lshrrev_b16 v162, 8, v11
	v_dot4c_i32_i8 v159, v163, v136
	v_lshrrev_b16 v158, 8, v157
	v_ashrrev_i32_e32 v136, s22, v6
	ds_read_u16 v144, v4 offset:26370
	v_add3_u32 v4, s23, v117, v118
	v_dot4c_i32_i8 v159, v146, v137
	v_sub_nc_u16 v158, v158, v160
	v_lshrrev_b32_e32 v160, 24, v10
	v_add_nc_u32_e32 v6, 0x1098, v131
	ds_read_b32 v146, v4
	v_add_nc_u32_e32 v4, 0x1090, v131
	v_dot4c_i32_i8 v147, v142, v137
	v_sub_nc_u16 v134, v134, v160
	v_lshrrev_b32_e32 v160, 16, v157
	v_sub_nc_u16 v157, v157, v10
	v_lshrrev_b32_e32 v10, 16, v10
	v_dot4c_i32_i8 v145, v148, v137
	v_ashrrev_i32_e32 v137, s22, v7
	ds_read2_b32 v[4:5], v4 offset1:1
	ds_read2_b32 v[6:7], v6 offset1:1
	v_ashrrev_i32_e32 v142, s19, v154
	v_sub_nc_u16 v10, v160, v10
	v_and_b32_e32 v160, 0x3030303, v135
	v_bfe_u32 v135, v135, 24, 2
	v_ashrrev_i32_e32 v143, s19, v155
	v_lshlrev_b32_e32 v142, 2, v142
	v_lshlrev_b16 v158, 8, v158
	v_lshrrev_b16 v161, 8, v160
	v_lshlrev_b16 v134, 8, v134
	v_lshlrev_b32_e32 v143, 2, v143
	v_and_b32_e32 v142, 0x4040404, v142
	v_or_b32_sdwa v157, v157, v158 dst_sel:DWORD dst_unused:UNUSED_PAD src0_sel:BYTE_0 src1_sel:DWORD
	v_sub_nc_u16 v161, v161, v162
	v_lshrrev_b32_e32 v162, 24, v11
	v_and_b32_e32 v143, 0x4040404, v143
	v_lshrrev_b16 v185, 8, v142
	v_or_b32_sdwa v10, v10, v134 dst_sel:WORD_1 dst_unused:UNUSED_PAD src0_sel:BYTE_0 src1_sel:DWORD
	v_lshlrev_b16 v134, 8, v161
	v_sub_nc_u16 v135, v135, v162
	v_lshrrev_b32_e32 v162, 16, v160
	v_sub_nc_u16 v160, v160, v11
	v_lshrrev_b32_e32 v11, 16, v11
	s_waitcnt lgkmcnt(1)
	v_ashrrev_i32_e32 v148, s22, v4
	v_ashrrev_i32_e32 v149, s22, v5
	v_add_nc_u32_e32 v5, s21, v91
	s_waitcnt lgkmcnt(0)
	v_ashrrev_i32_e32 v154, s22, v6
	v_sub_nc_u16 v11, v162, v11
	v_and_b32_e32 v162, 0x3030303, v136
	v_bfe_u32 v136, v136, 24, 2
	v_add_nc_u32_e32 v4, 0x3190, v131
	v_add_nc_u32_e32 v6, 0x3198, v131
	ds_read_u16 v131, v5 offset:28418
	v_lshrrev_b16 v163, 8, v162
	v_add3_u32 v5, s23, v126, v127
	v_ashrrev_i32_e32 v155, s22, v7
	ds_read_b32 v156, v5
	ds_read2_b32 v[4:5], v4 offset1:1
	ds_read2_b32 v[6:7], v6 offset1:1
	v_sub_nc_u16 v163, v163, v165
	v_lshrrev_b32_e32 v165, 24, v12
	v_lshrrev_b16 v187, 8, v143
	v_or_b32_sdwa v10, v157, v10 dst_sel:DWORD dst_unused:UNUSED_PAD src0_sel:WORD_0 src1_sel:DWORD
	v_lshlrev_b16 v135, 8, v135
	v_or_b32_sdwa v134, v160, v134 dst_sel:DWORD dst_unused:UNUSED_PAD src0_sel:BYTE_0 src1_sel:DWORD
	v_sub_nc_u16 v136, v136, v165
	v_lshrrev_b32_e32 v165, 16, v162
	v_sub_nc_u16 v162, v162, v12
	v_lshrrev_b32_e32 v12, 16, v12
	v_or_b32_sdwa v11, v11, v135 dst_sel:WORD_1 dst_unused:UNUSED_PAD src0_sel:BYTE_0 src1_sel:DWORD
	v_lshlrev_b16 v135, 8, v163
	v_lshlrev_b16 v136, 8, v136
	s_add_i32 s19, s19, 1
	v_sub_nc_u16 v12, v165, v12
	v_and_b32_e32 v165, 0x3030303, v137
	v_bfe_u32 v137, v137, 24, 2
	v_or_b32_sdwa v11, v134, v11 dst_sel:DWORD dst_unused:UNUSED_PAD src0_sel:WORD_0 src1_sel:DWORD
	s_waitcnt lgkmcnt(1)
	v_ashrrev_i32_e32 v4, s22, v4
	v_ashrrev_i32_e32 v5, s22, v5
	v_lshrrev_b16 v166, 8, v165
	s_waitcnt lgkmcnt(0)
	v_ashrrev_i32_e32 v6, s22, v6
	v_ashrrev_i32_e32 v7, s22, v7
	v_mov_b32_e32 v134, 0
	v_or_b32_sdwa v135, v162, v135 dst_sel:DWORD dst_unused:UNUSED_PAD src0_sel:BYTE_0 src1_sel:DWORD
	v_sub_nc_u16 v166, v166, v167
	v_lshrrev_b32_e32 v167, 24, v13
	v_or_b32_sdwa v12, v12, v136 dst_sel:WORD_1 dst_unused:UNUSED_PAD src0_sel:BYTE_0 src1_sel:DWORD
	s_cmp_lt_u32 s20, 14
	v_lshlrev_b16 v136, 8, v166
	v_sub_nc_u16 v137, v137, v167
	v_lshrrev_b32_e32 v167, 16, v165
	v_sub_nc_u16 v165, v165, v13
	v_lshrrev_b32_e32 v13, 16, v13
	v_or_b32_sdwa v12, v135, v12 dst_sel:DWORD dst_unused:UNUSED_PAD src0_sel:WORD_0 src1_sel:DWORD
	v_lshlrev_b16 v137, 8, v137
	v_or_b32_sdwa v136, v165, v136 dst_sel:DWORD dst_unused:UNUSED_PAD src0_sel:BYTE_0 src1_sel:DWORD
	v_sub_nc_u16 v13, v167, v13
	v_and_b32_e32 v167, 0x3030303, v148
	v_bfe_u32 v148, v148, 24, 2
	v_or_b32_sdwa v13, v13, v137 dst_sel:WORD_1 dst_unused:UNUSED_PAD src0_sel:BYTE_0 src1_sel:DWORD
	v_lshrrev_b16 v168, 8, v167
	v_or_b32_sdwa v13, v136, v13 dst_sel:DWORD dst_unused:UNUSED_PAD src0_sel:WORD_0 src1_sel:DWORD
	v_sub_nc_u16 v168, v168, v169
	v_lshrrev_b32_e32 v169, 24, v14
	v_lshlrev_b16 v137, 8, v168
	v_sub_nc_u16 v148, v148, v169
	v_lshrrev_b32_e32 v169, 16, v167
	v_sub_nc_u16 v167, v167, v14
	v_lshrrev_b32_e32 v14, 16, v14
	v_lshlrev_b16 v148, 8, v148
	v_or_b32_sdwa v137, v167, v137 dst_sel:DWORD dst_unused:UNUSED_PAD src0_sel:BYTE_0 src1_sel:DWORD
	v_sub_nc_u16 v14, v169, v14
	v_and_b32_e32 v169, 0x3030303, v149
	v_bfe_u32 v149, v149, 24, 2
	v_or_b32_sdwa v14, v14, v148 dst_sel:WORD_1 dst_unused:UNUSED_PAD src0_sel:BYTE_0 src1_sel:DWORD
	v_lshrrev_b16 v170, 8, v169
	v_or_b32_sdwa v14, v137, v14 dst_sel:DWORD dst_unused:UNUSED_PAD src0_sel:WORD_0 src1_sel:DWORD
	v_sub_nc_u16 v170, v170, v171
	v_lshrrev_b32_e32 v171, 24, v15
	v_lshlrev_b16 v148, 8, v170
	v_sub_nc_u16 v149, v149, v171
	v_lshrrev_b32_e32 v171, 16, v169
	v_sub_nc_u16 v169, v169, v15
	v_lshrrev_b32_e32 v15, 16, v15
	;; [unrolled: 15-line block ×3, first 2 shown]
	v_lshlrev_b16 v150, 8, v150
	v_or_b32_sdwa v149, v171, v149 dst_sel:DWORD dst_unused:UNUSED_PAD src0_sel:BYTE_0 src1_sel:DWORD
	v_sub_nc_u16 v16, v173, v16
	v_and_b32_e32 v173, 0x3030303, v151
	v_bfe_u32 v151, v151, 24, 2
	v_or_b32_sdwa v16, v16, v150 dst_sel:WORD_1 dst_unused:UNUSED_PAD src0_sel:BYTE_0 src1_sel:DWORD
	v_lshrrev_b16 v174, 8, v173
	v_or_b32_sdwa v16, v149, v16 dst_sel:DWORD dst_unused:UNUSED_PAD src0_sel:WORD_0 src1_sel:DWORD
	v_sub_nc_u16 v174, v174, v175
	v_lshrrev_b32_e32 v175, 24, v17
	v_dot4c_i32_i8 v134, v16, v138
	v_lshlrev_b16 v150, 8, v174
	v_sub_nc_u16 v151, v151, v175
	v_lshrrev_b32_e32 v175, 16, v173
	v_sub_nc_u16 v173, v173, v17
	v_lshrrev_b32_e32 v17, 16, v17
	v_lshlrev_b16 v151, 8, v151
	v_or_b32_sdwa v150, v173, v150 dst_sel:DWORD dst_unused:UNUSED_PAD src0_sel:BYTE_0 src1_sel:DWORD
	v_sub_nc_u16 v17, v175, v17
	v_and_b32_e32 v175, 0x3030303, v4
	v_bfe_u32 v4, v4, 24, 2
	v_or_b32_sdwa v17, v17, v151 dst_sel:WORD_1 dst_unused:UNUSED_PAD src0_sel:BYTE_0 src1_sel:DWORD
	v_lshrrev_b16 v176, 8, v175
	v_or_b32_sdwa v17, v150, v17 dst_sel:DWORD dst_unused:UNUSED_PAD src0_sel:WORD_0 src1_sel:DWORD
	v_sub_nc_u16 v176, v176, v177
	v_lshrrev_b32_e32 v177, 24, v18
	v_dot4c_i32_i8 v134, v17, v139
	v_lshlrev_b16 v151, 8, v176
	v_sub_nc_u16 v4, v4, v177
	v_lshrrev_b32_e32 v177, 16, v175
	v_sub_nc_u16 v175, v175, v18
	v_lshrrev_b32_e32 v18, 16, v18
	v_lshlrev_b16 v4, 8, v4
	v_or_b32_sdwa v151, v175, v151 dst_sel:DWORD dst_unused:UNUSED_PAD src0_sel:BYTE_0 src1_sel:DWORD
	v_sub_nc_u16 v18, v177, v18
	v_and_b32_e32 v177, 0x3030303, v5
	v_bfe_u32 v5, v5, 24, 2
	v_or_b32_sdwa v4, v18, v4 dst_sel:WORD_1 dst_unused:UNUSED_PAD src0_sel:BYTE_0 src1_sel:DWORD
	v_lshrrev_b16 v178, 8, v177
	v_or_b32_sdwa v4, v151, v4 dst_sel:DWORD dst_unused:UNUSED_PAD src0_sel:WORD_0 src1_sel:DWORD
	v_sub_nc_u16 v178, v178, v179
	v_lshrrev_b32_e32 v179, 24, v19
	v_lshlrev_b16 v18, 8, v178
	v_sub_nc_u16 v5, v5, v179
	v_lshrrev_b32_e32 v179, 16, v177
	v_sub_nc_u16 v177, v177, v19
	v_lshrrev_b32_e32 v19, 16, v19
	v_lshlrev_b16 v5, 8, v5
	v_or_b32_sdwa v18, v177, v18 dst_sel:DWORD dst_unused:UNUSED_PAD src0_sel:BYTE_0 src1_sel:DWORD
	v_sub_nc_u16 v19, v179, v19
	v_and_b32_e32 v179, 0x3030303, v154
	v_bfe_u32 v154, v154, 24, 2
	v_or_b32_sdwa v5, v19, v5 dst_sel:WORD_1 dst_unused:UNUSED_PAD src0_sel:BYTE_0 src1_sel:DWORD
	v_lshrrev_b16 v180, 8, v179
	v_or_b32_sdwa v5, v18, v5 dst_sel:DWORD dst_unused:UNUSED_PAD src0_sel:WORD_0 src1_sel:DWORD
	v_sub_nc_u16 v180, v180, v181
	v_lshrrev_b32_e32 v181, 24, v8
	;; [unrolled: 15-line block ×5, first 2 shown]
	v_dot4c_i32_i8 v134, v18, v140
	v_lshlrev_b16 v152, 8, v186
	v_sub_nc_u16 v153, v153, v187
	v_lshrrev_b32_e32 v187, 16, v185
	v_sub_nc_u16 v185, v185, v143
	v_lshrrev_b32_e32 v143, 16, v143
	v_lshlrev_b16 v153, 8, v153
	v_or_b32_sdwa v152, v185, v152 dst_sel:DWORD dst_unused:UNUSED_PAD src0_sel:BYTE_0 src1_sel:DWORD
	v_sub_nc_u16 v143, v187, v143
	v_and_b32_e32 v187, 0x3030303, v6
	v_bfe_u32 v6, v6, 24, 2
	v_or_b32_sdwa v143, v143, v153 dst_sel:WORD_1 dst_unused:UNUSED_PAD src0_sel:BYTE_0 src1_sel:DWORD
	v_lshrrev_b16 v188, 8, v187
	v_or_b32_sdwa v19, v152, v143 dst_sel:DWORD dst_unused:UNUSED_PAD src0_sel:WORD_0 src1_sel:DWORD
	v_sub_nc_u16 v188, v188, v189
	v_lshrrev_b32_e32 v189, 24, v20
	v_dot4c_i32_i8 v134, v19, v141
	v_lshlrev_b16 v153, 8, v188
	v_sub_nc_u16 v6, v6, v189
	v_lshrrev_b32_e32 v189, 16, v187
	v_sub_nc_u16 v187, v187, v20
	v_lshrrev_b32_e32 v20, 16, v20
	v_lshlrev_b16 v6, 8, v6
	v_or_b32_sdwa v153, v187, v153 dst_sel:DWORD dst_unused:UNUSED_PAD src0_sel:BYTE_0 src1_sel:DWORD
	v_sub_nc_u16 v20, v189, v20
	v_and_b32_e32 v189, 0x3030303, v7
	v_bfe_u32 v7, v7, 24, 2
	v_or_b32_sdwa v6, v20, v6 dst_sel:WORD_1 dst_unused:UNUSED_PAD src0_sel:BYTE_0 src1_sel:DWORD
	v_lshrrev_b16 v190, 8, v189
	v_or_b32_sdwa v6, v153, v6 dst_sel:DWORD dst_unused:UNUSED_PAD src0_sel:WORD_0 src1_sel:DWORD
	v_sub_nc_u16 v190, v190, v191
	v_lshrrev_b32_e32 v191, 24, v21
	v_lshlrev_b16 v20, 8, v190
	v_sub_nc_u16 v7, v7, v191
	v_lshrrev_b32_e32 v191, 16, v189
	v_sub_nc_u16 v189, v189, v21
	v_lshrrev_b32_e32 v21, 16, v21
	v_lshlrev_b16 v7, 8, v7
	v_or_b32_sdwa v20, v189, v20 dst_sel:DWORD dst_unused:UNUSED_PAD src0_sel:BYTE_0 src1_sel:DWORD
	v_sub_nc_u16 v21, v191, v21
	v_or_b32_sdwa v7, v21, v7 dst_sel:WORD_1 dst_unused:UNUSED_PAD src0_sel:BYTE_0 src1_sel:DWORD
	v_mov_b32_e32 v21, 0
	v_or_b32_sdwa v7, v20, v7 dst_sel:DWORD dst_unused:UNUSED_PAD src0_sel:WORD_0 src1_sel:DWORD
	v_mov_b32_e32 v20, 0
	v_dot4c_i32_i8 v21, v10, v138
	v_add_nc_u32_e32 v10, s21, v94
	v_dot4c_i32_i8 v20, v14, v138
	v_mov_b32_e32 v14, 0
	v_dot4c_i32_i8 v21, v11, v139
	v_dot4c_i32_i8 v20, v15, v139
	;; [unrolled: 1-line block ×3, first 2 shown]
	v_add_nc_u32_e32 v4, s21, v92
	ds_read_u16 v10, v10 offset:25346
	ds_read_u16 v4, v4 offset:27394
	v_dot4c_i32_i8 v14, v5, v139
	v_bfe_i32 v5, v144, 0, 8
	v_dot4c_i32_i8 v21, v12, v140
	v_lshrrev_b16 v12, 8, v131
	v_bfe_i32 v131, v131, 0, 8
	v_dot4c_i32_i8 v14, v6, v140
	v_mul_lo_u32 v5, v147, v5
	v_dot4c_i32_i8 v20, v8, v140
	v_dot4c_i32_i8 v21, v13, v141
	ds_read_b32 v16, v130
	v_dot4c_i32_i8 v14, v7, v141
	v_mul_lo_u32 v7, v159, v131
	v_dot4c_i32_i8 v20, v9, v141
	v_bfe_i32 v12, v12, 0, 8
	v_add_nc_u32_e32 v130, 4, v130
	s_mov_b32 s21, s20
	s_waitcnt lgkmcnt(2)
	v_lshrrev_b16 v11, 8, v10
	v_bfe_i32 v10, v10, 0, 8
	s_waitcnt lgkmcnt(1)
	v_lshrrev_b16 v15, 8, v4
	v_bfe_i32 v17, v4, 0, 8
	v_lshrrev_b16 v4, 8, v144
	v_bfe_i32 v11, v11, 0, 8
	v_bfe_i32 v15, v15, 0, 8
	v_mul_lo_u32 v6, v145, v17
	v_bfe_i32 v135, v4, 0, 8
	v_mul_lo_u32 v4, v164, v10
	v_mad_u64_u32 v[8:9], null, v21, v11, v[4:5]
	v_mad_u64_u32 v[9:10], null, v20, v135, v[5:6]
	;; [unrolled: 1-line block ×3, first 2 shown]
	s_waitcnt lgkmcnt(0)
	v_mul_f32_e32 v4, v16, v133
	v_mul_f32_e32 v5, v16, v146
	v_mad_u64_u32 v[11:12], null, v14, v12, v[7:8]
	v_mul_f32_e32 v6, v16, v132
	v_mul_f32_e32 v7, v16, v156
	v_cvt_f32_i32_e32 v8, v8
	v_cvt_f32_i32_e32 v9, v9
	;; [unrolled: 1-line block ×4, first 2 shown]
	v_fmac_f32_e32 v23, v4, v8
	v_fmac_f32_e32 v88, v5, v9
	;; [unrolled: 1-line block ×4, first 2 shown]
	s_cbranch_scc1 .LBB189_19
; %bb.20:                               ;   in Loop: Header=BB189_5 Depth=1
	s_or_b32 s1, s4, 0x100
	s_cmp_ge_i32 s1, s15
	s_barrier
	buffer_gl0_inv
	s_cbranch_scc1 .LBB189_4
; %bb.21:                               ;   in Loop: Header=BB189_5 Depth=1
	v_add_nc_u32_e32 v4, s5, v86
	v_cmp_gt_i32_e64 s1, s9, v4
	s_and_b32 s19, s0, s1
	s_and_saveexec_b32 s1, s19
	s_cbranch_execz .LBB189_23
; %bb.22:                               ;   in Loop: Header=BB189_5 Depth=1
	v_add_nc_u32_e32 v4, v89, v4
	v_mad_i64_i32 v[4:5], null, v4, 36, v[1:2]
	global_load_dword v4, v[4:5], off offset:4
	s_waitcnt vmcnt(0)
	ds_write_b32 v82, v4
.LBB189_23:                             ;   in Loop: Header=BB189_5 Depth=1
	s_or_b32 exec_lo, exec_lo, s1
	s_and_saveexec_b32 s19, vcc_lo
	s_cbranch_execz .LBB189_26
; %bb.24:                               ;   in Loop: Header=BB189_5 Depth=1
	v_or_b32_e32 v4, 8, v128
	v_cmp_gt_i32_e64 s1, s9, v4
	s_and_b32 s1, s0, s1
	s_and_b32 exec_lo, exec_lo, s1
	s_cbranch_execz .LBB189_26
; %bb.25:                               ;   in Loop: Header=BB189_5 Depth=1
	v_ashrrev_i32_e32 v4, 31, v128
	v_add_co_u32 v5, s1, v89, v128
	v_add_co_ci_u32_e64 v6, null, v95, v4, s1
	v_mad_u64_u32 v[4:5], null, v5, 36, s[2:3]
	v_mad_i32_i24 v5, v6, 36, v5
	global_load_dword v4, v[4:5], off offset:288
	s_waitcnt vmcnt(0)
	v_cvt_f32_f16_e32 v4, v4
	ds_write_b32 v83, v4
.LBB189_26:                             ;   in Loop: Header=BB189_5 Depth=1
	s_or_b32 exec_lo, exec_lo, s19
	v_mov_b32_e32 v129, v80
	v_mov_b32_e32 v130, v81
	s_mov_b32 s1, 16
	s_mov_b32 s21, 14
	;; [unrolled: 1-line block ×3, first 2 shown]
	s_waitcnt lgkmcnt(0)
	s_barrier
	buffer_gl0_inv
.LBB189_27:                             ;   Parent Loop BB189_5 Depth=1
                                        ; =>  This Inner Loop Header: Depth=2
	s_add_i32 s20, s21, 2
	s_add_i32 s22, s21, -14
	s_lshr_b32 s23, s20, 4
	s_and_b32 s24, s20, 0x3ffffff8
	s_lshl_b32 s25, s23, 5
	v_lshl_add_u32 v131, s24, 2, v90
	s_add_i32 s24, s25, 0x4200
	s_lshl_b32 s23, s23, 2
	v_add3_u32 v8, s24, v112, v113
	v_add3_u32 v9, s24, v115, v116
	;; [unrolled: 1-line block ×3, first 2 shown]
	v_add_nc_u32_e32 v21, 0x1080, v131
	ds_read2_b32 v[18:19], v131 offset1:1
	ds_read2_b32 v[16:17], v131 offset0:2 offset1:3
	ds_read2_b32 v[4:5], v131 offset0:4 offset1:5
	;; [unrolled: 1-line block ×3, first 2 shown]
	ds_read2_b32 v[133:134], v8 offset1:1
	ds_read2_b32 v[135:136], v8 offset0:2 offset1:3
	ds_read2_b32 v[137:138], v9 offset1:1
	ds_read2_b32 v[139:140], v9 offset0:2 offset1:3
	ds_read2_b32 v[146:147], v132 offset0:2 offset1:3
	;; [unrolled: 1-line block ×5, first 2 shown]
	ds_read2_b32 v[148:149], v21 offset1:1
	ds_read2_b32 v[8:9], v9 offset0:6 offset1:7
	v_add_nc_u32_e32 v20, 0x2100, v131
	s_addk_i32 s23, 0x7380
	v_add_nc_u32_e32 v152, 0x2118, v131
	s_waitcnt lgkmcnt(13)
	v_ashrrev_i32_e32 v156, s22, v18
	v_ashrrev_i32_e32 v157, s22, v19
	s_waitcnt lgkmcnt(12)
	v_ashrrev_i32_e32 v158, s22, v16
	v_ashrrev_i32_e32 v159, s22, v17
	s_waitcnt lgkmcnt(9)
	v_ashrrev_i32_e32 v160, s19, v133
	v_and_b32_e32 v172, 0x3030303, v156
	v_ashrrev_i32_e32 v161, s19, v134
	v_bfe_u32 v156, v156, 24, 2
	ds_read2_b32 v[16:17], v132 offset0:4 offset1:5
	ds_read2_b32 v[150:151], v20 offset1:1
	ds_read2_b32 v[18:19], v132 offset1:1
	v_lshlrev_b32_e32 v160, 2, v160
	v_lshrrev_b16 v173, 8, v172
	v_lshlrev_b32_e32 v161, 2, v161
	s_waitcnt lgkmcnt(11)
	v_ashrrev_i32_e32 v162, s19, v135
	v_add3_u32 v20, s24, v123, v124
	v_and_b32_e32 v160, 0x4040404, v160
	v_ashrrev_i32_e32 v163, s19, v136
	v_and_b32_e32 v161, 0x4040404, v161
	v_lshlrev_b32_e32 v162, 2, v162
	s_waitcnt lgkmcnt(10)
	v_ashrrev_i32_e32 v144, s19, v138
	v_lshrrev_b16 v174, 8, v160
	s_waitcnt lgkmcnt(9)
	v_ashrrev_i32_e32 v143, s19, v139
	v_lshrrev_b16 v176, 8, v161
	v_and_b32_e32 v162, 0x4040404, v162
	v_ashrrev_i32_e32 v142, s19, v140
	v_sub_nc_u16 v173, v173, v174
	v_lshrrev_b32_e32 v174, 24, v160
	s_waitcnt lgkmcnt(8)
	v_ashrrev_i32_e32 v139, s19, v146
	v_lshrrev_b16 v178, 8, v162
	s_waitcnt lgkmcnt(0)
	v_ashrrev_i32_e32 v141, s19, v18
	v_add_nc_u32_e32 v18, 0x3180, v131
	v_sub_nc_u16 v156, v156, v174
	v_lshrrev_b32_e32 v174, 16, v172
	v_sub_nc_u16 v172, v172, v160
	v_lshrrev_b32_e32 v160, 16, v160
	v_ashrrev_i32_e32 v140, s19, v19
	v_ashrrev_i32_e32 v138, s19, v147
	ds_read2_b32 v[146:147], v18 offset1:1
	ds_read2_b32 v[18:19], v20 offset1:1
	v_lshlrev_b32_e32 v163, 2, v163
	v_sub_nc_u16 v160, v174, v160
	v_and_b32_e32 v174, 0x3030303, v157
	v_bfe_u32 v157, v157, 24, 2
	v_ashrrev_i32_e32 v145, s19, v137
	v_and_b32_e32 v163, 0x4040404, v163
	v_ashrrev_i32_e32 v164, s22, v148
	v_lshrrev_b16 v175, 8, v174
	v_add_nc_u32_e32 v148, 0x1088, v131
	v_lshlrev_b32_e32 v145, 2, v145
	v_lshrrev_b16 v180, 8, v163
	v_ashrrev_i32_e32 v165, s22, v149
	v_sub_nc_u16 v175, v175, v176
	v_lshrrev_b32_e32 v176, 24, v161
	v_and_b32_e32 v145, 0x4040404, v145
	v_lshlrev_b32_e32 v144, 2, v144
	v_lshlrev_b32_e32 v143, 2, v143
	v_lshlrev_b32_e32 v142, 2, v142
	v_sub_nc_u16 v157, v157, v176
	v_lshrrev_b32_e32 v176, 16, v174
	v_sub_nc_u16 v174, v174, v161
	v_lshrrev_b32_e32 v161, 16, v161
	s_waitcnt lgkmcnt(0)
	v_ashrrev_i32_e32 v137, s19, v18
	v_ashrrev_i32_e32 v135, s19, v19
	ds_read2_b32 v[133:134], v20 offset0:2 offset1:3
	ds_read2_b32 v[18:19], v20 offset0:4 offset1:5
	;; [unrolled: 1-line block ×3, first 2 shown]
	v_lshrrev_b16 v182, 8, v145
	v_sub_nc_u16 v161, v176, v161
	v_and_b32_e32 v176, 0x3030303, v158
	v_bfe_u32 v158, v158, 24, 2
	ds_read2_b32 v[148:149], v148 offset1:1
	v_and_b32_e32 v144, 0x4040404, v144
	v_and_b32_e32 v143, 0x4040404, v143
	v_lshrrev_b16 v177, 8, v176
	v_and_b32_e32 v142, 0x4040404, v142
	v_ashrrev_i32_e32 v168, s22, v150
	v_lshrrev_b16 v184, 8, v144
	v_lshrrev_b16 v186, 8, v143
	v_sub_nc_u16 v177, v177, v178
	v_lshrrev_b32_e32 v178, 24, v162
	v_lshrrev_b16 v188, 8, v142
	v_lshlrev_b32_e32 v141, 2, v141
	v_add_nc_u32_e32 v150, 0x2110, v131
	s_waitcnt lgkmcnt(3)
	v_ashrrev_i32_e32 v136, s19, v133
	v_sub_nc_u16 v158, v158, v178
	v_lshrrev_b32_e32 v178, 16, v176
	v_sub_nc_u16 v176, v176, v162
	v_lshrrev_b32_e32 v162, 16, v162
	v_add3_u32 v133, s23, v125, v114
	v_and_b32_e32 v141, 0x4040404, v141
	s_waitcnt lgkmcnt(0)
	v_ashrrev_i32_e32 v166, s22, v148
	v_ashrrev_i32_e32 v167, s22, v149
	v_sub_nc_u16 v162, v178, v162
	v_and_b32_e32 v178, 0x3030303, v159
	v_bfe_u32 v159, v159, 24, 2
	ds_read_b32 v133, v133
	v_lshrrev_b16 v190, 8, v141
	v_add_nc_u32_e32 v148, 0x2108, v131
	v_lshrrev_b16 v179, 8, v178
	v_ashrrev_i32_e32 v169, s22, v151
	v_lshlrev_b32_e32 v140, 2, v140
	ds_read2_b32 v[148:149], v148 offset1:1
	ds_read2_b32 v[150:151], v150 offset1:1
	ds_read2_b32 v[152:153], v152 offset1:1
	ds_read2_b32 v[154:155], v132 offset0:6 offset1:7
	v_sub_nc_u16 v179, v179, v180
	v_lshrrev_b32_e32 v180, 24, v163
	v_and_b32_e32 v140, 0x4040404, v140
	v_lshlrev_b32_e32 v139, 2, v139
	v_lshlrev_b32_e32 v138, 2, v138
	v_ashrrev_i32_e32 v170, s22, v146
	v_sub_nc_u16 v159, v159, v180
	v_lshrrev_b32_e32 v180, 16, v178
	v_sub_nc_u16 v178, v178, v163
	v_lshrrev_b32_e32 v163, 16, v163
	v_lshrrev_b16 v192, 8, v140
	v_and_b32_e32 v139, 0x4040404, v139
	v_and_b32_e32 v138, 0x4040404, v138
	v_lshlrev_b32_e32 v137, 2, v137
	v_sub_nc_u16 v163, v180, v163
	v_and_b32_e32 v180, 0x3030303, v164
	v_bfe_u32 v164, v164, 24, 2
	s_waitcnt lgkmcnt(3)
	v_ashrrev_i32_e32 v148, s22, v148
	v_lshrrev_b16 v194, 8, v139
	v_ashrrev_i32_e32 v149, s22, v149
	v_lshrrev_b16 v181, 8, v180
	v_lshrrev_b16 v196, 8, v138
	v_and_b32_e32 v137, 0x4040404, v137
	v_add3_u32 v132, s23, v121, v122
	v_add_nc_u32_e32 v146, 0x3188, v131
	v_sub_nc_u16 v181, v181, v182
	v_lshrrev_b32_e32 v182, 24, v145
	v_lshrrev_b16 v198, 8, v137
	ds_read_b32 v132, v132
	v_ashrrev_i32_e32 v171, s22, v147
	ds_read2_b32 v[146:147], v146 offset1:1
	v_sub_nc_u16 v164, v164, v182
	v_lshrrev_b32_e32 v182, 16, v180
	v_sub_nc_u16 v180, v180, v145
	v_lshrrev_b32_e32 v145, 16, v145
	v_lshlrev_b32_e32 v135, 2, v135
	v_lshlrev_b32_e32 v136, 2, v136
	v_ashrrev_i32_e32 v134, s19, v134
	v_lshlrev_b16 v156, 8, v156
	v_sub_nc_u16 v145, v182, v145
	v_and_b32_e32 v182, 0x3030303, v165
	v_bfe_u32 v165, v165, 24, 2
	v_and_b32_e32 v135, 0x4040404, v135
	v_and_b32_e32 v136, 0x4040404, v136
	v_lshlrev_b32_e32 v134, 2, v134
	v_lshrrev_b16 v183, 8, v182
	v_lshlrev_b16 v157, 8, v157
	v_lshrrev_b16 v200, 8, v135
	v_lshrrev_b16 v202, 8, v136
	v_and_b32_e32 v134, 0x4040404, v134
	v_sub_nc_u16 v183, v183, v184
	v_lshrrev_b32_e32 v184, 24, v144
	s_waitcnt lgkmcnt(0)
	v_ashrrev_i32_e32 v146, s22, v146
	v_ashrrev_i32_e32 v147, s22, v147
	v_lshrrev_b16 v204, 8, v134
	v_lshlrev_b16 v158, 8, v158
	v_sub_nc_u16 v165, v165, v184
	v_lshrrev_b32_e32 v184, 16, v182
	v_sub_nc_u16 v182, v182, v144
	v_lshrrev_b32_e32 v144, 16, v144
	v_lshlrev_b16 v159, 8, v159
	v_lshlrev_b16 v173, 8, v173
	v_or_b32_sdwa v156, v160, v156 dst_sel:WORD_1 dst_unused:UNUSED_PAD src0_sel:BYTE_0 src1_sel:DWORD
	v_lshlrev_b16 v160, 8, v175
	v_sub_nc_u16 v144, v184, v144
	v_and_b32_e32 v184, 0x3030303, v166
	v_bfe_u32 v166, v166, 24, 2
	v_or_b32_sdwa v157, v161, v157 dst_sel:WORD_1 dst_unused:UNUSED_PAD src0_sel:BYTE_0 src1_sel:DWORD
	v_lshlrev_b16 v161, 8, v177
	v_or_b32_sdwa v158, v162, v158 dst_sel:WORD_1 dst_unused:UNUSED_PAD src0_sel:BYTE_0 src1_sel:DWORD
	v_lshrrev_b16 v185, 8, v184
	v_lshlrev_b16 v162, 8, v179
	v_or_b32_sdwa v159, v163, v159 dst_sel:WORD_1 dst_unused:UNUSED_PAD src0_sel:BYTE_0 src1_sel:DWORD
	v_lshlrev_b16 v163, 8, v181
	v_lshlrev_b16 v164, 8, v164
	v_sub_nc_u16 v185, v185, v186
	v_lshrrev_b32_e32 v186, 24, v143
	v_or_b32_sdwa v172, v172, v173 dst_sel:DWORD dst_unused:UNUSED_PAD src0_sel:BYTE_0 src1_sel:DWORD
	v_or_b32_sdwa v160, v174, v160 dst_sel:DWORD dst_unused:UNUSED_PAD src0_sel:BYTE_0 src1_sel:DWORD
	v_or_b32_sdwa v161, v176, v161 dst_sel:DWORD dst_unused:UNUSED_PAD src0_sel:BYTE_0 src1_sel:DWORD
	v_or_b32_sdwa v162, v178, v162 dst_sel:DWORD dst_unused:UNUSED_PAD src0_sel:BYTE_0 src1_sel:DWORD
	v_sub_nc_u16 v166, v166, v186
	v_lshrrev_b32_e32 v186, 16, v184
	v_sub_nc_u16 v184, v184, v143
	v_lshrrev_b32_e32 v143, 16, v143
	v_or_b32_sdwa v163, v180, v163 dst_sel:DWORD dst_unused:UNUSED_PAD src0_sel:BYTE_0 src1_sel:DWORD
	v_or_b32_sdwa v145, v145, v164 dst_sel:WORD_1 dst_unused:UNUSED_PAD src0_sel:BYTE_0 src1_sel:DWORD
	v_lshlrev_b16 v164, 8, v183
	v_lshlrev_b16 v165, 8, v165
	v_sub_nc_u16 v143, v186, v143
	v_and_b32_e32 v186, 0x3030303, v167
	v_bfe_u32 v167, v167, 24, 2
	v_or_b32_sdwa v145, v163, v145 dst_sel:DWORD dst_unused:UNUSED_PAD src0_sel:WORD_0 src1_sel:DWORD
	v_or_b32_sdwa v164, v182, v164 dst_sel:DWORD dst_unused:UNUSED_PAD src0_sel:BYTE_0 src1_sel:DWORD
	v_or_b32_sdwa v144, v144, v165 dst_sel:WORD_1 dst_unused:UNUSED_PAD src0_sel:BYTE_0 src1_sel:DWORD
	v_lshrrev_b16 v187, 8, v186
	v_ashrrev_i32_e32 v10, s19, v10
	v_ashrrev_i32_e32 v11, s19, v11
	v_lshlrev_b16 v165, 8, v185
	v_or_b32_sdwa v144, v164, v144 dst_sel:DWORD dst_unused:UNUSED_PAD src0_sel:WORD_0 src1_sel:DWORD
	v_sub_nc_u16 v187, v187, v188
	v_lshrrev_b32_e32 v188, 24, v142
	v_mov_b32_e32 v164, 0
	v_lshlrev_b32_e32 v10, 2, v10
	v_lshlrev_b32_e32 v11, 2, v11
	v_lshlrev_b16 v166, 8, v166
	v_sub_nc_u16 v167, v167, v188
	v_lshrrev_b32_e32 v188, 16, v186
	v_sub_nc_u16 v186, v186, v142
	v_lshrrev_b32_e32 v142, 16, v142
	v_and_b32_e32 v10, 0x4040404, v10
	v_lshlrev_b16 v167, 8, v167
	v_and_b32_e32 v11, 0x4040404, v11
	v_or_b32_sdwa v165, v184, v165 dst_sel:DWORD dst_unused:UNUSED_PAD src0_sel:BYTE_0 src1_sel:DWORD
	v_sub_nc_u16 v142, v188, v142
	v_and_b32_e32 v188, 0x3030303, v168
	v_bfe_u32 v168, v168, 24, 2
	v_or_b32_sdwa v143, v143, v166 dst_sel:WORD_1 dst_unused:UNUSED_PAD src0_sel:BYTE_0 src1_sel:DWORD
	v_ashrrev_i32_e32 v12, s19, v12
	v_or_b32_sdwa v142, v142, v167 dst_sel:WORD_1 dst_unused:UNUSED_PAD src0_sel:BYTE_0 src1_sel:DWORD
	v_lshrrev_b16 v189, 8, v188
	s_and_b32 s24, s1, -16
	v_or_b32_sdwa v143, v165, v143 dst_sel:DWORD dst_unused:UNUSED_PAD src0_sel:WORD_0 src1_sel:DWORD
	v_lshlrev_b32_e32 v12, 2, v12
	s_add_i32 s21, s21, s24
	v_sub_nc_u16 v189, v189, v190
	v_lshrrev_b32_e32 v190, 24, v141
	v_lshlrev_b16 v166, 8, v187
	v_and_b32_e32 v12, 0x4040404, v12
	v_ashrrev_i32_e32 v13, s19, v13
	v_lshlrev_b16 v167, 8, v189
	v_sub_nc_u16 v168, v168, v190
	v_lshrrev_b32_e32 v190, 16, v188
	v_sub_nc_u16 v188, v188, v141
	v_lshrrev_b32_e32 v141, 16, v141
	v_or_b32_sdwa v166, v186, v166 dst_sel:DWORD dst_unused:UNUSED_PAD src0_sel:BYTE_0 src1_sel:DWORD
	v_lshlrev_b16 v168, 8, v168
	v_lshrrev_b16 v165, 8, v12
	v_or_b32_sdwa v167, v188, v167 dst_sel:DWORD dst_unused:UNUSED_PAD src0_sel:BYTE_0 src1_sel:DWORD
	v_sub_nc_u16 v141, v190, v141
	v_and_b32_e32 v190, 0x3030303, v169
	v_bfe_u32 v169, v169, 24, 2
	v_or_b32_sdwa v142, v166, v142 dst_sel:DWORD dst_unused:UNUSED_PAD src0_sel:WORD_0 src1_sel:DWORD
	v_lshlrev_b32_e32 v13, 2, v13
	v_or_b32_sdwa v141, v141, v168 dst_sel:WORD_1 dst_unused:UNUSED_PAD src0_sel:BYTE_0 src1_sel:DWORD
	v_lshrrev_b16 v191, 8, v190
	v_ashrrev_i32_e32 v14, s19, v14
	v_ashrrev_i32_e32 v15, s19, v15
	v_and_b32_e32 v13, 0x4040404, v13
	v_ashrrev_i32_e32 v16, s19, v16
	v_sub_nc_u16 v191, v191, v192
	v_lshrrev_b32_e32 v192, 24, v140
	v_lshlrev_b32_e32 v14, 2, v14
	v_lshlrev_b32_e32 v15, 2, v15
	v_ashrrev_i32_e32 v150, s22, v150
	v_lshlrev_b16 v168, 8, v191
	v_sub_nc_u16 v169, v169, v192
	v_lshrrev_b32_e32 v192, 16, v190
	v_sub_nc_u16 v190, v190, v140
	v_lshrrev_b32_e32 v140, 16, v140
	v_and_b32_e32 v14, 0x4040404, v14
	v_lshlrev_b16 v169, 8, v169
	v_and_b32_e32 v15, 0x4040404, v15
	v_or_b32_sdwa v168, v190, v168 dst_sel:DWORD dst_unused:UNUSED_PAD src0_sel:BYTE_0 src1_sel:DWORD
	v_sub_nc_u16 v140, v192, v140
	v_and_b32_e32 v192, 0x3030303, v148
	v_bfe_u32 v148, v148, 24, 2
	v_lshlrev_b32_e32 v16, 2, v16
	v_ashrrev_i32_e32 v17, s19, v17
	v_or_b32_sdwa v140, v140, v169 dst_sel:WORD_1 dst_unused:UNUSED_PAD src0_sel:BYTE_0 src1_sel:DWORD
	v_lshrrev_b16 v193, 8, v192
	v_ashrrev_i32_e32 v151, s22, v151
	v_and_b32_e32 v16, 0x4040404, v16
	v_lshlrev_b32_e32 v17, 2, v17
	v_ashrrev_i32_e32 v18, s19, v18
	v_sub_nc_u16 v193, v193, v194
	v_lshrrev_b32_e32 v194, 24, v139
	v_lshrrev_b16 v173, 8, v16
	v_and_b32_e32 v17, 0x4040404, v17
	v_lshlrev_b32_e32 v18, 2, v18
	v_lshlrev_b16 v169, 8, v193
	v_sub_nc_u16 v148, v148, v194
	v_lshrrev_b32_e32 v194, 16, v192
	v_sub_nc_u16 v192, v192, v139
	v_lshrrev_b32_e32 v139, 16, v139
	v_lshrrev_b16 v175, 8, v17
	v_lshlrev_b16 v148, 8, v148
	v_and_b32_e32 v18, 0x4040404, v18
	v_or_b32_sdwa v169, v192, v169 dst_sel:DWORD dst_unused:UNUSED_PAD src0_sel:BYTE_0 src1_sel:DWORD
	v_sub_nc_u16 v139, v194, v139
	v_and_b32_e32 v194, 0x3030303, v149
	v_bfe_u32 v149, v149, 24, 2
	v_lshrrev_b16 v177, 8, v18
	v_ashrrev_i32_e32 v19, s19, v19
	v_or_b32_sdwa v139, v139, v148 dst_sel:WORD_1 dst_unused:UNUSED_PAD src0_sel:BYTE_0 src1_sel:DWORD
	v_lshrrev_b16 v195, 8, v194
	v_ashrrev_i32_e32 v8, s19, v8
	v_ashrrev_i32_e32 v9, s19, v9
	v_lshlrev_b32_e32 v19, 2, v19
	v_ashrrev_i32_e32 v152, s22, v152
	v_sub_nc_u16 v195, v195, v196
	v_lshrrev_b32_e32 v196, 24, v138
	v_lshlrev_b32_e32 v8, 2, v8
	v_and_b32_e32 v19, 0x4040404, v19
	v_lshlrev_b32_e32 v9, 2, v9
	v_lshlrev_b16 v148, 8, v195
	v_sub_nc_u16 v149, v149, v196
	v_lshrrev_b32_e32 v196, 16, v194
	v_sub_nc_u16 v194, v194, v138
	v_lshrrev_b32_e32 v138, 16, v138
	v_lshrrev_b16 v179, 8, v19
	v_lshlrev_b16 v149, 8, v149
	v_and_b32_e32 v8, 0x4040404, v8
	v_or_b32_sdwa v148, v194, v148 dst_sel:DWORD dst_unused:UNUSED_PAD src0_sel:BYTE_0 src1_sel:DWORD
	v_sub_nc_u16 v138, v196, v138
	v_and_b32_e32 v196, 0x3030303, v170
	v_bfe_u32 v170, v170, 24, 2
	v_lshrrev_b16 v181, 8, v8
	v_and_b32_e32 v9, 0x4040404, v9
	v_or_b32_sdwa v138, v138, v149 dst_sel:WORD_1 dst_unused:UNUSED_PAD src0_sel:BYTE_0 src1_sel:DWORD
	v_lshrrev_b16 v197, 8, v196
	v_ashrrev_i32_e32 v153, s22, v153
	v_ashrrev_i32_e32 v20, s19, v20
	v_lshrrev_b16 v183, 8, v9
	v_or_b32_sdwa v148, v148, v138 dst_sel:DWORD dst_unused:UNUSED_PAD src0_sel:WORD_0 src1_sel:DWORD
	v_sub_nc_u16 v197, v197, v198
	v_lshrrev_b32_e32 v198, 24, v137
	v_lshlrev_b32_e32 v20, 2, v20
	v_ashrrev_i32_e32 v21, s19, v21
	s_add_i32 s1, s1, 2
	v_lshlrev_b16 v149, 8, v197
	v_sub_nc_u16 v170, v170, v198
	v_lshrrev_b32_e32 v198, 16, v196
	v_sub_nc_u16 v196, v196, v137
	v_lshrrev_b32_e32 v137, 16, v137
	v_and_b32_e32 v20, 0x4040404, v20
	v_lshlrev_b16 v170, 8, v170
	v_lshlrev_b32_e32 v21, 2, v21
	v_or_b32_sdwa v149, v196, v149 dst_sel:DWORD dst_unused:UNUSED_PAD src0_sel:BYTE_0 src1_sel:DWORD
	v_sub_nc_u16 v137, v198, v137
	v_and_b32_e32 v198, 0x3030303, v171
	v_bfe_u32 v171, v171, 24, 2
	v_lshrrev_b16 v189, 8, v20
	v_and_b32_e32 v21, 0x4040404, v21
	v_or_b32_sdwa v137, v137, v170 dst_sel:WORD_1 dst_unused:UNUSED_PAD src0_sel:BYTE_0 src1_sel:DWORD
	v_lshrrev_b16 v199, 8, v198
	v_lshrrev_b16 v191, 8, v21
	v_or_b32_sdwa v149, v149, v137 dst_sel:DWORD dst_unused:UNUSED_PAD src0_sel:WORD_0 src1_sel:DWORD
	v_sub_nc_u16 v199, v199, v200
	v_lshrrev_b32_e32 v200, 24, v135
	v_lshlrev_b16 v170, 8, v199
	v_sub_nc_u16 v171, v171, v200
	v_lshrrev_b32_e32 v200, 16, v198
	v_sub_nc_u16 v198, v198, v135
	v_lshrrev_b32_e32 v135, 16, v135
	v_lshlrev_b16 v171, 8, v171
	v_or_b32_sdwa v170, v198, v170 dst_sel:DWORD dst_unused:UNUSED_PAD src0_sel:BYTE_0 src1_sel:DWORD
	v_sub_nc_u16 v135, v200, v135
	v_and_b32_e32 v200, 0x3030303, v146
	v_bfe_u32 v146, v146, 24, 2
	v_or_b32_sdwa v135, v135, v171 dst_sel:WORD_1 dst_unused:UNUSED_PAD src0_sel:BYTE_0 src1_sel:DWORD
	v_lshrrev_b16 v201, 8, v200
	v_sub_nc_u16 v201, v201, v202
	v_lshrrev_b32_e32 v202, 24, v136
	v_lshlrev_b16 v171, 8, v201
	v_sub_nc_u16 v146, v146, v202
	v_lshrrev_b32_e32 v202, 16, v200
	v_sub_nc_u16 v200, v200, v136
	v_lshrrev_b32_e32 v136, 16, v136
	v_lshlrev_b16 v146, 8, v146
	v_or_b32_sdwa v171, v200, v171 dst_sel:DWORD dst_unused:UNUSED_PAD src0_sel:BYTE_0 src1_sel:DWORD
	v_sub_nc_u16 v136, v202, v136
	v_and_b32_e32 v202, 0x3030303, v147
	v_bfe_u32 v147, v147, 24, 2
	v_or_b32_sdwa v136, v136, v146 dst_sel:WORD_1 dst_unused:UNUSED_PAD src0_sel:BYTE_0 src1_sel:DWORD
	v_lshrrev_b16 v203, 8, v202
	v_or_b32_sdwa v163, v171, v136 dst_sel:DWORD dst_unused:UNUSED_PAD src0_sel:WORD_0 src1_sel:DWORD
	v_sub_nc_u16 v203, v203, v204
	v_lshrrev_b32_e32 v204, 24, v134
	v_lshrrev_b16 v171, 8, v15
	v_lshlrev_b16 v146, 8, v203
	v_sub_nc_u16 v147, v147, v204
	v_lshrrev_b32_e32 v204, 16, v202
	v_sub_nc_u16 v202, v202, v134
	v_lshrrev_b32_e32 v134, 16, v134
	v_lshlrev_b16 v147, 8, v147
	v_or_b32_sdwa v146, v202, v146 dst_sel:DWORD dst_unused:UNUSED_PAD src0_sel:BYTE_0 src1_sel:DWORD
	v_sub_nc_u16 v134, v204, v134
	v_or_b32_sdwa v134, v134, v147 dst_sel:WORD_1 dst_unused:UNUSED_PAD src0_sel:BYTE_0 src1_sel:DWORD
	v_or_b32_sdwa v147, v172, v156 dst_sel:DWORD dst_unused:UNUSED_PAD src0_sel:WORD_0 src1_sel:DWORD
	v_or_b32_sdwa v156, v160, v157 dst_sel:DWORD dst_unused:UNUSED_PAD src0_sel:WORD_0 src1_sel:DWORD
	;; [unrolled: 1-line block ×9, first 2 shown]
	ds_read_b128 v[134:137], v129
	ds_read_b128 v[138:141], v129 offset:16
	v_lshrrev_b16 v167, 8, v13
	v_lshrrev_b16 v169, 8, v14
	v_add_nc_u32_e32 v129, 32, v129
	s_waitcnt lgkmcnt(1)
	v_dot4c_i32_i8 v164, v147, v134
	v_mov_b32_e32 v147, 0
	v_dot4c_i32_i8 v164, v156, v135
	v_dot4c_i32_i8 v147, v145, v134
	v_mov_b32_e32 v145, 0
	v_dot4c_i32_i8 v164, v157, v136
	v_dot4c_i32_i8 v147, v144, v135
	v_dot4c_i32_i8 v145, v159, v134
	v_mov_b32_e32 v159, 0
	v_dot4c_i32_i8 v164, v158, v137
	v_dot4c_i32_i8 v147, v143, v136
	;; [unrolled: 1-line block ×4, first 2 shown]
	v_ashrrev_i32_e32 v134, s22, v4
	v_lshrrev_b16 v160, 8, v10
	v_add_nc_u32_e32 v4, s21, v93
	v_dot4c_i32_i8 v145, v161, v136
	v_dot4c_i32_i8 v159, v162, v135
	v_and_b32_e32 v157, 0x3030303, v134
	v_bfe_u32 v134, v134, 24, 2
	v_ashrrev_i32_e32 v135, s22, v5
	v_lshrrev_b16 v162, 8, v11
	v_dot4c_i32_i8 v159, v163, v136
	v_lshrrev_b16 v158, 8, v157
	v_ashrrev_i32_e32 v136, s22, v6
	ds_read_u16 v144, v4 offset:26354
	v_add3_u32 v4, s23, v117, v118
	v_dot4c_i32_i8 v159, v146, v137
	v_sub_nc_u16 v158, v158, v160
	v_lshrrev_b32_e32 v160, 24, v10
	v_add_nc_u32_e32 v6, 0x1098, v131
	ds_read_b32 v146, v4
	v_add_nc_u32_e32 v4, 0x1090, v131
	v_dot4c_i32_i8 v147, v142, v137
	v_sub_nc_u16 v134, v134, v160
	v_lshrrev_b32_e32 v160, 16, v157
	v_sub_nc_u16 v157, v157, v10
	v_lshrrev_b32_e32 v10, 16, v10
	v_dot4c_i32_i8 v145, v148, v137
	v_ashrrev_i32_e32 v137, s22, v7
	ds_read2_b32 v[4:5], v4 offset1:1
	ds_read2_b32 v[6:7], v6 offset1:1
	v_ashrrev_i32_e32 v142, s19, v154
	v_sub_nc_u16 v10, v160, v10
	v_and_b32_e32 v160, 0x3030303, v135
	v_bfe_u32 v135, v135, 24, 2
	v_ashrrev_i32_e32 v143, s19, v155
	v_lshlrev_b32_e32 v142, 2, v142
	v_lshlrev_b16 v158, 8, v158
	v_lshrrev_b16 v161, 8, v160
	v_lshlrev_b16 v134, 8, v134
	v_lshlrev_b32_e32 v143, 2, v143
	v_and_b32_e32 v142, 0x4040404, v142
	v_or_b32_sdwa v157, v157, v158 dst_sel:DWORD dst_unused:UNUSED_PAD src0_sel:BYTE_0 src1_sel:DWORD
	v_sub_nc_u16 v161, v161, v162
	v_lshrrev_b32_e32 v162, 24, v11
	v_and_b32_e32 v143, 0x4040404, v143
	v_lshrrev_b16 v185, 8, v142
	v_or_b32_sdwa v10, v10, v134 dst_sel:WORD_1 dst_unused:UNUSED_PAD src0_sel:BYTE_0 src1_sel:DWORD
	v_lshlrev_b16 v134, 8, v161
	v_sub_nc_u16 v135, v135, v162
	v_lshrrev_b32_e32 v162, 16, v160
	v_sub_nc_u16 v160, v160, v11
	v_lshrrev_b32_e32 v11, 16, v11
	s_waitcnt lgkmcnt(1)
	v_ashrrev_i32_e32 v148, s22, v4
	v_ashrrev_i32_e32 v149, s22, v5
	v_add_nc_u32_e32 v5, s21, v91
	s_waitcnt lgkmcnt(0)
	v_ashrrev_i32_e32 v154, s22, v6
	v_sub_nc_u16 v11, v162, v11
	v_and_b32_e32 v162, 0x3030303, v136
	v_bfe_u32 v136, v136, 24, 2
	v_add_nc_u32_e32 v4, 0x3190, v131
	v_add_nc_u32_e32 v6, 0x3198, v131
	ds_read_u16 v131, v5 offset:28402
	v_lshrrev_b16 v163, 8, v162
	v_add3_u32 v5, s23, v126, v127
	v_ashrrev_i32_e32 v155, s22, v7
	ds_read_b32 v156, v5
	ds_read2_b32 v[4:5], v4 offset1:1
	ds_read2_b32 v[6:7], v6 offset1:1
	v_sub_nc_u16 v163, v163, v165
	v_lshrrev_b32_e32 v165, 24, v12
	v_lshrrev_b16 v187, 8, v143
	v_or_b32_sdwa v10, v157, v10 dst_sel:DWORD dst_unused:UNUSED_PAD src0_sel:WORD_0 src1_sel:DWORD
	v_lshlrev_b16 v135, 8, v135
	v_or_b32_sdwa v134, v160, v134 dst_sel:DWORD dst_unused:UNUSED_PAD src0_sel:BYTE_0 src1_sel:DWORD
	v_sub_nc_u16 v136, v136, v165
	v_lshrrev_b32_e32 v165, 16, v162
	v_sub_nc_u16 v162, v162, v12
	v_lshrrev_b32_e32 v12, 16, v12
	v_or_b32_sdwa v11, v11, v135 dst_sel:WORD_1 dst_unused:UNUSED_PAD src0_sel:BYTE_0 src1_sel:DWORD
	v_lshlrev_b16 v135, 8, v163
	v_lshlrev_b16 v136, 8, v136
	s_add_i32 s19, s19, 1
	v_sub_nc_u16 v12, v165, v12
	v_and_b32_e32 v165, 0x3030303, v137
	v_bfe_u32 v137, v137, 24, 2
	v_or_b32_sdwa v11, v134, v11 dst_sel:DWORD dst_unused:UNUSED_PAD src0_sel:WORD_0 src1_sel:DWORD
	s_waitcnt lgkmcnt(1)
	v_ashrrev_i32_e32 v4, s22, v4
	v_ashrrev_i32_e32 v5, s22, v5
	v_lshrrev_b16 v166, 8, v165
	s_waitcnt lgkmcnt(0)
	v_ashrrev_i32_e32 v6, s22, v6
	v_ashrrev_i32_e32 v7, s22, v7
	v_mov_b32_e32 v134, 0
	v_or_b32_sdwa v135, v162, v135 dst_sel:DWORD dst_unused:UNUSED_PAD src0_sel:BYTE_0 src1_sel:DWORD
	v_sub_nc_u16 v166, v166, v167
	v_lshrrev_b32_e32 v167, 24, v13
	v_or_b32_sdwa v12, v12, v136 dst_sel:WORD_1 dst_unused:UNUSED_PAD src0_sel:BYTE_0 src1_sel:DWORD
	s_cmp_lt_u32 s20, 22
	v_lshlrev_b16 v136, 8, v166
	v_sub_nc_u16 v137, v137, v167
	v_lshrrev_b32_e32 v167, 16, v165
	v_sub_nc_u16 v165, v165, v13
	v_lshrrev_b32_e32 v13, 16, v13
	v_or_b32_sdwa v12, v135, v12 dst_sel:DWORD dst_unused:UNUSED_PAD src0_sel:WORD_0 src1_sel:DWORD
	v_lshlrev_b16 v137, 8, v137
	v_or_b32_sdwa v136, v165, v136 dst_sel:DWORD dst_unused:UNUSED_PAD src0_sel:BYTE_0 src1_sel:DWORD
	v_sub_nc_u16 v13, v167, v13
	v_and_b32_e32 v167, 0x3030303, v148
	v_bfe_u32 v148, v148, 24, 2
	v_or_b32_sdwa v13, v13, v137 dst_sel:WORD_1 dst_unused:UNUSED_PAD src0_sel:BYTE_0 src1_sel:DWORD
	v_lshrrev_b16 v168, 8, v167
	v_or_b32_sdwa v13, v136, v13 dst_sel:DWORD dst_unused:UNUSED_PAD src0_sel:WORD_0 src1_sel:DWORD
	v_sub_nc_u16 v168, v168, v169
	v_lshrrev_b32_e32 v169, 24, v14
	v_lshlrev_b16 v137, 8, v168
	v_sub_nc_u16 v148, v148, v169
	v_lshrrev_b32_e32 v169, 16, v167
	v_sub_nc_u16 v167, v167, v14
	v_lshrrev_b32_e32 v14, 16, v14
	v_lshlrev_b16 v148, 8, v148
	v_or_b32_sdwa v137, v167, v137 dst_sel:DWORD dst_unused:UNUSED_PAD src0_sel:BYTE_0 src1_sel:DWORD
	v_sub_nc_u16 v14, v169, v14
	v_and_b32_e32 v169, 0x3030303, v149
	v_bfe_u32 v149, v149, 24, 2
	v_or_b32_sdwa v14, v14, v148 dst_sel:WORD_1 dst_unused:UNUSED_PAD src0_sel:BYTE_0 src1_sel:DWORD
	v_lshrrev_b16 v170, 8, v169
	v_or_b32_sdwa v14, v137, v14 dst_sel:DWORD dst_unused:UNUSED_PAD src0_sel:WORD_0 src1_sel:DWORD
	v_sub_nc_u16 v170, v170, v171
	v_lshrrev_b32_e32 v171, 24, v15
	v_lshlrev_b16 v148, 8, v170
	v_sub_nc_u16 v149, v149, v171
	v_lshrrev_b32_e32 v171, 16, v169
	v_sub_nc_u16 v169, v169, v15
	v_lshrrev_b32_e32 v15, 16, v15
	;; [unrolled: 15-line block ×3, first 2 shown]
	v_lshlrev_b16 v150, 8, v150
	v_or_b32_sdwa v149, v171, v149 dst_sel:DWORD dst_unused:UNUSED_PAD src0_sel:BYTE_0 src1_sel:DWORD
	v_sub_nc_u16 v16, v173, v16
	v_and_b32_e32 v173, 0x3030303, v151
	v_bfe_u32 v151, v151, 24, 2
	v_or_b32_sdwa v16, v16, v150 dst_sel:WORD_1 dst_unused:UNUSED_PAD src0_sel:BYTE_0 src1_sel:DWORD
	v_lshrrev_b16 v174, 8, v173
	v_or_b32_sdwa v16, v149, v16 dst_sel:DWORD dst_unused:UNUSED_PAD src0_sel:WORD_0 src1_sel:DWORD
	v_sub_nc_u16 v174, v174, v175
	v_lshrrev_b32_e32 v175, 24, v17
	v_dot4c_i32_i8 v134, v16, v138
	v_lshlrev_b16 v150, 8, v174
	v_sub_nc_u16 v151, v151, v175
	v_lshrrev_b32_e32 v175, 16, v173
	v_sub_nc_u16 v173, v173, v17
	v_lshrrev_b32_e32 v17, 16, v17
	v_lshlrev_b16 v151, 8, v151
	v_or_b32_sdwa v150, v173, v150 dst_sel:DWORD dst_unused:UNUSED_PAD src0_sel:BYTE_0 src1_sel:DWORD
	v_sub_nc_u16 v17, v175, v17
	v_and_b32_e32 v175, 0x3030303, v4
	v_bfe_u32 v4, v4, 24, 2
	v_or_b32_sdwa v17, v17, v151 dst_sel:WORD_1 dst_unused:UNUSED_PAD src0_sel:BYTE_0 src1_sel:DWORD
	v_lshrrev_b16 v176, 8, v175
	v_or_b32_sdwa v17, v150, v17 dst_sel:DWORD dst_unused:UNUSED_PAD src0_sel:WORD_0 src1_sel:DWORD
	v_sub_nc_u16 v176, v176, v177
	v_lshrrev_b32_e32 v177, 24, v18
	v_dot4c_i32_i8 v134, v17, v139
	v_lshlrev_b16 v151, 8, v176
	v_sub_nc_u16 v4, v4, v177
	v_lshrrev_b32_e32 v177, 16, v175
	v_sub_nc_u16 v175, v175, v18
	v_lshrrev_b32_e32 v18, 16, v18
	v_lshlrev_b16 v4, 8, v4
	v_or_b32_sdwa v151, v175, v151 dst_sel:DWORD dst_unused:UNUSED_PAD src0_sel:BYTE_0 src1_sel:DWORD
	v_sub_nc_u16 v18, v177, v18
	v_and_b32_e32 v177, 0x3030303, v5
	v_bfe_u32 v5, v5, 24, 2
	v_or_b32_sdwa v4, v18, v4 dst_sel:WORD_1 dst_unused:UNUSED_PAD src0_sel:BYTE_0 src1_sel:DWORD
	v_lshrrev_b16 v178, 8, v177
	v_or_b32_sdwa v4, v151, v4 dst_sel:DWORD dst_unused:UNUSED_PAD src0_sel:WORD_0 src1_sel:DWORD
	v_sub_nc_u16 v178, v178, v179
	v_lshrrev_b32_e32 v179, 24, v19
	v_lshlrev_b16 v18, 8, v178
	v_sub_nc_u16 v5, v5, v179
	v_lshrrev_b32_e32 v179, 16, v177
	v_sub_nc_u16 v177, v177, v19
	v_lshrrev_b32_e32 v19, 16, v19
	v_lshlrev_b16 v5, 8, v5
	v_or_b32_sdwa v18, v177, v18 dst_sel:DWORD dst_unused:UNUSED_PAD src0_sel:BYTE_0 src1_sel:DWORD
	v_sub_nc_u16 v19, v179, v19
	v_and_b32_e32 v179, 0x3030303, v154
	v_bfe_u32 v154, v154, 24, 2
	v_or_b32_sdwa v5, v19, v5 dst_sel:WORD_1 dst_unused:UNUSED_PAD src0_sel:BYTE_0 src1_sel:DWORD
	v_lshrrev_b16 v180, 8, v179
	v_or_b32_sdwa v5, v18, v5 dst_sel:DWORD dst_unused:UNUSED_PAD src0_sel:WORD_0 src1_sel:DWORD
	v_sub_nc_u16 v180, v180, v181
	v_lshrrev_b32_e32 v181, 24, v8
	;; [unrolled: 15-line block ×5, first 2 shown]
	v_dot4c_i32_i8 v134, v18, v140
	v_lshlrev_b16 v152, 8, v186
	v_sub_nc_u16 v153, v153, v187
	v_lshrrev_b32_e32 v187, 16, v185
	v_sub_nc_u16 v185, v185, v143
	v_lshrrev_b32_e32 v143, 16, v143
	v_lshlrev_b16 v153, 8, v153
	v_or_b32_sdwa v152, v185, v152 dst_sel:DWORD dst_unused:UNUSED_PAD src0_sel:BYTE_0 src1_sel:DWORD
	v_sub_nc_u16 v143, v187, v143
	v_and_b32_e32 v187, 0x3030303, v6
	v_bfe_u32 v6, v6, 24, 2
	v_or_b32_sdwa v143, v143, v153 dst_sel:WORD_1 dst_unused:UNUSED_PAD src0_sel:BYTE_0 src1_sel:DWORD
	v_lshrrev_b16 v188, 8, v187
	v_or_b32_sdwa v19, v152, v143 dst_sel:DWORD dst_unused:UNUSED_PAD src0_sel:WORD_0 src1_sel:DWORD
	v_sub_nc_u16 v188, v188, v189
	v_lshrrev_b32_e32 v189, 24, v20
	v_dot4c_i32_i8 v134, v19, v141
	v_lshlrev_b16 v153, 8, v188
	v_sub_nc_u16 v6, v6, v189
	v_lshrrev_b32_e32 v189, 16, v187
	v_sub_nc_u16 v187, v187, v20
	v_lshrrev_b32_e32 v20, 16, v20
	v_lshlrev_b16 v6, 8, v6
	v_or_b32_sdwa v153, v187, v153 dst_sel:DWORD dst_unused:UNUSED_PAD src0_sel:BYTE_0 src1_sel:DWORD
	v_sub_nc_u16 v20, v189, v20
	v_and_b32_e32 v189, 0x3030303, v7
	v_bfe_u32 v7, v7, 24, 2
	v_or_b32_sdwa v6, v20, v6 dst_sel:WORD_1 dst_unused:UNUSED_PAD src0_sel:BYTE_0 src1_sel:DWORD
	v_lshrrev_b16 v190, 8, v189
	v_or_b32_sdwa v6, v153, v6 dst_sel:DWORD dst_unused:UNUSED_PAD src0_sel:WORD_0 src1_sel:DWORD
	v_sub_nc_u16 v190, v190, v191
	v_lshrrev_b32_e32 v191, 24, v21
	v_lshlrev_b16 v20, 8, v190
	v_sub_nc_u16 v7, v7, v191
	v_lshrrev_b32_e32 v191, 16, v189
	v_sub_nc_u16 v189, v189, v21
	v_lshrrev_b32_e32 v21, 16, v21
	v_lshlrev_b16 v7, 8, v7
	v_or_b32_sdwa v20, v189, v20 dst_sel:DWORD dst_unused:UNUSED_PAD src0_sel:BYTE_0 src1_sel:DWORD
	v_sub_nc_u16 v21, v191, v21
	v_or_b32_sdwa v7, v21, v7 dst_sel:WORD_1 dst_unused:UNUSED_PAD src0_sel:BYTE_0 src1_sel:DWORD
	v_mov_b32_e32 v21, 0
	v_or_b32_sdwa v7, v20, v7 dst_sel:DWORD dst_unused:UNUSED_PAD src0_sel:WORD_0 src1_sel:DWORD
	v_mov_b32_e32 v20, 0
	v_dot4c_i32_i8 v21, v10, v138
	v_add_nc_u32_e32 v10, s21, v94
	v_dot4c_i32_i8 v20, v14, v138
	v_mov_b32_e32 v14, 0
	v_dot4c_i32_i8 v21, v11, v139
	v_dot4c_i32_i8 v20, v15, v139
	;; [unrolled: 1-line block ×3, first 2 shown]
	v_add_nc_u32_e32 v4, s21, v92
	ds_read_u16 v10, v10 offset:25330
	ds_read_u16 v4, v4 offset:27378
	v_dot4c_i32_i8 v14, v5, v139
	v_bfe_i32 v5, v144, 0, 8
	v_dot4c_i32_i8 v21, v12, v140
	v_lshrrev_b16 v12, 8, v131
	v_bfe_i32 v131, v131, 0, 8
	v_dot4c_i32_i8 v14, v6, v140
	v_mul_lo_u32 v5, v147, v5
	v_dot4c_i32_i8 v20, v8, v140
	v_dot4c_i32_i8 v21, v13, v141
	ds_read_b32 v16, v130
	v_dot4c_i32_i8 v14, v7, v141
	v_mul_lo_u32 v7, v159, v131
	v_dot4c_i32_i8 v20, v9, v141
	v_bfe_i32 v12, v12, 0, 8
	v_add_nc_u32_e32 v130, 4, v130
	s_mov_b32 s21, s20
	s_waitcnt lgkmcnt(2)
	v_lshrrev_b16 v11, 8, v10
	v_bfe_i32 v10, v10, 0, 8
	s_waitcnt lgkmcnt(1)
	v_lshrrev_b16 v15, 8, v4
	v_bfe_i32 v17, v4, 0, 8
	v_lshrrev_b16 v4, 8, v144
	v_bfe_i32 v11, v11, 0, 8
	v_bfe_i32 v15, v15, 0, 8
	v_mul_lo_u32 v6, v145, v17
	v_bfe_i32 v135, v4, 0, 8
	v_mul_lo_u32 v4, v164, v10
	v_mad_u64_u32 v[8:9], null, v21, v11, v[4:5]
	v_mad_u64_u32 v[9:10], null, v20, v135, v[5:6]
	;; [unrolled: 1-line block ×3, first 2 shown]
	s_waitcnt lgkmcnt(0)
	v_mul_f32_e32 v4, v16, v133
	v_mul_f32_e32 v5, v16, v146
	v_mad_u64_u32 v[11:12], null, v14, v12, v[7:8]
	v_mul_f32_e32 v6, v16, v132
	v_mul_f32_e32 v7, v16, v156
	v_cvt_f32_i32_e32 v8, v8
	v_cvt_f32_i32_e32 v9, v9
	;; [unrolled: 1-line block ×4, first 2 shown]
	v_fmac_f32_e32 v23, v4, v8
	v_fmac_f32_e32 v88, v5, v9
	;; [unrolled: 1-line block ×4, first 2 shown]
	s_cbranch_scc1 .LBB189_27
; %bb.28:                               ;   in Loop: Header=BB189_5 Depth=1
	s_or_b32 s1, s4, 0x180
	s_cmp_ge_i32 s1, s15
	s_barrier
	buffer_gl0_inv
	s_cbranch_scc1 .LBB189_4
; %bb.29:                               ;   in Loop: Header=BB189_5 Depth=1
	v_add_nc_u32_e32 v4, s5, v87
	v_cmp_gt_i32_e64 s1, s9, v4
	s_and_b32 s4, s0, s1
	s_and_saveexec_b32 s1, s4
	s_cbranch_execz .LBB189_31
; %bb.30:                               ;   in Loop: Header=BB189_5 Depth=1
	v_add_nc_u32_e32 v4, v89, v4
	v_mad_i64_i32 v[4:5], null, v4, 36, v[1:2]
	global_load_dword v4, v[4:5], off offset:4
	s_waitcnt vmcnt(0)
	ds_write_b32 v82, v4
.LBB189_31:                             ;   in Loop: Header=BB189_5 Depth=1
	s_or_b32 exec_lo, exec_lo, s1
	s_and_saveexec_b32 s4, vcc_lo
	s_cbranch_execz .LBB189_34
; %bb.32:                               ;   in Loop: Header=BB189_5 Depth=1
	v_or_b32_e32 v4, 12, v128
	v_cmp_gt_i32_e64 s1, s9, v4
	s_and_b32 s1, s0, s1
	s_and_b32 exec_lo, exec_lo, s1
	s_cbranch_execz .LBB189_34
; %bb.33:                               ;   in Loop: Header=BB189_5 Depth=1
	v_ashrrev_i32_e32 v4, 31, v128
	v_add_co_u32 v5, s1, v89, v128
	v_add_co_ci_u32_e64 v6, null, v95, v4, s1
	v_mad_u64_u32 v[4:5], null, v5, 36, s[2:3]
	v_mad_i32_i24 v5, v6, 36, v5
	global_load_dword v4, v[4:5], off offset:432
	s_waitcnt vmcnt(0)
	v_cvt_f32_f16_e32 v4, v4
	ds_write_b32 v83, v4
.LBB189_34:                             ;   in Loop: Header=BB189_5 Depth=1
	s_or_b32 exec_lo, exec_lo, s4
	v_mov_b32_e32 v128, v80
	v_mov_b32_e32 v129, v81
	s_mov_b32 s1, 24
	s_mov_b32 s19, 22
	;; [unrolled: 1-line block ×3, first 2 shown]
	s_waitcnt lgkmcnt(0)
	s_barrier
	buffer_gl0_inv
.LBB189_35:                             ;   Parent Loop BB189_5 Depth=1
                                        ; =>  This Inner Loop Header: Depth=2
	s_add_i32 s5, s19, 2
	s_sub_i32 s20, s19, 22
	s_lshr_b32 s21, s5, 4
	s_and_b32 s22, s5, 0x3ffffff8
	s_lshl_b32 s23, s21, 5
	v_lshl_add_u32 v130, s22, 2, v90
	s_add_i32 s22, s23, 0x4200
	s_lshl_b32 s21, s21, 2
	v_add3_u32 v8, s22, v112, v113
	v_add3_u32 v9, s22, v115, v116
	;; [unrolled: 1-line block ×3, first 2 shown]
	v_add_nc_u32_e32 v21, 0x1080, v130
	ds_read2_b32 v[18:19], v130 offset1:1
	ds_read2_b32 v[16:17], v130 offset0:2 offset1:3
	ds_read2_b32 v[4:5], v130 offset0:4 offset1:5
	;; [unrolled: 1-line block ×3, first 2 shown]
	ds_read2_b32 v[132:133], v8 offset1:1
	ds_read2_b32 v[134:135], v8 offset0:2 offset1:3
	ds_read2_b32 v[136:137], v9 offset1:1
	ds_read2_b32 v[138:139], v9 offset0:2 offset1:3
	ds_read2_b32 v[145:146], v131 offset0:2 offset1:3
	;; [unrolled: 1-line block ×5, first 2 shown]
	ds_read2_b32 v[147:148], v21 offset1:1
	ds_read2_b32 v[8:9], v9 offset0:6 offset1:7
	v_add_nc_u32_e32 v20, 0x2100, v130
	s_addk_i32 s21, 0x7380
	v_add_nc_u32_e32 v151, 0x2118, v130
	s_waitcnt lgkmcnt(13)
	v_ashrrev_i32_e32 v155, s20, v18
	v_ashrrev_i32_e32 v156, s20, v19
	s_waitcnt lgkmcnt(12)
	v_ashrrev_i32_e32 v157, s20, v16
	v_ashrrev_i32_e32 v158, s20, v17
	s_waitcnt lgkmcnt(9)
	v_ashrrev_i32_e32 v159, s4, v132
	v_and_b32_e32 v171, 0x3030303, v155
	v_ashrrev_i32_e32 v160, s4, v133
	v_bfe_u32 v155, v155, 24, 2
	ds_read2_b32 v[16:17], v131 offset0:4 offset1:5
	ds_read2_b32 v[149:150], v20 offset1:1
	ds_read2_b32 v[18:19], v131 offset1:1
	v_lshlrev_b32_e32 v159, 2, v159
	v_lshrrev_b16 v172, 8, v171
	v_lshlrev_b32_e32 v160, 2, v160
	s_waitcnt lgkmcnt(11)
	v_ashrrev_i32_e32 v161, s4, v134
	v_add3_u32 v20, s22, v123, v124
	v_and_b32_e32 v159, 0x4040404, v159
	v_ashrrev_i32_e32 v162, s4, v135
	v_and_b32_e32 v160, 0x4040404, v160
	v_lshlrev_b32_e32 v161, 2, v161
	s_waitcnt lgkmcnt(10)
	v_ashrrev_i32_e32 v143, s4, v137
	v_lshrrev_b16 v173, 8, v159
	s_waitcnt lgkmcnt(9)
	v_ashrrev_i32_e32 v142, s4, v138
	v_lshrrev_b16 v175, 8, v160
	v_and_b32_e32 v161, 0x4040404, v161
	v_ashrrev_i32_e32 v141, s4, v139
	v_sub_nc_u16 v172, v172, v173
	v_lshrrev_b32_e32 v173, 24, v159
	s_waitcnt lgkmcnt(8)
	v_ashrrev_i32_e32 v138, s4, v145
	v_lshrrev_b16 v177, 8, v161
	s_waitcnt lgkmcnt(0)
	v_ashrrev_i32_e32 v140, s4, v18
	v_add_nc_u32_e32 v18, 0x3180, v130
	v_sub_nc_u16 v155, v155, v173
	v_lshrrev_b32_e32 v173, 16, v171
	v_sub_nc_u16 v171, v171, v159
	v_lshrrev_b32_e32 v159, 16, v159
	v_ashrrev_i32_e32 v139, s4, v19
	v_ashrrev_i32_e32 v137, s4, v146
	ds_read2_b32 v[145:146], v18 offset1:1
	ds_read2_b32 v[18:19], v20 offset1:1
	v_lshlrev_b32_e32 v162, 2, v162
	v_sub_nc_u16 v159, v173, v159
	v_and_b32_e32 v173, 0x3030303, v156
	v_bfe_u32 v156, v156, 24, 2
	v_ashrrev_i32_e32 v144, s4, v136
	v_and_b32_e32 v162, 0x4040404, v162
	v_ashrrev_i32_e32 v163, s20, v147
	v_lshrrev_b16 v174, 8, v173
	v_add_nc_u32_e32 v147, 0x1088, v130
	v_lshlrev_b32_e32 v144, 2, v144
	v_lshrrev_b16 v179, 8, v162
	v_ashrrev_i32_e32 v164, s20, v148
	v_sub_nc_u16 v174, v174, v175
	v_lshrrev_b32_e32 v175, 24, v160
	v_and_b32_e32 v144, 0x4040404, v144
	v_lshlrev_b32_e32 v143, 2, v143
	v_lshlrev_b32_e32 v142, 2, v142
	;; [unrolled: 1-line block ×3, first 2 shown]
	v_sub_nc_u16 v156, v156, v175
	v_lshrrev_b32_e32 v175, 16, v173
	v_sub_nc_u16 v173, v173, v160
	v_lshrrev_b32_e32 v160, 16, v160
	s_waitcnt lgkmcnt(0)
	v_ashrrev_i32_e32 v136, s4, v18
	v_ashrrev_i32_e32 v134, s4, v19
	ds_read2_b32 v[132:133], v20 offset0:2 offset1:3
	ds_read2_b32 v[18:19], v20 offset0:4 offset1:5
	;; [unrolled: 1-line block ×3, first 2 shown]
	v_lshrrev_b16 v181, 8, v144
	v_sub_nc_u16 v160, v175, v160
	v_and_b32_e32 v175, 0x3030303, v157
	v_bfe_u32 v157, v157, 24, 2
	ds_read2_b32 v[147:148], v147 offset1:1
	v_and_b32_e32 v143, 0x4040404, v143
	v_and_b32_e32 v142, 0x4040404, v142
	v_lshrrev_b16 v176, 8, v175
	v_and_b32_e32 v141, 0x4040404, v141
	v_ashrrev_i32_e32 v167, s20, v149
	v_lshrrev_b16 v183, 8, v143
	v_lshrrev_b16 v185, 8, v142
	v_sub_nc_u16 v176, v176, v177
	v_lshrrev_b32_e32 v177, 24, v161
	v_lshrrev_b16 v187, 8, v141
	v_lshlrev_b32_e32 v140, 2, v140
	v_add_nc_u32_e32 v149, 0x2110, v130
	s_waitcnt lgkmcnt(3)
	v_ashrrev_i32_e32 v135, s4, v132
	v_sub_nc_u16 v157, v157, v177
	v_lshrrev_b32_e32 v177, 16, v175
	v_sub_nc_u16 v175, v175, v161
	v_lshrrev_b32_e32 v161, 16, v161
	v_add3_u32 v132, s21, v125, v114
	v_and_b32_e32 v140, 0x4040404, v140
	s_waitcnt lgkmcnt(0)
	v_ashrrev_i32_e32 v165, s20, v147
	v_ashrrev_i32_e32 v166, s20, v148
	v_sub_nc_u16 v161, v177, v161
	v_and_b32_e32 v177, 0x3030303, v158
	v_bfe_u32 v158, v158, 24, 2
	ds_read_b32 v132, v132
	v_lshrrev_b16 v189, 8, v140
	v_add_nc_u32_e32 v147, 0x2108, v130
	v_lshrrev_b16 v178, 8, v177
	v_ashrrev_i32_e32 v168, s20, v150
	v_lshlrev_b32_e32 v139, 2, v139
	ds_read2_b32 v[147:148], v147 offset1:1
	ds_read2_b32 v[149:150], v149 offset1:1
	;; [unrolled: 1-line block ×3, first 2 shown]
	ds_read2_b32 v[153:154], v131 offset0:6 offset1:7
	v_sub_nc_u16 v178, v178, v179
	v_lshrrev_b32_e32 v179, 24, v162
	v_and_b32_e32 v139, 0x4040404, v139
	v_lshlrev_b32_e32 v138, 2, v138
	v_lshlrev_b32_e32 v137, 2, v137
	v_ashrrev_i32_e32 v169, s20, v145
	v_sub_nc_u16 v158, v158, v179
	v_lshrrev_b32_e32 v179, 16, v177
	v_sub_nc_u16 v177, v177, v162
	v_lshrrev_b32_e32 v162, 16, v162
	v_lshrrev_b16 v191, 8, v139
	v_and_b32_e32 v138, 0x4040404, v138
	v_and_b32_e32 v137, 0x4040404, v137
	v_lshlrev_b32_e32 v136, 2, v136
	v_sub_nc_u16 v162, v179, v162
	v_and_b32_e32 v179, 0x3030303, v163
	v_bfe_u32 v163, v163, 24, 2
	s_waitcnt lgkmcnt(3)
	v_ashrrev_i32_e32 v147, s20, v147
	v_lshrrev_b16 v193, 8, v138
	v_ashrrev_i32_e32 v148, s20, v148
	v_lshrrev_b16 v180, 8, v179
	v_lshrrev_b16 v195, 8, v137
	v_and_b32_e32 v136, 0x4040404, v136
	v_add3_u32 v131, s21, v121, v122
	v_add_nc_u32_e32 v145, 0x3188, v130
	v_sub_nc_u16 v180, v180, v181
	v_lshrrev_b32_e32 v181, 24, v144
	v_lshrrev_b16 v197, 8, v136
	ds_read_b32 v131, v131
	v_ashrrev_i32_e32 v170, s20, v146
	ds_read2_b32 v[145:146], v145 offset1:1
	v_sub_nc_u16 v163, v163, v181
	v_lshrrev_b32_e32 v181, 16, v179
	v_sub_nc_u16 v179, v179, v144
	v_lshrrev_b32_e32 v144, 16, v144
	v_lshlrev_b32_e32 v134, 2, v134
	v_lshlrev_b32_e32 v135, 2, v135
	v_ashrrev_i32_e32 v133, s4, v133
	v_lshlrev_b16 v155, 8, v155
	v_sub_nc_u16 v144, v181, v144
	v_and_b32_e32 v181, 0x3030303, v164
	v_bfe_u32 v164, v164, 24, 2
	v_and_b32_e32 v134, 0x4040404, v134
	v_and_b32_e32 v135, 0x4040404, v135
	v_lshlrev_b32_e32 v133, 2, v133
	v_lshrrev_b16 v182, 8, v181
	v_lshlrev_b16 v156, 8, v156
	v_lshrrev_b16 v199, 8, v134
	v_lshrrev_b16 v201, 8, v135
	v_and_b32_e32 v133, 0x4040404, v133
	v_sub_nc_u16 v182, v182, v183
	v_lshrrev_b32_e32 v183, 24, v143
	s_waitcnt lgkmcnt(0)
	v_ashrrev_i32_e32 v145, s20, v145
	v_ashrrev_i32_e32 v146, s20, v146
	v_lshrrev_b16 v203, 8, v133
	v_lshlrev_b16 v157, 8, v157
	v_sub_nc_u16 v164, v164, v183
	v_lshrrev_b32_e32 v183, 16, v181
	v_sub_nc_u16 v181, v181, v143
	v_lshrrev_b32_e32 v143, 16, v143
	v_lshlrev_b16 v158, 8, v158
	v_lshlrev_b16 v172, 8, v172
	v_or_b32_sdwa v155, v159, v155 dst_sel:WORD_1 dst_unused:UNUSED_PAD src0_sel:BYTE_0 src1_sel:DWORD
	v_lshlrev_b16 v159, 8, v174
	v_sub_nc_u16 v143, v183, v143
	v_and_b32_e32 v183, 0x3030303, v165
	v_bfe_u32 v165, v165, 24, 2
	v_or_b32_sdwa v156, v160, v156 dst_sel:WORD_1 dst_unused:UNUSED_PAD src0_sel:BYTE_0 src1_sel:DWORD
	v_lshlrev_b16 v160, 8, v176
	v_or_b32_sdwa v157, v161, v157 dst_sel:WORD_1 dst_unused:UNUSED_PAD src0_sel:BYTE_0 src1_sel:DWORD
	v_lshrrev_b16 v184, 8, v183
	v_lshlrev_b16 v161, 8, v178
	v_or_b32_sdwa v158, v162, v158 dst_sel:WORD_1 dst_unused:UNUSED_PAD src0_sel:BYTE_0 src1_sel:DWORD
	v_lshlrev_b16 v162, 8, v180
	v_lshlrev_b16 v163, 8, v163
	v_sub_nc_u16 v184, v184, v185
	v_lshrrev_b32_e32 v185, 24, v142
	v_or_b32_sdwa v171, v171, v172 dst_sel:DWORD dst_unused:UNUSED_PAD src0_sel:BYTE_0 src1_sel:DWORD
	v_or_b32_sdwa v159, v173, v159 dst_sel:DWORD dst_unused:UNUSED_PAD src0_sel:BYTE_0 src1_sel:DWORD
	;; [unrolled: 1-line block ×4, first 2 shown]
	v_sub_nc_u16 v165, v165, v185
	v_lshrrev_b32_e32 v185, 16, v183
	v_sub_nc_u16 v183, v183, v142
	v_lshrrev_b32_e32 v142, 16, v142
	v_or_b32_sdwa v162, v179, v162 dst_sel:DWORD dst_unused:UNUSED_PAD src0_sel:BYTE_0 src1_sel:DWORD
	v_or_b32_sdwa v144, v144, v163 dst_sel:WORD_1 dst_unused:UNUSED_PAD src0_sel:BYTE_0 src1_sel:DWORD
	v_lshlrev_b16 v163, 8, v182
	v_lshlrev_b16 v164, 8, v164
	v_sub_nc_u16 v142, v185, v142
	v_and_b32_e32 v185, 0x3030303, v166
	v_bfe_u32 v166, v166, 24, 2
	v_or_b32_sdwa v144, v162, v144 dst_sel:DWORD dst_unused:UNUSED_PAD src0_sel:WORD_0 src1_sel:DWORD
	v_or_b32_sdwa v163, v181, v163 dst_sel:DWORD dst_unused:UNUSED_PAD src0_sel:BYTE_0 src1_sel:DWORD
	v_or_b32_sdwa v143, v143, v164 dst_sel:WORD_1 dst_unused:UNUSED_PAD src0_sel:BYTE_0 src1_sel:DWORD
	v_lshrrev_b16 v186, 8, v185
	v_ashrrev_i32_e32 v10, s4, v10
	v_ashrrev_i32_e32 v11, s4, v11
	v_lshlrev_b16 v164, 8, v184
	v_or_b32_sdwa v143, v163, v143 dst_sel:DWORD dst_unused:UNUSED_PAD src0_sel:WORD_0 src1_sel:DWORD
	v_sub_nc_u16 v186, v186, v187
	v_lshrrev_b32_e32 v187, 24, v141
	v_mov_b32_e32 v163, 0
	v_lshlrev_b32_e32 v10, 2, v10
	v_lshlrev_b32_e32 v11, 2, v11
	v_lshlrev_b16 v165, 8, v165
	v_sub_nc_u16 v166, v166, v187
	v_lshrrev_b32_e32 v187, 16, v185
	v_sub_nc_u16 v185, v185, v141
	v_lshrrev_b32_e32 v141, 16, v141
	v_and_b32_e32 v10, 0x4040404, v10
	v_lshlrev_b16 v166, 8, v166
	v_and_b32_e32 v11, 0x4040404, v11
	v_or_b32_sdwa v164, v183, v164 dst_sel:DWORD dst_unused:UNUSED_PAD src0_sel:BYTE_0 src1_sel:DWORD
	v_sub_nc_u16 v141, v187, v141
	v_and_b32_e32 v187, 0x3030303, v167
	v_bfe_u32 v167, v167, 24, 2
	v_or_b32_sdwa v142, v142, v165 dst_sel:WORD_1 dst_unused:UNUSED_PAD src0_sel:BYTE_0 src1_sel:DWORD
	v_ashrrev_i32_e32 v12, s4, v12
	v_or_b32_sdwa v141, v141, v166 dst_sel:WORD_1 dst_unused:UNUSED_PAD src0_sel:BYTE_0 src1_sel:DWORD
	v_lshrrev_b16 v188, 8, v187
	s_and_b32 s22, s1, -16
	v_or_b32_sdwa v142, v164, v142 dst_sel:DWORD dst_unused:UNUSED_PAD src0_sel:WORD_0 src1_sel:DWORD
	v_lshlrev_b32_e32 v12, 2, v12
	s_add_i32 s19, s19, s22
	v_sub_nc_u16 v188, v188, v189
	v_lshrrev_b32_e32 v189, 24, v140
	v_lshlrev_b16 v165, 8, v186
	v_and_b32_e32 v12, 0x4040404, v12
	v_ashrrev_i32_e32 v13, s4, v13
	v_lshlrev_b16 v166, 8, v188
	v_sub_nc_u16 v167, v167, v189
	v_lshrrev_b32_e32 v189, 16, v187
	v_sub_nc_u16 v187, v187, v140
	v_lshrrev_b32_e32 v140, 16, v140
	v_or_b32_sdwa v165, v185, v165 dst_sel:DWORD dst_unused:UNUSED_PAD src0_sel:BYTE_0 src1_sel:DWORD
	v_lshlrev_b16 v167, 8, v167
	v_lshrrev_b16 v164, 8, v12
	v_or_b32_sdwa v166, v187, v166 dst_sel:DWORD dst_unused:UNUSED_PAD src0_sel:BYTE_0 src1_sel:DWORD
	v_sub_nc_u16 v140, v189, v140
	v_and_b32_e32 v189, 0x3030303, v168
	v_bfe_u32 v168, v168, 24, 2
	v_or_b32_sdwa v141, v165, v141 dst_sel:DWORD dst_unused:UNUSED_PAD src0_sel:WORD_0 src1_sel:DWORD
	v_lshlrev_b32_e32 v13, 2, v13
	v_or_b32_sdwa v140, v140, v167 dst_sel:WORD_1 dst_unused:UNUSED_PAD src0_sel:BYTE_0 src1_sel:DWORD
	v_lshrrev_b16 v190, 8, v189
	v_ashrrev_i32_e32 v14, s4, v14
	v_ashrrev_i32_e32 v15, s4, v15
	v_and_b32_e32 v13, 0x4040404, v13
	v_ashrrev_i32_e32 v16, s4, v16
	v_sub_nc_u16 v190, v190, v191
	v_lshrrev_b32_e32 v191, 24, v139
	v_lshlrev_b32_e32 v14, 2, v14
	v_lshlrev_b32_e32 v15, 2, v15
	v_ashrrev_i32_e32 v149, s20, v149
	v_lshlrev_b16 v167, 8, v190
	v_sub_nc_u16 v168, v168, v191
	v_lshrrev_b32_e32 v191, 16, v189
	v_sub_nc_u16 v189, v189, v139
	v_lshrrev_b32_e32 v139, 16, v139
	v_and_b32_e32 v14, 0x4040404, v14
	v_lshlrev_b16 v168, 8, v168
	v_and_b32_e32 v15, 0x4040404, v15
	v_or_b32_sdwa v167, v189, v167 dst_sel:DWORD dst_unused:UNUSED_PAD src0_sel:BYTE_0 src1_sel:DWORD
	v_sub_nc_u16 v139, v191, v139
	v_and_b32_e32 v191, 0x3030303, v147
	v_bfe_u32 v147, v147, 24, 2
	v_lshlrev_b32_e32 v16, 2, v16
	v_ashrrev_i32_e32 v17, s4, v17
	v_or_b32_sdwa v139, v139, v168 dst_sel:WORD_1 dst_unused:UNUSED_PAD src0_sel:BYTE_0 src1_sel:DWORD
	v_lshrrev_b16 v192, 8, v191
	v_ashrrev_i32_e32 v150, s20, v150
	v_and_b32_e32 v16, 0x4040404, v16
	v_lshlrev_b32_e32 v17, 2, v17
	v_ashrrev_i32_e32 v18, s4, v18
	v_sub_nc_u16 v192, v192, v193
	v_lshrrev_b32_e32 v193, 24, v138
	v_lshrrev_b16 v172, 8, v16
	v_and_b32_e32 v17, 0x4040404, v17
	v_lshlrev_b32_e32 v18, 2, v18
	v_lshlrev_b16 v168, 8, v192
	v_sub_nc_u16 v147, v147, v193
	v_lshrrev_b32_e32 v193, 16, v191
	v_sub_nc_u16 v191, v191, v138
	v_lshrrev_b32_e32 v138, 16, v138
	v_lshrrev_b16 v174, 8, v17
	v_lshlrev_b16 v147, 8, v147
	v_and_b32_e32 v18, 0x4040404, v18
	v_or_b32_sdwa v168, v191, v168 dst_sel:DWORD dst_unused:UNUSED_PAD src0_sel:BYTE_0 src1_sel:DWORD
	v_sub_nc_u16 v138, v193, v138
	v_and_b32_e32 v193, 0x3030303, v148
	v_bfe_u32 v148, v148, 24, 2
	v_lshrrev_b16 v176, 8, v18
	v_ashrrev_i32_e32 v19, s4, v19
	v_or_b32_sdwa v138, v138, v147 dst_sel:WORD_1 dst_unused:UNUSED_PAD src0_sel:BYTE_0 src1_sel:DWORD
	v_lshrrev_b16 v194, 8, v193
	v_ashrrev_i32_e32 v8, s4, v8
	v_ashrrev_i32_e32 v9, s4, v9
	v_lshlrev_b32_e32 v19, 2, v19
	v_ashrrev_i32_e32 v151, s20, v151
	v_sub_nc_u16 v194, v194, v195
	v_lshrrev_b32_e32 v195, 24, v137
	v_lshlrev_b32_e32 v8, 2, v8
	v_and_b32_e32 v19, 0x4040404, v19
	v_lshlrev_b32_e32 v9, 2, v9
	v_lshlrev_b16 v147, 8, v194
	v_sub_nc_u16 v148, v148, v195
	v_lshrrev_b32_e32 v195, 16, v193
	v_sub_nc_u16 v193, v193, v137
	v_lshrrev_b32_e32 v137, 16, v137
	v_lshrrev_b16 v178, 8, v19
	v_lshlrev_b16 v148, 8, v148
	v_and_b32_e32 v8, 0x4040404, v8
	v_or_b32_sdwa v147, v193, v147 dst_sel:DWORD dst_unused:UNUSED_PAD src0_sel:BYTE_0 src1_sel:DWORD
	v_sub_nc_u16 v137, v195, v137
	v_and_b32_e32 v195, 0x3030303, v169
	v_bfe_u32 v169, v169, 24, 2
	v_lshrrev_b16 v180, 8, v8
	v_and_b32_e32 v9, 0x4040404, v9
	v_or_b32_sdwa v137, v137, v148 dst_sel:WORD_1 dst_unused:UNUSED_PAD src0_sel:BYTE_0 src1_sel:DWORD
	v_lshrrev_b16 v196, 8, v195
	v_ashrrev_i32_e32 v152, s20, v152
	v_ashrrev_i32_e32 v20, s4, v20
	v_lshrrev_b16 v182, 8, v9
	v_or_b32_sdwa v147, v147, v137 dst_sel:DWORD dst_unused:UNUSED_PAD src0_sel:WORD_0 src1_sel:DWORD
	v_sub_nc_u16 v196, v196, v197
	v_lshrrev_b32_e32 v197, 24, v136
	v_lshlrev_b32_e32 v20, 2, v20
	v_ashrrev_i32_e32 v21, s4, v21
	s_add_i32 s1, s1, 2
	v_lshlrev_b16 v148, 8, v196
	v_sub_nc_u16 v169, v169, v197
	v_lshrrev_b32_e32 v197, 16, v195
	v_sub_nc_u16 v195, v195, v136
	v_lshrrev_b32_e32 v136, 16, v136
	v_and_b32_e32 v20, 0x4040404, v20
	v_lshlrev_b16 v169, 8, v169
	v_lshlrev_b32_e32 v21, 2, v21
	v_or_b32_sdwa v148, v195, v148 dst_sel:DWORD dst_unused:UNUSED_PAD src0_sel:BYTE_0 src1_sel:DWORD
	v_sub_nc_u16 v136, v197, v136
	v_and_b32_e32 v197, 0x3030303, v170
	v_bfe_u32 v170, v170, 24, 2
	v_lshrrev_b16 v188, 8, v20
	v_and_b32_e32 v21, 0x4040404, v21
	v_or_b32_sdwa v136, v136, v169 dst_sel:WORD_1 dst_unused:UNUSED_PAD src0_sel:BYTE_0 src1_sel:DWORD
	v_lshrrev_b16 v198, 8, v197
	v_lshrrev_b16 v190, 8, v21
	v_or_b32_sdwa v148, v148, v136 dst_sel:DWORD dst_unused:UNUSED_PAD src0_sel:WORD_0 src1_sel:DWORD
	v_sub_nc_u16 v198, v198, v199
	v_lshrrev_b32_e32 v199, 24, v134
	v_lshlrev_b16 v169, 8, v198
	v_sub_nc_u16 v170, v170, v199
	v_lshrrev_b32_e32 v199, 16, v197
	v_sub_nc_u16 v197, v197, v134
	v_lshrrev_b32_e32 v134, 16, v134
	v_lshlrev_b16 v170, 8, v170
	v_or_b32_sdwa v169, v197, v169 dst_sel:DWORD dst_unused:UNUSED_PAD src0_sel:BYTE_0 src1_sel:DWORD
	v_sub_nc_u16 v134, v199, v134
	v_and_b32_e32 v199, 0x3030303, v145
	v_bfe_u32 v145, v145, 24, 2
	v_or_b32_sdwa v134, v134, v170 dst_sel:WORD_1 dst_unused:UNUSED_PAD src0_sel:BYTE_0 src1_sel:DWORD
	v_lshrrev_b16 v200, 8, v199
	v_sub_nc_u16 v200, v200, v201
	v_lshrrev_b32_e32 v201, 24, v135
	v_lshlrev_b16 v170, 8, v200
	v_sub_nc_u16 v145, v145, v201
	v_lshrrev_b32_e32 v201, 16, v199
	v_sub_nc_u16 v199, v199, v135
	v_lshrrev_b32_e32 v135, 16, v135
	v_lshlrev_b16 v145, 8, v145
	v_or_b32_sdwa v170, v199, v170 dst_sel:DWORD dst_unused:UNUSED_PAD src0_sel:BYTE_0 src1_sel:DWORD
	v_sub_nc_u16 v135, v201, v135
	v_and_b32_e32 v201, 0x3030303, v146
	v_bfe_u32 v146, v146, 24, 2
	v_or_b32_sdwa v135, v135, v145 dst_sel:WORD_1 dst_unused:UNUSED_PAD src0_sel:BYTE_0 src1_sel:DWORD
	v_lshrrev_b16 v202, 8, v201
	v_or_b32_sdwa v162, v170, v135 dst_sel:DWORD dst_unused:UNUSED_PAD src0_sel:WORD_0 src1_sel:DWORD
	v_sub_nc_u16 v202, v202, v203
	v_lshrrev_b32_e32 v203, 24, v133
	v_lshrrev_b16 v170, 8, v15
	v_lshlrev_b16 v145, 8, v202
	v_sub_nc_u16 v146, v146, v203
	v_lshrrev_b32_e32 v203, 16, v201
	v_sub_nc_u16 v201, v201, v133
	v_lshrrev_b32_e32 v133, 16, v133
	v_lshlrev_b16 v146, 8, v146
	v_or_b32_sdwa v145, v201, v145 dst_sel:DWORD dst_unused:UNUSED_PAD src0_sel:BYTE_0 src1_sel:DWORD
	v_sub_nc_u16 v133, v203, v133
	v_or_b32_sdwa v133, v133, v146 dst_sel:WORD_1 dst_unused:UNUSED_PAD src0_sel:BYTE_0 src1_sel:DWORD
	v_or_b32_sdwa v146, v171, v155 dst_sel:DWORD dst_unused:UNUSED_PAD src0_sel:WORD_0 src1_sel:DWORD
	v_or_b32_sdwa v155, v159, v156 dst_sel:DWORD dst_unused:UNUSED_PAD src0_sel:WORD_0 src1_sel:DWORD
	v_or_b32_sdwa v156, v160, v157 dst_sel:DWORD dst_unused:UNUSED_PAD src0_sel:WORD_0 src1_sel:DWORD
	v_or_b32_sdwa v157, v161, v158 dst_sel:DWORD dst_unused:UNUSED_PAD src0_sel:WORD_0 src1_sel:DWORD
	v_or_b32_sdwa v158, v166, v140 dst_sel:DWORD dst_unused:UNUSED_PAD src0_sel:WORD_0 src1_sel:DWORD
	v_or_b32_sdwa v159, v167, v139 dst_sel:DWORD dst_unused:UNUSED_PAD src0_sel:WORD_0 src1_sel:DWORD
	v_or_b32_sdwa v160, v168, v138 dst_sel:DWORD dst_unused:UNUSED_PAD src0_sel:WORD_0 src1_sel:DWORD
	v_or_b32_sdwa v161, v169, v134 dst_sel:DWORD dst_unused:UNUSED_PAD src0_sel:WORD_0 src1_sel:DWORD
	v_or_b32_sdwa v145, v145, v133 dst_sel:DWORD dst_unused:UNUSED_PAD src0_sel:WORD_0 src1_sel:DWORD
	ds_read_b128 v[133:136], v128
	ds_read_b128 v[137:140], v128 offset:16
	v_lshrrev_b16 v166, 8, v13
	v_lshrrev_b16 v168, 8, v14
	v_add_nc_u32_e32 v128, 32, v128
	s_waitcnt lgkmcnt(1)
	v_dot4c_i32_i8 v163, v146, v133
	v_mov_b32_e32 v146, 0
	v_dot4c_i32_i8 v163, v155, v134
	v_dot4c_i32_i8 v146, v144, v133
	v_mov_b32_e32 v144, 0
	v_dot4c_i32_i8 v163, v156, v135
	v_dot4c_i32_i8 v146, v143, v134
	;; [unrolled: 1-line block ×3, first 2 shown]
	v_mov_b32_e32 v158, 0
	v_dot4c_i32_i8 v163, v157, v136
	v_dot4c_i32_i8 v146, v142, v135
	;; [unrolled: 1-line block ×4, first 2 shown]
	v_ashrrev_i32_e32 v133, s20, v4
	v_lshrrev_b16 v159, 8, v10
	v_add_nc_u32_e32 v4, s19, v93
	v_dot4c_i32_i8 v144, v160, v135
	v_dot4c_i32_i8 v158, v161, v134
	v_and_b32_e32 v156, 0x3030303, v133
	v_bfe_u32 v133, v133, 24, 2
	v_ashrrev_i32_e32 v134, s20, v5
	v_lshrrev_b16 v161, 8, v11
	v_dot4c_i32_i8 v158, v162, v135
	v_lshrrev_b16 v157, 8, v156
	v_ashrrev_i32_e32 v135, s20, v6
	ds_read_u16 v143, v4 offset:26354
	v_add3_u32 v4, s21, v117, v118
	v_dot4c_i32_i8 v158, v145, v136
	v_sub_nc_u16 v157, v157, v159
	v_lshrrev_b32_e32 v159, 24, v10
	v_add_nc_u32_e32 v6, 0x1098, v130
	ds_read_b32 v145, v4
	v_add_nc_u32_e32 v4, 0x1090, v130
	v_dot4c_i32_i8 v146, v141, v136
	v_sub_nc_u16 v133, v133, v159
	v_lshrrev_b32_e32 v159, 16, v156
	v_sub_nc_u16 v156, v156, v10
	v_lshrrev_b32_e32 v10, 16, v10
	v_dot4c_i32_i8 v144, v147, v136
	v_ashrrev_i32_e32 v136, s20, v7
	ds_read2_b32 v[4:5], v4 offset1:1
	ds_read2_b32 v[6:7], v6 offset1:1
	v_ashrrev_i32_e32 v141, s4, v153
	v_sub_nc_u16 v10, v159, v10
	v_and_b32_e32 v159, 0x3030303, v134
	v_bfe_u32 v134, v134, 24, 2
	v_ashrrev_i32_e32 v142, s4, v154
	v_lshlrev_b32_e32 v141, 2, v141
	v_lshlrev_b16 v157, 8, v157
	v_lshrrev_b16 v160, 8, v159
	v_lshlrev_b16 v133, 8, v133
	v_lshlrev_b32_e32 v142, 2, v142
	v_and_b32_e32 v141, 0x4040404, v141
	v_or_b32_sdwa v156, v156, v157 dst_sel:DWORD dst_unused:UNUSED_PAD src0_sel:BYTE_0 src1_sel:DWORD
	v_sub_nc_u16 v160, v160, v161
	v_lshrrev_b32_e32 v161, 24, v11
	v_and_b32_e32 v142, 0x4040404, v142
	v_lshrrev_b16 v184, 8, v141
	v_or_b32_sdwa v10, v10, v133 dst_sel:WORD_1 dst_unused:UNUSED_PAD src0_sel:BYTE_0 src1_sel:DWORD
	v_lshlrev_b16 v133, 8, v160
	v_sub_nc_u16 v134, v134, v161
	v_lshrrev_b32_e32 v161, 16, v159
	v_sub_nc_u16 v159, v159, v11
	v_lshrrev_b32_e32 v11, 16, v11
	s_waitcnt lgkmcnt(1)
	v_ashrrev_i32_e32 v147, s20, v4
	v_ashrrev_i32_e32 v148, s20, v5
	v_add_nc_u32_e32 v5, s19, v91
	s_waitcnt lgkmcnt(0)
	v_ashrrev_i32_e32 v153, s20, v6
	v_sub_nc_u16 v11, v161, v11
	v_and_b32_e32 v161, 0x3030303, v135
	v_bfe_u32 v135, v135, 24, 2
	v_add_nc_u32_e32 v4, 0x3190, v130
	v_add_nc_u32_e32 v6, 0x3198, v130
	ds_read_u16 v130, v5 offset:28402
	v_lshrrev_b16 v162, 8, v161
	v_add3_u32 v5, s21, v126, v127
	v_ashrrev_i32_e32 v154, s20, v7
	ds_read_b32 v155, v5
	ds_read2_b32 v[4:5], v4 offset1:1
	ds_read2_b32 v[6:7], v6 offset1:1
	v_sub_nc_u16 v162, v162, v164
	v_lshrrev_b32_e32 v164, 24, v12
	v_lshrrev_b16 v186, 8, v142
	v_or_b32_sdwa v10, v156, v10 dst_sel:DWORD dst_unused:UNUSED_PAD src0_sel:WORD_0 src1_sel:DWORD
	v_lshlrev_b16 v134, 8, v134
	v_or_b32_sdwa v133, v159, v133 dst_sel:DWORD dst_unused:UNUSED_PAD src0_sel:BYTE_0 src1_sel:DWORD
	v_sub_nc_u16 v135, v135, v164
	v_lshrrev_b32_e32 v164, 16, v161
	v_sub_nc_u16 v161, v161, v12
	v_lshrrev_b32_e32 v12, 16, v12
	v_or_b32_sdwa v11, v11, v134 dst_sel:WORD_1 dst_unused:UNUSED_PAD src0_sel:BYTE_0 src1_sel:DWORD
	v_lshlrev_b16 v134, 8, v162
	v_lshlrev_b16 v135, 8, v135
	s_add_i32 s4, s4, 1
	v_sub_nc_u16 v12, v164, v12
	v_and_b32_e32 v164, 0x3030303, v136
	v_bfe_u32 v136, v136, 24, 2
	v_or_b32_sdwa v11, v133, v11 dst_sel:DWORD dst_unused:UNUSED_PAD src0_sel:WORD_0 src1_sel:DWORD
	s_waitcnt lgkmcnt(1)
	v_ashrrev_i32_e32 v4, s20, v4
	v_ashrrev_i32_e32 v5, s20, v5
	v_lshrrev_b16 v165, 8, v164
	s_waitcnt lgkmcnt(0)
	v_ashrrev_i32_e32 v6, s20, v6
	v_ashrrev_i32_e32 v7, s20, v7
	v_mov_b32_e32 v133, 0
	v_or_b32_sdwa v134, v161, v134 dst_sel:DWORD dst_unused:UNUSED_PAD src0_sel:BYTE_0 src1_sel:DWORD
	v_sub_nc_u16 v165, v165, v166
	v_lshrrev_b32_e32 v166, 24, v13
	v_or_b32_sdwa v12, v12, v135 dst_sel:WORD_1 dst_unused:UNUSED_PAD src0_sel:BYTE_0 src1_sel:DWORD
	s_cmp_lt_u32 s5, 30
	v_lshlrev_b16 v135, 8, v165
	v_sub_nc_u16 v136, v136, v166
	v_lshrrev_b32_e32 v166, 16, v164
	v_sub_nc_u16 v164, v164, v13
	v_lshrrev_b32_e32 v13, 16, v13
	v_or_b32_sdwa v12, v134, v12 dst_sel:DWORD dst_unused:UNUSED_PAD src0_sel:WORD_0 src1_sel:DWORD
	v_lshlrev_b16 v136, 8, v136
	v_or_b32_sdwa v135, v164, v135 dst_sel:DWORD dst_unused:UNUSED_PAD src0_sel:BYTE_0 src1_sel:DWORD
	v_sub_nc_u16 v13, v166, v13
	v_and_b32_e32 v166, 0x3030303, v147
	v_bfe_u32 v147, v147, 24, 2
	v_or_b32_sdwa v13, v13, v136 dst_sel:WORD_1 dst_unused:UNUSED_PAD src0_sel:BYTE_0 src1_sel:DWORD
	v_lshrrev_b16 v167, 8, v166
	v_or_b32_sdwa v13, v135, v13 dst_sel:DWORD dst_unused:UNUSED_PAD src0_sel:WORD_0 src1_sel:DWORD
	v_sub_nc_u16 v167, v167, v168
	v_lshrrev_b32_e32 v168, 24, v14
	v_lshlrev_b16 v136, 8, v167
	v_sub_nc_u16 v147, v147, v168
	v_lshrrev_b32_e32 v168, 16, v166
	v_sub_nc_u16 v166, v166, v14
	v_lshrrev_b32_e32 v14, 16, v14
	v_lshlrev_b16 v147, 8, v147
	v_or_b32_sdwa v136, v166, v136 dst_sel:DWORD dst_unused:UNUSED_PAD src0_sel:BYTE_0 src1_sel:DWORD
	v_sub_nc_u16 v14, v168, v14
	v_and_b32_e32 v168, 0x3030303, v148
	v_bfe_u32 v148, v148, 24, 2
	v_or_b32_sdwa v14, v14, v147 dst_sel:WORD_1 dst_unused:UNUSED_PAD src0_sel:BYTE_0 src1_sel:DWORD
	v_lshrrev_b16 v169, 8, v168
	v_or_b32_sdwa v14, v136, v14 dst_sel:DWORD dst_unused:UNUSED_PAD src0_sel:WORD_0 src1_sel:DWORD
	v_sub_nc_u16 v169, v169, v170
	v_lshrrev_b32_e32 v170, 24, v15
	v_lshlrev_b16 v147, 8, v169
	v_sub_nc_u16 v148, v148, v170
	v_lshrrev_b32_e32 v170, 16, v168
	v_sub_nc_u16 v168, v168, v15
	v_lshrrev_b32_e32 v15, 16, v15
	;; [unrolled: 15-line block ×3, first 2 shown]
	v_lshlrev_b16 v149, 8, v149
	v_or_b32_sdwa v148, v170, v148 dst_sel:DWORD dst_unused:UNUSED_PAD src0_sel:BYTE_0 src1_sel:DWORD
	v_sub_nc_u16 v16, v172, v16
	v_and_b32_e32 v172, 0x3030303, v150
	v_bfe_u32 v150, v150, 24, 2
	v_or_b32_sdwa v16, v16, v149 dst_sel:WORD_1 dst_unused:UNUSED_PAD src0_sel:BYTE_0 src1_sel:DWORD
	v_lshrrev_b16 v173, 8, v172
	v_or_b32_sdwa v16, v148, v16 dst_sel:DWORD dst_unused:UNUSED_PAD src0_sel:WORD_0 src1_sel:DWORD
	v_sub_nc_u16 v173, v173, v174
	v_lshrrev_b32_e32 v174, 24, v17
	v_dot4c_i32_i8 v133, v16, v137
	v_lshlrev_b16 v149, 8, v173
	v_sub_nc_u16 v150, v150, v174
	v_lshrrev_b32_e32 v174, 16, v172
	v_sub_nc_u16 v172, v172, v17
	v_lshrrev_b32_e32 v17, 16, v17
	v_lshlrev_b16 v150, 8, v150
	v_or_b32_sdwa v149, v172, v149 dst_sel:DWORD dst_unused:UNUSED_PAD src0_sel:BYTE_0 src1_sel:DWORD
	v_sub_nc_u16 v17, v174, v17
	v_and_b32_e32 v174, 0x3030303, v4
	v_bfe_u32 v4, v4, 24, 2
	v_or_b32_sdwa v17, v17, v150 dst_sel:WORD_1 dst_unused:UNUSED_PAD src0_sel:BYTE_0 src1_sel:DWORD
	v_lshrrev_b16 v175, 8, v174
	v_or_b32_sdwa v17, v149, v17 dst_sel:DWORD dst_unused:UNUSED_PAD src0_sel:WORD_0 src1_sel:DWORD
	v_sub_nc_u16 v175, v175, v176
	v_lshrrev_b32_e32 v176, 24, v18
	v_dot4c_i32_i8 v133, v17, v138
	v_lshlrev_b16 v150, 8, v175
	v_sub_nc_u16 v4, v4, v176
	v_lshrrev_b32_e32 v176, 16, v174
	v_sub_nc_u16 v174, v174, v18
	v_lshrrev_b32_e32 v18, 16, v18
	v_lshlrev_b16 v4, 8, v4
	v_or_b32_sdwa v150, v174, v150 dst_sel:DWORD dst_unused:UNUSED_PAD src0_sel:BYTE_0 src1_sel:DWORD
	v_sub_nc_u16 v18, v176, v18
	v_and_b32_e32 v176, 0x3030303, v5
	v_bfe_u32 v5, v5, 24, 2
	v_or_b32_sdwa v4, v18, v4 dst_sel:WORD_1 dst_unused:UNUSED_PAD src0_sel:BYTE_0 src1_sel:DWORD
	v_lshrrev_b16 v177, 8, v176
	v_or_b32_sdwa v4, v150, v4 dst_sel:DWORD dst_unused:UNUSED_PAD src0_sel:WORD_0 src1_sel:DWORD
	v_sub_nc_u16 v177, v177, v178
	v_lshrrev_b32_e32 v178, 24, v19
	v_lshlrev_b16 v18, 8, v177
	v_sub_nc_u16 v5, v5, v178
	v_lshrrev_b32_e32 v178, 16, v176
	v_sub_nc_u16 v176, v176, v19
	v_lshrrev_b32_e32 v19, 16, v19
	v_lshlrev_b16 v5, 8, v5
	v_or_b32_sdwa v18, v176, v18 dst_sel:DWORD dst_unused:UNUSED_PAD src0_sel:BYTE_0 src1_sel:DWORD
	v_sub_nc_u16 v19, v178, v19
	v_and_b32_e32 v178, 0x3030303, v153
	v_bfe_u32 v153, v153, 24, 2
	v_or_b32_sdwa v5, v19, v5 dst_sel:WORD_1 dst_unused:UNUSED_PAD src0_sel:BYTE_0 src1_sel:DWORD
	v_lshrrev_b16 v179, 8, v178
	v_or_b32_sdwa v5, v18, v5 dst_sel:DWORD dst_unused:UNUSED_PAD src0_sel:WORD_0 src1_sel:DWORD
	v_sub_nc_u16 v179, v179, v180
	v_lshrrev_b32_e32 v180, 24, v8
	;; [unrolled: 15-line block ×5, first 2 shown]
	v_dot4c_i32_i8 v133, v18, v139
	v_lshlrev_b16 v151, 8, v185
	v_sub_nc_u16 v152, v152, v186
	v_lshrrev_b32_e32 v186, 16, v184
	v_sub_nc_u16 v184, v184, v142
	v_lshrrev_b32_e32 v142, 16, v142
	v_lshlrev_b16 v152, 8, v152
	v_or_b32_sdwa v151, v184, v151 dst_sel:DWORD dst_unused:UNUSED_PAD src0_sel:BYTE_0 src1_sel:DWORD
	v_sub_nc_u16 v142, v186, v142
	v_and_b32_e32 v186, 0x3030303, v6
	v_bfe_u32 v6, v6, 24, 2
	v_or_b32_sdwa v142, v142, v152 dst_sel:WORD_1 dst_unused:UNUSED_PAD src0_sel:BYTE_0 src1_sel:DWORD
	v_lshrrev_b16 v187, 8, v186
	v_or_b32_sdwa v19, v151, v142 dst_sel:DWORD dst_unused:UNUSED_PAD src0_sel:WORD_0 src1_sel:DWORD
	v_sub_nc_u16 v187, v187, v188
	v_lshrrev_b32_e32 v188, 24, v20
	v_dot4c_i32_i8 v133, v19, v140
	v_lshlrev_b16 v152, 8, v187
	v_sub_nc_u16 v6, v6, v188
	v_lshrrev_b32_e32 v188, 16, v186
	v_sub_nc_u16 v186, v186, v20
	v_lshrrev_b32_e32 v20, 16, v20
	v_lshlrev_b16 v6, 8, v6
	v_or_b32_sdwa v152, v186, v152 dst_sel:DWORD dst_unused:UNUSED_PAD src0_sel:BYTE_0 src1_sel:DWORD
	v_sub_nc_u16 v20, v188, v20
	v_and_b32_e32 v188, 0x3030303, v7
	v_bfe_u32 v7, v7, 24, 2
	v_or_b32_sdwa v6, v20, v6 dst_sel:WORD_1 dst_unused:UNUSED_PAD src0_sel:BYTE_0 src1_sel:DWORD
	v_lshrrev_b16 v189, 8, v188
	v_or_b32_sdwa v6, v152, v6 dst_sel:DWORD dst_unused:UNUSED_PAD src0_sel:WORD_0 src1_sel:DWORD
	v_sub_nc_u16 v189, v189, v190
	v_lshrrev_b32_e32 v190, 24, v21
	v_lshlrev_b16 v20, 8, v189
	v_sub_nc_u16 v7, v7, v190
	v_lshrrev_b32_e32 v190, 16, v188
	v_sub_nc_u16 v188, v188, v21
	v_lshrrev_b32_e32 v21, 16, v21
	v_lshlrev_b16 v7, 8, v7
	v_or_b32_sdwa v20, v188, v20 dst_sel:DWORD dst_unused:UNUSED_PAD src0_sel:BYTE_0 src1_sel:DWORD
	v_sub_nc_u16 v21, v190, v21
	v_or_b32_sdwa v7, v21, v7 dst_sel:WORD_1 dst_unused:UNUSED_PAD src0_sel:BYTE_0 src1_sel:DWORD
	v_mov_b32_e32 v21, 0
	v_or_b32_sdwa v7, v20, v7 dst_sel:DWORD dst_unused:UNUSED_PAD src0_sel:WORD_0 src1_sel:DWORD
	v_mov_b32_e32 v20, 0
	v_dot4c_i32_i8 v21, v10, v137
	v_add_nc_u32_e32 v10, s19, v94
	v_dot4c_i32_i8 v20, v14, v137
	v_mov_b32_e32 v14, 0
	v_dot4c_i32_i8 v21, v11, v138
	v_dot4c_i32_i8 v20, v15, v138
	;; [unrolled: 1-line block ×3, first 2 shown]
	v_add_nc_u32_e32 v4, s19, v92
	ds_read_u16 v10, v10 offset:25330
	ds_read_u16 v4, v4 offset:27378
	v_dot4c_i32_i8 v14, v5, v138
	v_bfe_i32 v5, v143, 0, 8
	v_dot4c_i32_i8 v21, v12, v139
	v_lshrrev_b16 v12, 8, v130
	v_bfe_i32 v130, v130, 0, 8
	v_dot4c_i32_i8 v14, v6, v139
	v_mul_lo_u32 v5, v146, v5
	v_dot4c_i32_i8 v20, v8, v139
	v_dot4c_i32_i8 v21, v13, v140
	ds_read_b32 v16, v129
	v_dot4c_i32_i8 v14, v7, v140
	v_mul_lo_u32 v7, v158, v130
	v_dot4c_i32_i8 v20, v9, v140
	v_bfe_i32 v12, v12, 0, 8
	v_add_nc_u32_e32 v129, 4, v129
	s_mov_b32 s19, s5
	s_waitcnt lgkmcnt(2)
	v_lshrrev_b16 v11, 8, v10
	v_bfe_i32 v10, v10, 0, 8
	s_waitcnt lgkmcnt(1)
	v_lshrrev_b16 v15, 8, v4
	v_bfe_i32 v17, v4, 0, 8
	v_lshrrev_b16 v4, 8, v143
	v_bfe_i32 v11, v11, 0, 8
	v_bfe_i32 v15, v15, 0, 8
	v_mul_lo_u32 v6, v144, v17
	v_bfe_i32 v134, v4, 0, 8
	v_mul_lo_u32 v4, v163, v10
	v_mad_u64_u32 v[8:9], null, v21, v11, v[4:5]
	v_mad_u64_u32 v[9:10], null, v20, v134, v[5:6]
	;; [unrolled: 1-line block ×3, first 2 shown]
	s_waitcnt lgkmcnt(0)
	v_mul_f32_e32 v4, v16, v132
	v_mul_f32_e32 v5, v16, v145
	v_mad_u64_u32 v[11:12], null, v14, v12, v[7:8]
	v_mul_f32_e32 v6, v16, v131
	v_mul_f32_e32 v7, v16, v155
	v_cvt_f32_i32_e32 v8, v8
	v_cvt_f32_i32_e32 v9, v9
	;; [unrolled: 1-line block ×4, first 2 shown]
	v_fmac_f32_e32 v23, v4, v8
	v_fmac_f32_e32 v88, v5, v9
	;; [unrolled: 1-line block ×4, first 2 shown]
	s_cbranch_scc1 .LBB189_35
; %bb.36:                               ;   in Loop: Header=BB189_5 Depth=1
	s_barrier
	buffer_gl0_inv
	s_branch .LBB189_4
.LBB189_37:
	s_mul_i32 s0, s11, s8
	s_waitcnt vmcnt(0)
	v_cmp_gt_i32_e32 vcc_lo, s0, v22
	s_and_saveexec_b32 s0, vcc_lo
	s_cbranch_execz .LBB189_46
; %bb.38:
	v_add_nc_u32_e32 v1, s6, v0
	v_mul_lo_u32 v0, v22, s10
	s_mov_b32 s0, exec_lo
	v_cmpx_gt_u32_e64 s10, v1
	s_cbranch_execz .LBB189_40
; %bb.39:
	v_add_nc_u32_e32 v4, v0, v1
	v_mov_b32_e32 v5, 0
	v_lshlrev_b64 v[4:5], 2, v[4:5]
	v_add_co_u32 v4, vcc_lo, s12, v4
	v_add_co_ci_u32_e64 v5, null, s13, v5, vcc_lo
	global_store_dword v[4:5], v23, off
.LBB189_40:
	s_or_b32 exec_lo, exec_lo, s0
	v_add_nc_u32_e32 v2, 32, v1
	s_mov_b32 s0, exec_lo
	v_cmpx_gt_u32_e64 s10, v2
	s_cbranch_execz .LBB189_42
; %bb.41:
	v_add_nc_u32_e32 v4, v0, v2
	v_mov_b32_e32 v5, 0
	v_lshlrev_b64 v[4:5], 2, v[4:5]
	v_add_co_u32 v4, vcc_lo, s12, v4
	v_add_co_ci_u32_e64 v5, null, s13, v5, vcc_lo
	global_store_dword v[4:5], v88, off
.LBB189_42:
	s_or_b32 exec_lo, exec_lo, s0
	v_add_nc_u32_e32 v2, 64, v1
	;; [unrolled: 13-line block ×3, first 2 shown]
	v_cmp_gt_u32_e32 vcc_lo, s10, v1
	s_and_b32 exec_lo, exec_lo, vcc_lo
	s_cbranch_execz .LBB189_46
; %bb.45:
	v_add_nc_u32_e32 v0, v0, v1
	v_mov_b32_e32 v1, 0
	v_lshlrev_b64 v[0:1], 2, v[0:1]
	v_add_co_u32 v0, vcc_lo, s12, v0
	v_add_co_ci_u32_e64 v1, null, s13, v1, vcc_lo
	global_store_dword v[0:1], v3, off
.LBB189_46:
	s_endpgm
	.section	.rodata,"a",@progbits
	.p2align	6, 0x0
	.amdhsa_kernel _ZL8moe_q3_KIfLb0EEvPKvS1_PT_PKiS5_S5_iiiiiii
		.amdhsa_group_segment_fixed_size 31776
		.amdhsa_private_segment_fixed_size 0
		.amdhsa_kernarg_size 76
		.amdhsa_user_sgpr_count 6
		.amdhsa_user_sgpr_private_segment_buffer 1
		.amdhsa_user_sgpr_dispatch_ptr 0
		.amdhsa_user_sgpr_queue_ptr 0
		.amdhsa_user_sgpr_kernarg_segment_ptr 1
		.amdhsa_user_sgpr_dispatch_id 0
		.amdhsa_user_sgpr_flat_scratch_init 0
		.amdhsa_user_sgpr_private_segment_size 0
		.amdhsa_wavefront_size32 1
		.amdhsa_uses_dynamic_stack 0
		.amdhsa_system_sgpr_private_segment_wavefront_offset 0
		.amdhsa_system_sgpr_workgroup_id_x 1
		.amdhsa_system_sgpr_workgroup_id_y 1
		.amdhsa_system_sgpr_workgroup_id_z 0
		.amdhsa_system_sgpr_workgroup_info 0
		.amdhsa_system_vgpr_workitem_id 1
		.amdhsa_next_free_vgpr 248
		.amdhsa_next_free_sgpr 26
		.amdhsa_reserve_vcc 1
		.amdhsa_reserve_flat_scratch 0
		.amdhsa_float_round_mode_32 0
		.amdhsa_float_round_mode_16_64 0
		.amdhsa_float_denorm_mode_32 3
		.amdhsa_float_denorm_mode_16_64 3
		.amdhsa_dx10_clamp 1
		.amdhsa_ieee_mode 1
		.amdhsa_fp16_overflow 0
		.amdhsa_workgroup_processor_mode 1
		.amdhsa_memory_ordered 1
		.amdhsa_forward_progress 1
		.amdhsa_shared_vgpr_count 0
		.amdhsa_exception_fp_ieee_invalid_op 0
		.amdhsa_exception_fp_denorm_src 0
		.amdhsa_exception_fp_ieee_div_zero 0
		.amdhsa_exception_fp_ieee_overflow 0
		.amdhsa_exception_fp_ieee_underflow 0
		.amdhsa_exception_fp_ieee_inexact 0
		.amdhsa_exception_int_div_zero 0
	.end_amdhsa_kernel
	.section	.text._ZL8moe_q3_KIfLb0EEvPKvS1_PT_PKiS5_S5_iiiiiii,"axG",@progbits,_ZL8moe_q3_KIfLb0EEvPKvS1_PT_PKiS5_S5_iiiiiii,comdat
.Lfunc_end189:
	.size	_ZL8moe_q3_KIfLb0EEvPKvS1_PT_PKiS5_S5_iiiiiii, .Lfunc_end189-_ZL8moe_q3_KIfLb0EEvPKvS1_PT_PKiS5_S5_iiiiiii
                                        ; -- End function
	.set _ZL8moe_q3_KIfLb0EEvPKvS1_PT_PKiS5_S5_iiiiiii.num_vgpr, 248
	.set _ZL8moe_q3_KIfLb0EEvPKvS1_PT_PKiS5_S5_iiiiiii.num_agpr, 0
	.set _ZL8moe_q3_KIfLb0EEvPKvS1_PT_PKiS5_S5_iiiiiii.numbered_sgpr, 26
	.set _ZL8moe_q3_KIfLb0EEvPKvS1_PT_PKiS5_S5_iiiiiii.num_named_barrier, 0
	.set _ZL8moe_q3_KIfLb0EEvPKvS1_PT_PKiS5_S5_iiiiiii.private_seg_size, 0
	.set _ZL8moe_q3_KIfLb0EEvPKvS1_PT_PKiS5_S5_iiiiiii.uses_vcc, 1
	.set _ZL8moe_q3_KIfLb0EEvPKvS1_PT_PKiS5_S5_iiiiiii.uses_flat_scratch, 0
	.set _ZL8moe_q3_KIfLb0EEvPKvS1_PT_PKiS5_S5_iiiiiii.has_dyn_sized_stack, 0
	.set _ZL8moe_q3_KIfLb0EEvPKvS1_PT_PKiS5_S5_iiiiiii.has_recursion, 0
	.set _ZL8moe_q3_KIfLb0EEvPKvS1_PT_PKiS5_S5_iiiiiii.has_indirect_call, 0
	.section	.AMDGPU.csdata,"",@progbits
; Kernel info:
; codeLenInByte = 26372
; TotalNumSgprs: 28
; NumVgprs: 248
; ScratchSize: 0
; MemoryBound: 0
; FloatMode: 240
; IeeeMode: 1
; LDSByteSize: 31776 bytes/workgroup (compile time only)
; SGPRBlocks: 0
; VGPRBlocks: 30
; NumSGPRsForWavesPerEU: 28
; NumVGPRsForWavesPerEU: 248
; Occupancy: 4
; WaveLimiterHint : 1
; COMPUTE_PGM_RSRC2:SCRATCH_EN: 0
; COMPUTE_PGM_RSRC2:USER_SGPR: 6
; COMPUTE_PGM_RSRC2:TRAP_HANDLER: 0
; COMPUTE_PGM_RSRC2:TGID_X_EN: 1
; COMPUTE_PGM_RSRC2:TGID_Y_EN: 1
; COMPUTE_PGM_RSRC2:TGID_Z_EN: 0
; COMPUTE_PGM_RSRC2:TIDIG_COMP_CNT: 1
	.section	.text._ZL8moe_q3_KIfLb1EEvPKvS1_PT_PKiS5_S5_iiiiiii,"axG",@progbits,_ZL8moe_q3_KIfLb1EEvPKvS1_PT_PKiS5_S5_iiiiiii,comdat
	.globl	_ZL8moe_q3_KIfLb1EEvPKvS1_PT_PKiS5_S5_iiiiiii ; -- Begin function _ZL8moe_q3_KIfLb1EEvPKvS1_PT_PKiS5_S5_iiiiiii
	.p2align	8
	.type	_ZL8moe_q3_KIfLb1EEvPKvS1_PT_PKiS5_S5_iiiiiii,@function
_ZL8moe_q3_KIfLb1EEvPKvS1_PT_PKiS5_S5_iiiiiii: ; @_ZL8moe_q3_KIfLb1EEvPKvS1_PT_PKiS5_S5_iiiiiii
; %bb.0:
	s_load_dwordx4 s[0:3], s[4:5], 0x18
	s_mov_b32 s8, s7
	s_mov_b32 s9, 0
	s_lshl_b64 s[10:11], s[8:9], 2
	s_waitcnt lgkmcnt(0)
	s_add_u32 s2, s2, s10
	s_addc_u32 s3, s3, s11
	s_load_dword s7, s[2:3], 0x0
	s_waitcnt lgkmcnt(0)
	s_cmpk_gt_u32 s7, 0xff
	s_cbranch_scc1 .LBB190_46
; %bb.1:
	s_load_dwordx2 s[2:3], s[4:5], 0x28
	s_waitcnt lgkmcnt(0)
	s_load_dword s3, s[2:3], 0x0
	s_lshl_b32 s2, s8, 3
	s_waitcnt lgkmcnt(0)
	s_cmp_gt_u32 s2, s3
	s_cbranch_scc1 .LBB190_46
; %bb.2:
	v_add_nc_u32_e32 v17, s2, v1
	v_mov_b32_e32 v18, 0
	s_lshl_b32 s6, s6, 7
	v_lshlrev_b64 v[2:3], 2, v[17:18]
	v_mov_b32_e32 v85, v18
	v_mov_b32_e32 v86, v18
	;; [unrolled: 1-line block ×3, first 2 shown]
	v_add_co_u32 v2, vcc_lo, s0, v2
	v_add_co_ci_u32_e64 v3, null, s1, v3, vcc_lo
	global_load_dword v39, v[2:3], off
	s_clause 0x1
	s_load_dwordx8 s[8:15], s[4:5], 0x30
	s_load_dwordx2 s[16:17], s[4:5], 0x10
	s_waitcnt lgkmcnt(0)
	s_cmpk_lt_i32 s9, 0x100
	s_cbranch_scc1 .LBB190_37
; %bb.3:
	s_load_dwordx4 s[0:3], s[4:5], 0x0
	s_ashr_i32 s4, s9, 31
	v_lshlrev_b32_e32 v21, 4, v1
	s_lshr_b32 s4, s4, 24
	v_lshrrev_b32_e32 v51, 1, v0
	s_ashr_i32 s5, s12, 31
	s_add_i32 s4, s9, s4
	s_lshr_b32 s5, s5, 27
	s_mul_i32 s15, s7, s8
	s_ashr_i32 s7, s4, 8
	s_add_i32 s4, s12, s5
	v_add_nc_u32_e32 v15, v51, v21
	s_mul_i32 s5, s7, s6
	s_ashr_i32 s18, s15, 31
	s_ashr_i32 s8, s4, 5
	s_mul_hi_i32 s4, s5, 0x6e
	s_mulk_i32 s5, 0x6e
	v_and_b32_e32 v15, 0x7f, v15
	v_lshrrev_b32_e32 v70, 3, v0
	v_and_b32_e32 v20, 15, v0
	s_waitcnt lgkmcnt(0)
	s_add_u32 s0, s0, s15
	s_addc_u32 s1, s1, s18
	s_add_u32 s12, s0, s5
	s_addc_u32 s15, s1, s4
	s_not_b32 s0, s6
	s_abs_i32 s1, s14
	s_add_i32 s0, s10, s0
	v_and_b32_e32 v59, 1, v0
	v_min_i32_e32 v22, s0, v15
	v_cvt_f32_u32_e32 v73, s1
	v_lshl_add_u32 v78, v1, 2, v70
	v_cmp_lt_u32_e32 vcc_lo, 7, v20
	v_lshlrev_b32_e32 v26, 2, v59
	v_ashrrev_i32_e32 v18, 31, v22
	v_and_b32_e32 v77, 3, v0
	v_rcp_iflag_f32_e32 v76, v73
	v_min_i32_e32 v79, s0, v78
	v_cndmask_b32_e64 v62, 0, 1, vcc_lo
	v_lshrrev_b32_e32 v18, 28, v18
	v_add_nc_u16 v74, v77, -2
	v_cmp_gt_u32_e32 vcc_lo, 2, v77
	v_ashrrev_i32_e32 v75, 31, v79
	v_mov_b32_e32 v81, 2
	v_add_nc_u32_e32 v18, v22, v18
	s_sub_i32 s4, 0, s1
	v_cndmask_b32_e32 v80, v74, v77, vcc_lo
	v_lshrrev_b32_e32 v82, 30, v75
	v_add_nc_u32_e32 v84, 0x60, v78
	v_ashrrev_i32_e32 v18, 4, v18
	v_add_nc_u32_e32 v2, 8, v1
	v_add_nc_u32_e32 v4, 16, v1
	;; [unrolled: 1-line block ×4, first 2 shown]
	v_lshlrev_b32_e32 v25, 2, v18
	v_min_i32_e32 v84, s0, v84
	v_lshlrev_b32_e32 v19, 2, v0
	v_min_i32_e32 v3, s0, v1
	v_add_nc_u32_e32 v9, 40, v1
	v_add3_u32 v25, v25, v26, 0x7380
	v_and_b32_e32 v26, 7, v0
	v_min_i32_e32 v5, s0, v2
	v_add_nc_u32_e32 v10, 48, v1
	s_waitcnt vmcnt(0)
	v_sub_nc_u32_e32 v87, 0, v39
	v_min_i32_e32 v6, s0, v4
	v_lshlrev_b32_e32 v63, 2, v26
	v_cmp_lt_u32_e32 vcc_lo, 3, v26
	v_mul_f32_e32 v26, 0x4f7ffffe, v76
	v_lshlrev_b32_sdwa v76, v81, v80 dst_sel:DWORD dst_unused:UNUSED_PAD src0_sel:DWORD src1_sel:BYTE_0
	v_add_nc_u32_e32 v80, v79, v82
	v_add_nc_u32_e32 v82, 64, v78
	;; [unrolled: 1-line block ×3, first 2 shown]
	v_cvt_u32_f32_e32 v26, v26
	v_min_i32_e32 v7, s0, v7
	v_and_b32_e32 v80, -4, v80
	v_min_i32_e32 v82, s0, v82
	v_add_nc_u32_e32 v12, 64, v1
	v_mul_lo_u32 v83, s4, v26
	v_min_i32_e32 v8, s0, v8
	v_add3_u32 v86, v80, v63, 0x6300
	v_ashrrev_i32_e32 v80, 31, v82
	v_add_nc_u32_e32 v13, 0x48, v1
	v_add_nc_u32_e32 v81, 32, v78
	v_mul_lo_u32 v78, v79, s7
	v_lshlrev_b32_e32 v108, 5, v79
	v_mul_hi_u32 v83, v26, v83
	v_lshrrev_b32_e32 v79, 30, v80
	v_ashrrev_i32_e32 v80, 31, v84
	v_mul_lo_u32 v43, v3, s7
	v_mad_u64_u32 v[2:3], null, 0x84, v3, v[19:20]
	v_min_i32_e32 v9, s0, v9
	v_add_nc_u32_e32 v14, 0x50, v1
	v_mad_u64_u32 v[3:4], null, 0x84, v5, v[19:20]
	v_min_i32_e32 v10, s0, v10
	v_add_nc_u32_e32 v16, 0x58, v1
	v_add_nc_u32_e32 v17, 0x60, v1
	v_max_i32_e32 v87, v39, v87
	v_add_nc_u32_e32 v26, v26, v83
	v_mul_lo_u32 v44, v5, s7
	v_mad_u64_u32 v[4:5], null, 0x84, v6, v[19:20]
	v_min_i32_e32 v11, s0, v11
	v_mul_lo_u32 v45, v6, s7
	v_mad_u64_u32 v[5:6], null, 0x84, v7, v[19:20]
	v_min_i32_e32 v12, s0, v12
	;; [unrolled: 3-line block ×3, first 2 shown]
	v_add_nc_u32_e32 v83, v82, v79
	v_lshrrev_b32_e32 v80, 30, v80
	v_mul_lo_u32 v47, v8, s7
	v_mad_u64_u32 v[7:8], null, 0x84, v9, v[19:20]
	v_min_i32_e32 v14, s0, v14
	v_mul_lo_u32 v48, v9, s7
	v_mad_u64_u32 v[8:9], null, 0x84, v10, v[19:20]
	v_min_i32_e32 v16, s0, v16
	v_min_i32_e32 v15, s0, v17
	v_add_nc_u32_e32 v17, 0x68, v1
	v_mul_hi_u32 v26, v87, v26
	v_lshrrev_b32_e32 v41, 4, v0
	v_mul_lo_u32 v49, v10, s7
	v_mad_u64_u32 v[9:10], null, 0x84, v11, v[19:20]
	v_mul_lo_u32 v50, v11, s7
	v_mad_u64_u32 v[10:11], null, 0x84, v12, v[19:20]
	;; [unrolled: 2-line block ×3, first 2 shown]
	v_and_b32_e32 v83, -4, v83
	v_add_nc_u32_e32 v88, v84, v80
	v_mul_lo_u32 v53, v13, s7
	v_mad_u64_u32 v[12:13], null, 0x84, v14, v[19:20]
	v_mul_lo_u32 v54, v14, s7
	v_mul_lo_u32 v55, v16, s7
	v_mad_u64_u32 v[13:14], null, 0x84, v16, v[19:20]
	v_min_i32_e32 v16, s0, v17
	v_add_nc_u32_e32 v17, 0x70, v1
	v_add_nc_u32_e32 v23, 0x78, v1
	v_lshl_add_u32 v24, v1, 1, v41
	v_min_i32_e32 v81, s0, v81
	v_add3_u32 v112, v83, v63, 0x6300
	v_and_b32_e32 v83, -4, v88
	v_mul_lo_u32 v88, v26, s1
	v_min_i32_e32 v17, s0, v17
	v_min_i32_e32 v23, s0, v23
	v_add_nc_u32_e32 v29, 32, v24
	v_ashrrev_i32_e32 v85, 31, v81
	v_mul_lo_u32 v56, v15, s7
	v_mad_u64_u32 v[14:15], null, 0x84, v15, v[19:20]
	v_mul_lo_u32 v57, v16, s7
	v_mad_u64_u32 v[15:16], null, 0x84, v16, v[19:20]
	;; [unrolled: 2-line block ×3, first 2 shown]
	v_lshlrev_b32_e32 v42, 2, v20
	v_min_i32_e32 v27, s0, v24
	v_add_nc_u32_e32 v28, 16, v24
	v_mad_u64_u32 v[17:18], null, 0x84, v23, v[19:20]
	v_min_i32_e32 v20, s0, v29
	v_add_nc_u32_e32 v29, 48, v24
	v_add_nc_u32_e32 v32, 64, v24
	;; [unrolled: 1-line block ×5, first 2 shown]
	v_lshrrev_b32_e32 v85, 30, v85
	v_sub_nc_u32_e32 v87, v87, v88
	v_mul_lo_u32 v60, v23, s7
	v_min_i32_e32 v23, s0, v28
	v_min_i32_e32 v29, s0, v29
	v_min_i32_e32 v32, s0, v32
	v_min_i32_e32 v33, s0, v33
	v_min_i32_e32 v35, s0, v35
	v_min_i32_e32 v24, s0, v24
	v_add_nc_u32_e32 v85, v81, v85
	v_mul_lo_u32 v79, v81, s7
	v_lshlrev_b32_e32 v110, 5, v81
	v_mul_lo_u32 v81, v84, s7
	v_add3_u32 v114, v83, v63, 0x6300
	v_lshlrev_b32_e32 v115, 5, v84
	v_add_nc_u32_e32 v84, 1, v26
	v_add_nc_u32_e32 v83, 0x7ba0, v21
	v_subrev_nc_u32_e32 v21, s1, v87
	v_cmp_le_u32_e64 s0, s1, v87
	v_and_b32_e32 v101, 28, v19
	v_lshrrev_b32_e32 v18, 31, v27
	v_lshrrev_b32_e32 v28, 31, v23
	;; [unrolled: 1-line block ×3, first 2 shown]
	v_cndmask_b32_e64 v26, v26, v84, s0
	v_cndmask_b32_e64 v21, v87, v21, s0
	v_add_nc_u32_e32 v84, v83, v19
	v_xor_b32_e32 v19, s14, v39
	v_add_lshl_u32 v18, v27, v18, 1
	v_add_nc_u32_e32 v87, 1, v26
	v_cmp_le_u32_e64 s0, s1, v21
	v_add_lshl_u32 v28, v23, v28, 1
	v_ashrrev_i32_e32 v19, 31, v19
	v_lshrrev_b32_e32 v31, 31, v29
	v_lshrrev_b32_e32 v34, 31, v32
	v_cndmask_b32_e64 v21, v26, v87, s0
	v_lshrrev_b32_e32 v36, 31, v33
	v_lshrrev_b32_e32 v37, 31, v35
	;; [unrolled: 1-line block ×3, first 2 shown]
	v_and_b32_e32 v18, -4, v18
	v_xor_b32_e32 v21, v21, v19
	v_and_b32_e32 v28, -4, v28
	v_add_lshl_u32 v30, v20, v30, 1
	v_add_lshl_u32 v31, v29, v31, 1
	v_add_lshl_u32 v34, v32, v34, 1
	v_add_lshl_u32 v36, v33, v36, 1
	v_add_lshl_u32 v37, v35, v37, 1
	v_add_lshl_u32 v38, v24, v38, 1
	v_add_nc_u32_e32 v96, 32, v0
	v_add_nc_u32_e32 v97, 64, v0
	;; [unrolled: 1-line block ×3, first 2 shown]
	v_sub_nc_u32_e32 v19, v21, v19
	v_mul_lo_u32 v61, v22, s7
	v_lshlrev_b32_e32 v22, 3, v22
	v_mul_lo_u32 v64, v27, s7
	v_add3_u32 v18, v18, v42, 0x4200
	v_lshlrev_b32_e32 v27, 6, v27
	v_mul_lo_u32 v65, v23, s7
	v_add3_u32 v28, v28, v42, 0x4200
	v_lshlrev_b32_e32 v23, 6, v23
	v_and_b32_e32 v30, -4, v30
	v_and_b32_e32 v31, -4, v31
	;; [unrolled: 1-line block ×7, first 2 shown]
	v_lshlrev_b32_e32 v26, 5, v0
	v_and_b32_e32 v21, 0x1fc, v98
	v_and_b32_e32 v88, 0x1fc, v97
	v_and_b32_e32 v89, 0x1fc, v96
	v_and_b32_e32 v90, 0xfc, v0
	v_mul_lo_u32 v99, v19, s8
	v_mul_lo_u32 v66, v20, s7
	v_add3_u32 v30, v30, v42, 0x4200
	v_lshlrev_b32_e32 v20, 6, v20
	v_mul_lo_u32 v67, v29, s7
	v_add3_u32 v31, v31, v42, 0x4200
	v_lshlrev_b32_e32 v29, 6, v29
	;; [unrolled: 3-line block ×6, first 2 shown]
	v_lshlrev_b32_e32 v73, 1, v0
	v_add3_u32 v85, v85, v63, 0x6300
	v_mul_lo_u32 v80, v82, s7
	v_lshlrev_b32_e32 v113, 5, v82
	v_and_b32_e32 v82, 31, v0
	v_lshl_add_u32 v1, v1, 7, 0x77a0
	v_mul_u32_u24_e32 v102, 33, v0
	v_lshlrev_b32_e32 v116, 4, v0
	v_lshlrev_b32_e32 v117, 4, v96
	v_lshrrev_b32_e32 v118, 1, v96
	v_lshlrev_b32_e32 v119, 1, v96
	v_lshrrev_b32_e32 v120, 4, v96
	;; [unrolled: 2-line block ×3, first 2 shown]
	v_add_nc_u32_e32 v87, v26, v21
	v_add_nc_u32_e32 v88, v26, v88
	;; [unrolled: 1-line block ×4, first 2 shown]
	v_lshlrev_b32_e32 v21, 1, v97
	v_add_nc_u32_e32 v91, v25, v22
	v_lshrrev_b32_e32 v22, 4, v97
	v_add_nc_u32_e32 v92, v18, v27
	v_lshlrev_b32_e32 v18, 4, v98
	v_add_nc_u32_e32 v93, v28, v23
	v_lshrrev_b32_e32 v23, 1, v98
	v_lshlrev_b32_e32 v25, 1, v98
	v_lshrrev_b32_e32 v26, 4, v98
	v_cndmask_b32_e64 v74, 0, 1, vcc_lo
	v_cmp_gt_u32_e32 vcc_lo, 4, v0
	v_cmp_gt_i32_e64 s0, s11, v19
	v_add_co_u32 v19, s1, s2, v101
	v_mov_b32_e32 v40, 0
	v_and_b32_e32 v75, 4, v73
	v_lshlrev_b32_e32 v77, 1, v77
	v_lshl_add_u32 v82, v82, 2, v1
	v_add_nc_u32_e32 v94, v30, v20
	v_add_nc_u32_e32 v95, v31, v29
	v_lshrrev_b32_e32 v96, 3, v96
	v_lshrrev_b32_e32 v97, 3, v97
	;; [unrolled: 1-line block ×3, first 2 shown]
	v_add_nc_u32_e32 v100, v34, v32
	v_add_co_ci_u32_e64 v20, null, s3, 0, s1
	v_lshlrev_b32_e32 v101, 2, v102
	v_add_nc_u32_e32 v102, v36, v33
	v_ashrrev_i32_e32 v103, 31, v99
	v_add_nc_u32_e32 v104, v37, v35
	v_add_nc_u32_e32 v105, 0x6f00, v87
	;; [unrolled: 1-line block ×10, first 2 shown]
	v_lshlrev_b32_e32 v114, 2, v116
	v_lshlrev_b32_e32 v115, 2, v118
	;; [unrolled: 1-line block ×13, first 2 shown]
	v_mov_b32_e32 v86, 0
	v_mov_b32_e32 v85, 0
	;; [unrolled: 1-line block ×3, first 2 shown]
	s_mov_b32 s10, 0
	s_and_b32 s18, vcc_lo, s0
	s_branch .LBB190_5
.LBB190_4:                              ;   in Loop: Header=BB190_5 Depth=1
	s_add_i32 s10, s10, 2
	s_cmp_ge_i32 s10, s7
	s_cbranch_scc1 .LBB190_37
.LBB190_5:                              ; =>This Loop Header: Depth=1
                                        ;     Child Loop BB190_11 Depth 2
                                        ;     Child Loop BB190_19 Depth 2
	;; [unrolled: 1-line block ×4, first 2 shown]
	s_mul_i32 s1, s10, 0x6e
	s_mul_hi_u32 s5, s10, 0x6e
	s_add_u32 s4, s12, s1
	s_addc_u32 s5, s15, s5
	v_mad_u64_u32 v[21:22], null, 0x6e, v41, s[4:5]
	v_mad_i64_i32 v[23:24], null, 0x6e, v43, v[21:22]
	v_mad_i64_i32 v[25:26], null, 0x6e, v44, v[21:22]
	;; [unrolled: 1-line block ×4, first 2 shown]
	v_add_co_u32 v23, s1, v23, v42
	v_mad_i64_i32 v[31:32], null, 0x6e, v47, v[21:22]
	v_add_co_ci_u32_e64 v24, null, 0, v24, s1
	v_add_co_u32 v25, s1, v25, v42
	v_mad_i64_i32 v[33:34], null, 0x6e, v48, v[21:22]
	v_add_co_ci_u32_e64 v26, null, 0, v26, s1
	;; [unrolled: 3-line block ×4, first 2 shown]
	v_add_co_u32 v31, s1, v31, v42
	v_add_co_ci_u32_e64 v32, null, 0, v32, s1
	v_add_co_u32 v33, s1, v33, v42
	v_add_co_ci_u32_e64 v34, null, 0, v34, s1
	;; [unrolled: 2-line block ×3, first 2 shown]
	v_add_co_u32 v37, s1, v37, v42
	v_mad_i64_i32 v[127:128], null, 0x6e, v52, v[21:22]
	v_add_co_ci_u32_e64 v38, null, 0, v38, s1
	s_clause 0x7
	global_load_dword v135, v[23:24], off offset:32
	global_load_dword v136, v[25:26], off offset:32
	;; [unrolled: 1-line block ×8, first 2 shown]
	v_mad_i64_i32 v[23:24], null, 0x6e, v53, v[21:22]
	v_mad_i64_i32 v[27:28], null, 0x6e, v54, v[21:22]
	;; [unrolled: 1-line block ×3, first 2 shown]
	v_add_co_u32 v25, s1, v127, v42
	v_mad_i64_i32 v[31:32], null, 0x6e, v56, v[21:22]
	v_add_co_ci_u32_e64 v26, null, 0, v128, s1
	v_add_co_u32 v23, s1, v23, v42
	v_mad_i64_i32 v[33:34], null, 0x6e, v57, v[21:22]
	v_add_co_ci_u32_e64 v24, null, 0, v24, s1
	;; [unrolled: 3-line block ×4, first 2 shown]
	v_add_co_u32 v31, s1, v31, v42
	v_add_co_ci_u32_e64 v32, null, 0, v32, s1
	v_add_co_u32 v33, s1, v33, v42
	v_add_co_ci_u32_e64 v34, null, 0, v34, s1
	v_add_co_u32 v35, s1, v35, v42
	v_mad_u64_u32 v[37:38], null, 0x6e, v62, s[4:5]
	v_add_co_ci_u32_e64 v36, null, 0, v36, s1
	v_add_co_u32 v21, s1, v21, v42
	v_add_co_ci_u32_e64 v22, null, 0, v22, s1
	s_clause 0x7
	global_load_dword v143, v[25:26], off offset:32
	global_load_dword v144, v[23:24], off offset:32
	global_load_dword v145, v[27:28], off offset:32
	global_load_dword v146, v[29:30], off offset:32
	global_load_dword v147, v[31:32], off offset:32
	global_load_dword v148, v[33:34], off offset:32
	global_load_dword v149, v[35:36], off offset:32
	global_load_dword v150, v[21:22], off offset:32
	v_mad_u64_u32 v[31:32], null, 0x6e, v74, s[4:5]
	v_mad_i64_i32 v[127:128], null, 0x6e, v61, s[4:5]
	v_add_co_u32 v37, s1, v37, v63
	v_add_co_ci_u32_e64 v38, null, 0, v38, s1
	v_mad_i64_i32 v[129:130], null, 0x6e, v81, v[31:32]
	v_mad_i64_i32 v[133:134], null, 0x6e, v78, v[31:32]
	;; [unrolled: 1-line block ×3, first 2 shown]
	v_mad_u64_u32 v[21:22], null, 0x6e, v59, v[127:128]
	v_mad_i64_i32 v[31:32], null, 0x6e, v79, v[31:32]
	v_mad_i64_i32 v[23:24], null, 0x6e, v64, v[37:38]
	;; [unrolled: 1-line block ×9, first 2 shown]
	s_clause 0x9
	global_load_dword v151, v[129:130], off offset:104
	global_load_dword v152, v[131:132], off offset:104
	global_load_ushort v153, v[21:22], off offset:108
	global_load_dword v154, v[23:24], off
	global_load_dword v155, v[25:26], off
	;; [unrolled: 1-line block ×7, first 2 shown]
	v_add_co_u32 v21, s1, v133, v76
	v_add_co_ci_u32_e64 v22, null, 0, v134, s1
	v_add_co_u32 v23, s1, v31, v76
	v_add_co_ci_u32_e64 v24, null, 0, v32, s1
	;; [unrolled: 2-line block ×4, first 2 shown]
	s_clause 0x6
	global_load_dword v35, v[37:38], off
	global_load_dword v21, v[21:22], off offset:96
	global_load_dword v22, v[31:32], off offset:104
	;; [unrolled: 1-line block ×6, first 2 shown]
	s_lshl_b32 s4, s10, 8
	s_cmp_lt_i32 s4, s9
	s_waitcnt vmcnt(16)
	v_ashrrev_i32_e32 v31, v77, v151
	s_waitcnt vmcnt(15)
	v_ashrrev_i32_e32 v28, v77, v152
	s_waitcnt vmcnt(14)
	v_cvt_f32_f16_e32 v27, v153
	ds_write_b32 v2, v135
	ds_write_b32 v3, v136
	;; [unrolled: 1-line block ×17, first 2 shown]
	s_waitcnt vmcnt(13)
	v_not_b32_e32 v27, v154
	v_lshlrev_b32_e32 v31, 4, v31
	v_lshlrev_b32_e32 v28, 4, v28
	s_waitcnt vmcnt(12)
	v_not_b32_e32 v32, v155
	s_waitcnt vmcnt(11)
	v_not_b32_e32 v36, v156
	;; [unrolled: 2-line block ×5, first 2 shown]
	ds_write_b32 v92, v27
	ds_write_b32 v93, v32
	;; [unrolled: 1-line block ×5, first 2 shown]
	s_waitcnt vmcnt(7)
	v_not_b32_e32 v34, v34
	ds_write_b32 v102, v33
	ds_write_b32 v104, v34
	s_waitcnt vmcnt(6)
	v_not_b32_e32 v35, v35
	s_waitcnt vmcnt(5)
	v_ashrrev_i32_e32 v21, v75, v21
	s_waitcnt vmcnt(4)
	v_ashrrev_i32_e32 v22, v77, v22
	;; [unrolled: 2-line block ×6, first 2 shown]
	v_and_b32_e32 v21, 0xf0f0f0f, v21
	v_lshlrev_b32_e32 v22, 4, v22
	v_and_b32_e32 v23, 0xf0f0f0f, v23
	v_lshlrev_b32_e32 v24, 4, v24
	v_and_b32_e32 v25, 0xf0f0f0f, v25
	v_and_b32_e32 v26, 0xf0f0f0f, v26
	v_and_or_b32 v22, 0x30303030, v22, v23
	v_and_or_b32 v21, 0x30303030, v24, v21
	;; [unrolled: 1-line block ×4, first 2 shown]
	v_lshrrev_b32_e32 v27, 16, v22
	v_lshrrev_b32_e32 v25, 16, v21
	v_and_b32_e32 v26, 0x3f00, v21
	v_lshlrev_b16 v21, 8, v21
	v_lshrrev_b32_e32 v29, 16, v23
	v_and_b32_e32 v28, 0x3f00, v22
	v_lshlrev_b16 v22, 8, v22
	;; [unrolled: 3-line block ×3, first 2 shown]
	v_add_nc_u16 v21, 0xe000, v21
	v_and_b32_e32 v36, 0x3f00, v27
	v_lshlrev_b16 v27, 8, v27
	v_and_b32_e32 v37, 0x3f00, v29
	v_lshlrev_b16 v29, 8, v29
	v_add_nc_u16 v22, 0xe000, v22
	v_and_b32_e32 v38, 0x3f00, v31
	v_lshlrev_b16 v31, 8, v31
	v_add_nc_u16 v25, 0xe000, v25
	v_or_b32_sdwa v21, v26, v21 dst_sel:DWORD dst_unused:UNUSED_PAD src0_sel:DWORD src1_sel:BYTE_1
	v_add_nc_u16 v26, 0xe000, v27
	v_and_b32_e32 v30, 0x3f00, v23
	v_lshlrev_b16 v23, 8, v23
	v_add_nc_u16 v27, 0xe000, v29
	v_and_b32_e32 v32, 0x3f00, v24
	v_lshlrev_b16 v24, 8, v24
	v_or_b32_sdwa v22, v28, v22 dst_sel:DWORD dst_unused:UNUSED_PAD src0_sel:DWORD src1_sel:BYTE_1
	v_add_nc_u16 v28, 0xe000, v31
	v_or_b32_sdwa v25, v33, v25 dst_sel:DWORD dst_unused:UNUSED_PAD src0_sel:DWORD src1_sel:BYTE_1
	v_or_b32_sdwa v26, v36, v26 dst_sel:DWORD dst_unused:UNUSED_PAD src0_sel:DWORD src1_sel:BYTE_1
	v_add_nc_u16 v23, 0xe000, v23
	v_or_b32_sdwa v27, v37, v27 dst_sel:DWORD dst_unused:UNUSED_PAD src0_sel:DWORD src1_sel:BYTE_1
	v_add_nc_u16 v24, 0xe000, v24
	;; [unrolled: 2-line block ×3, first 2 shown]
	v_add_nc_u16 v26, 0xe000, v26
	v_or_b32_sdwa v23, v30, v23 dst_sel:DWORD dst_unused:UNUSED_PAD src0_sel:DWORD src1_sel:BYTE_1
	v_add_nc_u16 v27, 0xe000, v27
	v_or_b32_sdwa v24, v32, v24 dst_sel:DWORD dst_unused:UNUSED_PAD src0_sel:DWORD src1_sel:BYTE_1
	v_add_nc_u16 v28, 0xe000, v28
	v_add_nc_u16 v21, 0xe000, v21
	v_lshlrev_b32_e32 v25, 16, v25
	v_add_nc_u16 v22, 0xe000, v22
	v_lshlrev_b32_e32 v26, 16, v26
	;; [unrolled: 2-line block ×4, first 2 shown]
	v_or_b32_sdwa v21, v21, v25 dst_sel:DWORD dst_unused:UNUSED_PAD src0_sel:WORD_0 src1_sel:DWORD
	v_or_b32_sdwa v22, v22, v26 dst_sel:DWORD dst_unused:UNUSED_PAD src0_sel:WORD_0 src1_sel:DWORD
	;; [unrolled: 1-line block ×4, first 2 shown]
	ds_write_b32 v106, v35
	ds_write_b32 v108, v21
	;; [unrolled: 1-line block ×5, first 2 shown]
	s_cbranch_scc0 .LBB190_4
; %bb.6:                                ;   in Loop: Header=BB190_5 Depth=1
	s_lshl_b32 s5, s10, 3
	v_add_nc_u32_e32 v21, s5, v70
	v_cmp_gt_i32_e64 s1, s8, v21
	s_and_b32 s19, s0, s1
	s_and_saveexec_b32 s1, s19
	s_cbranch_execz .LBB190_8
; %bb.7:                                ;   in Loop: Header=BB190_5 Depth=1
	v_add_nc_u32_e32 v21, v99, v21
	v_mad_i64_i32 v[21:22], null, v21, 36, v[19:20]
	global_load_dword v21, v[21:22], off offset:4
	s_waitcnt vmcnt(0)
	ds_write_b32 v82, v21
.LBB190_8:                              ;   in Loop: Header=BB190_5 Depth=1
	s_or_b32 exec_lo, exec_lo, s1
	v_add_nc_u32_e32 v130, s5, v0
	v_cmp_gt_i32_e64 s1, s8, v130
	s_and_b32 s19, s18, s1
	s_and_saveexec_b32 s1, s19
	s_cbranch_execz .LBB190_10
; %bb.9:                                ;   in Loop: Header=BB190_5 Depth=1
	v_add_nc_u32_e32 v21, v99, v130
	v_mad_i64_i32 v[21:22], null, v21, 36, s[2:3]
	global_load_dword v21, v[21:22], off
	s_waitcnt vmcnt(0)
	v_cvt_f32_f16_e32 v21, v21
	ds_write_b32 v84, v21
.LBB190_10:                             ;   in Loop: Header=BB190_5 Depth=1
	s_or_b32 exec_lo, exec_lo, s1
	v_mov_b32_e32 v21, v83
	v_mov_b32_e32 v22, v1
	s_mov_b32 s21, -2
	s_mov_b32 s1, 0
	s_mov_b32 s19, 0
	s_waitcnt lgkmcnt(0)
	s_barrier
	buffer_gl0_inv
.LBB190_11:                             ;   Parent Loop BB190_5 Depth=1
                                        ; =>  This Inner Loop Header: Depth=2
	s_add_i32 s20, s21, 2
	s_and_b32 s23, s19, -16
	s_and_b32 s24, s20, 0x3ffffff8
	s_lshr_b32 s22, s20, 4
	v_lshlrev_b32_e32 v127, 2, v51
	v_lshl_add_u32 v23, s24, 2, v101
	s_add_i32 s21, s21, s23
	s_lshl_b32 s23, s22, 5
	s_lshl_b32 s22, s22, 2
	s_addk_i32 s23, 0x4200
	ds_read2_b32 v[29:30], v23 offset0:4 offset1:5
	ds_read2_b32 v[31:32], v23 offset0:6 offset1:7
	v_add3_u32 v27, s23, v127, v114
	v_add3_u32 v26, s23, v115, v116
	s_addk_i32 s22, 0x7380
	v_add3_u32 v25, s23, v123, v124
	v_add_nc_u32_e32 v24, s21, v109
	v_add_nc_u32_e32 v28, 0x1090, v23
	;; [unrolled: 1-line block ×5, first 2 shown]
	v_add3_u32 v143, s22, v117, v118
	ds_read2_b32 v[33:34], v27 offset0:4 offset1:5
	ds_read2_b32 v[35:36], v27 offset0:6 offset1:7
	;; [unrolled: 1-line block ×4, first 2 shown]
	ds_read2_b32 v[131:132], v28 offset1:1
	ds_read2_b32 v[133:134], v26 offset0:6 offset1:7
	ds_read2_b32 v[135:136], v135 offset1:1
	ds_read2_b32 v[137:138], v137 offset1:1
	;; [unrolled: 1-line block ×3, first 2 shown]
	ds_read2_b32 v[141:142], v25 offset0:6 offset1:7
	ds_read_u16 v28, v24 offset:2
	ds_read_b32 v24, v143
	s_add_i32 s19, s19, 2
	s_waitcnt lgkmcnt(13)
	v_ashrrev_i32_e32 v143, s20, v29
	s_waitcnt lgkmcnt(11)
	v_ashrrev_i32_e32 v147, s1, v33
	v_ashrrev_i32_e32 v148, s1, v34
	;; [unrolled: 1-line block ×3, first 2 shown]
	s_waitcnt lgkmcnt(10)
	v_ashrrev_i32_e32 v149, s1, v35
	v_and_b32_e32 v154, 0x3030303, v143
	v_lshlrev_b32_e32 v147, 2, v147
	v_bfe_u32 v143, v143, 24, 2
	v_lshlrev_b32_e32 v148, 2, v148
	v_ashrrev_i32_e32 v145, s20, v31
	v_lshrrev_b16 v155, 8, v154
	v_and_b32_e32 v147, 0x4040404, v147
	v_lshlrev_b32_e32 v149, 2, v149
	v_and_b32_e32 v148, 0x4040404, v148
	v_add3_u32 v31, s23, v119, v120
	v_ashrrev_i32_e32 v36, s1, v36
	v_lshrrev_b16 v156, 8, v147
	v_and_b32_e32 v149, 0x4040404, v149
	v_lshrrev_b16 v158, 8, v148
	ds_read2_b32 v[29:30], v31 offset0:4 offset1:5
	v_ashrrev_i32_e32 v146, s20, v32
	v_sub_nc_u16 v155, v155, v156
	v_lshrrev_b32_e32 v156, 24, v147
	v_lshrrev_b16 v160, 8, v149
	v_lshlrev_b32_e32 v36, 2, v36
	s_waitcnt lgkmcnt(10)
	v_ashrrev_i32_e32 v37, s1, v37
	s_waitcnt lgkmcnt(8)
	v_ashrrev_i32_e32 v131, s20, v131
	v_sub_nc_u16 v143, v143, v156
	v_lshrrev_b32_e32 v156, 16, v154
	v_sub_nc_u16 v154, v154, v147
	v_lshrrev_b32_e32 v147, 16, v147
	v_and_b32_e32 v36, 0x4040404, v36
	v_lshlrev_b32_e32 v37, 2, v37
	v_ashrrev_i32_e32 v38, s1, v38
	v_add_nc_u32_e32 v32, 0x3190, v23
	v_sub_nc_u16 v147, v156, v147
	v_and_b32_e32 v156, 0x3030303, v144
	v_bfe_u32 v144, v144, 24, 2
	v_lshrrev_b16 v162, 8, v36
	s_waitcnt lgkmcnt(0)
	v_ashrrev_i32_e32 v150, s1, v29
	v_ashrrev_i32_e32 v151, s1, v30
	v_lshrrev_b16 v157, 8, v156
	ds_read2_b32 v[29:30], v31 offset0:6 offset1:7
	v_and_b32_e32 v37, 0x4040404, v37
	v_add_nc_u32_e32 v34, 0x3198, v23
	v_ashrrev_i32_e32 v132, s20, v132
	v_sub_nc_u16 v157, v157, v158
	v_lshrrev_b32_e32 v158, 24, v148
	v_lshrrev_b16 v164, 8, v37
	v_lshlrev_b32_e32 v38, 2, v38
	v_ashrrev_i32_e32 v128, s1, v128
	v_ashrrev_i32_e32 v129, s1, v129
	v_sub_nc_u16 v144, v144, v158
	v_lshrrev_b32_e32 v158, 16, v156
	v_sub_nc_u16 v156, v156, v148
	v_lshrrev_b32_e32 v148, 16, v148
	v_and_b32_e32 v38, 0x4040404, v38
	v_lshlrev_b32_e32 v128, 2, v128
	v_lshlrev_b32_e32 v129, 2, v129
	v_ashrrev_i32_e32 v133, s1, v133
	v_sub_nc_u16 v148, v158, v148
	v_and_b32_e32 v158, 0x3030303, v145
	v_bfe_u32 v145, v145, 24, 2
	s_waitcnt lgkmcnt(0)
	v_ashrrev_i32_e32 v152, s1, v29
	v_add_nc_u32_e32 v29, s21, v105
	v_ashrrev_i32_e32 v153, s1, v30
	v_lshrrev_b16 v159, 8, v158
	v_lshrrev_b16 v166, 8, v38
	v_and_b32_e32 v128, 0x4040404, v128
	ds_read_u16 v30, v29 offset:2
	v_add3_u32 v29, s22, v125, v126
	v_sub_nc_u16 v159, v159, v160
	v_lshrrev_b32_e32 v160, 24, v149
	v_lshrrev_b16 v168, 8, v128
	v_and_b32_e32 v129, 0x4040404, v129
	ds_read_b32 v29, v29
	ds_read2_b32 v[32:33], v32 offset1:1
	ds_read2_b32 v[34:35], v34 offset1:1
	v_sub_nc_u16 v145, v145, v160
	v_lshrrev_b32_e32 v160, 16, v158
	v_sub_nc_u16 v158, v158, v149
	v_lshrrev_b32_e32 v149, 16, v149
	v_lshrrev_b16 v170, 8, v129
	v_ashrrev_i32_e32 v135, s20, v135
	v_lshlrev_b32_e32 v133, 2, v133
	v_ashrrev_i32_e32 v134, s1, v134
	v_sub_nc_u16 v149, v160, v149
	v_and_b32_e32 v160, 0x3030303, v146
	v_bfe_u32 v146, v146, 24, 2
	v_and_b32_e32 v133, 0x4040404, v133
	v_ashrrev_i32_e32 v136, s20, v136
	v_lshlrev_b32_e32 v134, 2, v134
	v_lshrrev_b16 v161, 8, v160
	v_ashrrev_i32_e32 v137, s20, v137
	v_lshrrev_b16 v172, 8, v133
	v_lshlrev_b32_e32 v150, 2, v150
	s_waitcnt lgkmcnt(1)
	v_ashrrev_i32_e32 v32, s20, v32
	v_sub_nc_u16 v161, v161, v162
	v_lshrrev_b32_e32 v162, 24, v36
	v_ashrrev_i32_e32 v33, s20, v33
	v_and_b32_e32 v134, 0x4040404, v134
	v_and_b32_e32 v150, 0x4040404, v150
	v_ashrrev_i32_e32 v138, s20, v138
	v_sub_nc_u16 v146, v146, v162
	v_lshrrev_b32_e32 v162, 16, v160
	v_sub_nc_u16 v160, v160, v36
	v_lshrrev_b32_e32 v36, 16, v36
	v_lshrrev_b16 v174, 8, v134
	v_lshrrev_b16 v176, 8, v150
	v_lshlrev_b32_e32 v151, 2, v151
	v_ashrrev_i32_e32 v139, s20, v139
	v_sub_nc_u16 v36, v162, v36
	v_and_b32_e32 v162, 0x3030303, v131
	v_bfe_u32 v131, v131, 24, 2
	v_and_b32_e32 v151, 0x4040404, v151
	v_lshlrev_b32_e32 v152, 2, v152
	v_ashrrev_i32_e32 v140, s20, v140
	v_lshrrev_b16 v163, 8, v162
	v_lshlrev_b32_e32 v153, 2, v153
	v_lshrrev_b16 v178, 8, v151
	v_and_b32_e32 v152, 0x4040404, v152
	v_ashrrev_i32_e32 v141, s1, v141
	v_sub_nc_u16 v163, v163, v164
	v_lshrrev_b32_e32 v164, 24, v37
	v_and_b32_e32 v153, 0x4040404, v153
	v_lshrrev_b16 v180, 8, v152
	s_waitcnt lgkmcnt(0)
	v_ashrrev_i32_e32 v34, s20, v34
	v_lshlrev_b32_e32 v141, 2, v141
	v_sub_nc_u16 v131, v131, v164
	v_lshrrev_b32_e32 v164, 16, v162
	v_sub_nc_u16 v162, v162, v37
	v_lshrrev_b32_e32 v37, 16, v37
	v_lshrrev_b16 v182, 8, v153
	v_and_b32_e32 v141, 0x4040404, v141
	v_ashrrev_i32_e32 v142, s1, v142
	v_ashrrev_i32_e32 v35, s20, v35
	v_sub_nc_u16 v37, v164, v37
	v_and_b32_e32 v164, 0x3030303, v132
	v_bfe_u32 v132, v132, 24, 2
	v_lshrrev_b16 v184, 8, v141
	v_lshlrev_b32_e32 v142, 2, v142
	v_lshlrev_b16 v143, 8, v143
	v_lshrrev_b16 v165, 8, v164
	v_lshlrev_b16 v145, 8, v145
	v_lshlrev_b16 v146, 8, v146
	v_and_b32_e32 v142, 0x4040404, v142
	v_lshlrev_b16 v131, 8, v131
	v_sub_nc_u16 v165, v165, v166
	v_lshrrev_b32_e32 v166, 24, v38
	v_lshlrev_b16 v155, 8, v155
	v_lshrrev_b16 v186, 8, v142
	v_or_b32_sdwa v143, v147, v143 dst_sel:WORD_1 dst_unused:UNUSED_PAD src0_sel:BYTE_0 src1_sel:DWORD
	v_lshlrev_b16 v147, 8, v157
	v_sub_nc_u16 v132, v132, v166
	v_lshrrev_b32_e32 v166, 16, v164
	v_sub_nc_u16 v164, v164, v38
	v_lshrrev_b32_e32 v38, 16, v38
	v_lshlrev_b16 v144, 8, v144
	v_lshlrev_b16 v132, 8, v132
	v_or_b32_sdwa v145, v149, v145 dst_sel:WORD_1 dst_unused:UNUSED_PAD src0_sel:BYTE_0 src1_sel:DWORD
	v_lshlrev_b16 v149, 8, v161
	v_sub_nc_u16 v38, v166, v38
	v_and_b32_e32 v166, 0x3030303, v32
	v_bfe_u32 v32, v32, 24, 2
	v_or_b32_sdwa v36, v36, v146 dst_sel:WORD_1 dst_unused:UNUSED_PAD src0_sel:BYTE_0 src1_sel:DWORD
	v_lshlrev_b16 v146, 8, v163
	v_or_b32_sdwa v37, v37, v131 dst_sel:WORD_1 dst_unused:UNUSED_PAD src0_sel:BYTE_0 src1_sel:DWORD
	v_lshrrev_b16 v167, 8, v166
	v_lshlrev_b16 v131, 8, v165
	v_or_b32_sdwa v38, v38, v132 dst_sel:WORD_1 dst_unused:UNUSED_PAD src0_sel:BYTE_0 src1_sel:DWORD
	v_or_b32_sdwa v154, v154, v155 dst_sel:DWORD dst_unused:UNUSED_PAD src0_sel:BYTE_0 src1_sel:DWORD
	v_or_b32_sdwa v147, v156, v147 dst_sel:DWORD dst_unused:UNUSED_PAD src0_sel:BYTE_0 src1_sel:DWORD
	v_sub_nc_u16 v167, v167, v168
	v_lshrrev_b32_e32 v168, 24, v128
	v_or_b32_sdwa v144, v148, v144 dst_sel:WORD_1 dst_unused:UNUSED_PAD src0_sel:BYTE_0 src1_sel:DWORD
	v_or_b32_sdwa v149, v160, v149 dst_sel:DWORD dst_unused:UNUSED_PAD src0_sel:BYTE_0 src1_sel:DWORD
	v_or_b32_sdwa v146, v162, v146 dst_sel:DWORD dst_unused:UNUSED_PAD src0_sel:BYTE_0 src1_sel:DWORD
	v_lshlrev_b16 v132, 8, v167
	v_sub_nc_u16 v32, v32, v168
	v_lshrrev_b32_e32 v168, 16, v166
	v_sub_nc_u16 v166, v166, v128
	v_lshrrev_b32_e32 v128, 16, v128
	v_or_b32_sdwa v131, v164, v131 dst_sel:DWORD dst_unused:UNUSED_PAD src0_sel:BYTE_0 src1_sel:DWORD
	v_lshlrev_b16 v32, 8, v32
	v_or_b32_sdwa v144, v147, v144 dst_sel:DWORD dst_unused:UNUSED_PAD src0_sel:WORD_0 src1_sel:DWORD
	v_or_b32_sdwa v132, v166, v132 dst_sel:DWORD dst_unused:UNUSED_PAD src0_sel:BYTE_0 src1_sel:DWORD
	v_sub_nc_u16 v128, v168, v128
	v_and_b32_e32 v168, 0x3030303, v33
	v_bfe_u32 v33, v33, 24, 2
	v_or_b32_sdwa v147, v149, v36 dst_sel:DWORD dst_unused:UNUSED_PAD src0_sel:WORD_0 src1_sel:DWORD
	v_or_b32_sdwa v36, v146, v37 dst_sel:DWORD dst_unused:UNUSED_PAD src0_sel:WORD_0 src1_sel:DWORD
	v_or_b32_sdwa v32, v128, v32 dst_sel:WORD_1 dst_unused:UNUSED_PAD src0_sel:BYTE_0 src1_sel:DWORD
	v_lshrrev_b16 v169, 8, v168
	v_or_b32_sdwa v37, v131, v38 dst_sel:DWORD dst_unused:UNUSED_PAD src0_sel:WORD_0 src1_sel:DWORD
	v_lshlrev_b16 v148, 8, v159
	v_or_b32_sdwa v143, v154, v143 dst_sel:DWORD dst_unused:UNUSED_PAD src0_sel:WORD_0 src1_sel:DWORD
	v_or_b32_sdwa v38, v132, v32 dst_sel:DWORD dst_unused:UNUSED_PAD src0_sel:WORD_0 src1_sel:DWORD
	v_sub_nc_u16 v169, v169, v170
	v_lshrrev_b32_e32 v170, 24, v129
	v_or_b32_sdwa v148, v158, v148 dst_sel:DWORD dst_unused:UNUSED_PAD src0_sel:BYTE_0 src1_sel:DWORD
	v_lshlrev_b16 v128, 8, v169
	v_sub_nc_u16 v33, v33, v170
	v_lshrrev_b32_e32 v170, 16, v168
	v_sub_nc_u16 v168, v168, v129
	v_lshrrev_b32_e32 v129, 16, v129
	v_or_b32_sdwa v145, v148, v145 dst_sel:DWORD dst_unused:UNUSED_PAD src0_sel:WORD_0 src1_sel:DWORD
	v_lshlrev_b16 v33, 8, v33
	v_or_b32_sdwa v128, v168, v128 dst_sel:DWORD dst_unused:UNUSED_PAD src0_sel:BYTE_0 src1_sel:DWORD
	v_sub_nc_u16 v129, v170, v129
	v_and_b32_e32 v170, 0x3030303, v135
	v_bfe_u32 v135, v135, 24, 2
	v_or_b32_sdwa v33, v129, v33 dst_sel:WORD_1 dst_unused:UNUSED_PAD src0_sel:BYTE_0 src1_sel:DWORD
	v_lshrrev_b16 v171, 8, v170
	v_or_b32_sdwa v131, v128, v33 dst_sel:DWORD dst_unused:UNUSED_PAD src0_sel:WORD_0 src1_sel:DWORD
	v_sub_nc_u16 v171, v171, v172
	v_lshrrev_b32_e32 v172, 24, v133
	v_lshlrev_b32_e32 v128, 2, v41
	v_lshlrev_b16 v129, 8, v171
	v_sub_nc_u16 v135, v135, v172
	v_lshrrev_b32_e32 v172, 16, v170
	v_sub_nc_u16 v170, v170, v133
	v_lshrrev_b32_e32 v133, 16, v133
	v_lshlrev_b16 v135, 8, v135
	v_or_b32_sdwa v129, v170, v129 dst_sel:DWORD dst_unused:UNUSED_PAD src0_sel:BYTE_0 src1_sel:DWORD
	v_sub_nc_u16 v133, v172, v133
	v_and_b32_e32 v172, 0x3030303, v136
	v_bfe_u32 v136, v136, 24, 2
	v_or_b32_sdwa v133, v133, v135 dst_sel:WORD_1 dst_unused:UNUSED_PAD src0_sel:BYTE_0 src1_sel:DWORD
	v_lshrrev_b16 v173, 8, v172
	v_or_b32_sdwa v132, v129, v133 dst_sel:DWORD dst_unused:UNUSED_PAD src0_sel:WORD_0 src1_sel:DWORD
	v_sub_nc_u16 v173, v173, v174
	v_lshrrev_b32_e32 v174, 24, v134
	v_lshlrev_b16 v135, 8, v173
	v_sub_nc_u16 v136, v136, v174
	v_lshrrev_b32_e32 v174, 16, v172
	v_sub_nc_u16 v172, v172, v134
	v_lshrrev_b32_e32 v134, 16, v134
	v_lshlrev_b16 v136, 8, v136
	v_or_b32_sdwa v135, v172, v135 dst_sel:DWORD dst_unused:UNUSED_PAD src0_sel:BYTE_0 src1_sel:DWORD
	v_sub_nc_u16 v134, v174, v134
	v_and_b32_e32 v174, 0x3030303, v137
	v_bfe_u32 v137, v137, 24, 2
	v_or_b32_sdwa v134, v134, v136 dst_sel:WORD_1 dst_unused:UNUSED_PAD src0_sel:BYTE_0 src1_sel:DWORD
	v_lshrrev_b16 v175, 8, v174
	v_or_b32_sdwa v135, v135, v134 dst_sel:DWORD dst_unused:UNUSED_PAD src0_sel:WORD_0 src1_sel:DWORD
	v_sub_nc_u16 v175, v175, v176
	v_lshrrev_b32_e32 v176, 24, v150
	;; [unrolled: 15-line block ×5, first 2 shown]
	v_mov_b32_e32 v139, 0
	v_lshlrev_b16 v152, 8, v181
	v_sub_nc_u16 v140, v140, v182
	v_lshrrev_b32_e32 v182, 16, v180
	v_sub_nc_u16 v180, v180, v153
	v_lshrrev_b32_e32 v153, 16, v153
	v_lshlrev_b16 v140, 8, v140
	v_or_b32_sdwa v152, v180, v152 dst_sel:DWORD dst_unused:UNUSED_PAD src0_sel:BYTE_0 src1_sel:DWORD
	v_sub_nc_u16 v153, v182, v153
	v_and_b32_e32 v182, 0x3030303, v34
	v_bfe_u32 v34, v34, 24, 2
	v_or_b32_sdwa v140, v153, v140 dst_sel:WORD_1 dst_unused:UNUSED_PAD src0_sel:BYTE_0 src1_sel:DWORD
	v_lshrrev_b16 v183, 8, v182
	v_or_b32_sdwa v137, v152, v140 dst_sel:DWORD dst_unused:UNUSED_PAD src0_sel:WORD_0 src1_sel:DWORD
	v_sub_nc_u16 v183, v183, v184
	v_lshrrev_b32_e32 v184, 24, v141
	v_mov_b32_e32 v140, 0
	v_lshlrev_b16 v153, 8, v183
	v_sub_nc_u16 v34, v34, v184
	v_lshrrev_b32_e32 v184, 16, v182
	v_sub_nc_u16 v182, v182, v141
	v_lshrrev_b32_e32 v141, 16, v141
	v_lshlrev_b16 v34, 8, v34
	v_or_b32_sdwa v153, v182, v153 dst_sel:DWORD dst_unused:UNUSED_PAD src0_sel:BYTE_0 src1_sel:DWORD
	v_sub_nc_u16 v141, v184, v141
	v_and_b32_e32 v184, 0x3030303, v35
	v_bfe_u32 v35, v35, 24, 2
	v_or_b32_sdwa v141, v141, v34 dst_sel:WORD_1 dst_unused:UNUSED_PAD src0_sel:BYTE_0 src1_sel:DWORD
	v_lshrrev_b16 v185, 8, v184
	v_or_b32_sdwa v136, v153, v141 dst_sel:DWORD dst_unused:UNUSED_PAD src0_sel:WORD_0 src1_sel:DWORD
	v_sub_nc_u16 v185, v185, v186
	v_lshrrev_b32_e32 v186, 24, v142
	v_mov_b32_e32 v141, 0
	v_lshlrev_b16 v34, 8, v185
	v_sub_nc_u16 v35, v35, v186
	v_lshrrev_b32_e32 v186, 16, v184
	v_sub_nc_u16 v184, v184, v142
	v_lshrrev_b32_e32 v142, 16, v142
	v_or_b32_sdwa v155, v184, v34 dst_sel:DWORD dst_unused:UNUSED_PAD src0_sel:BYTE_0 src1_sel:DWORD
	v_sub_nc_u16 v142, v186, v142
	v_lshlrev_b16 v34, 8, v35
	v_or_b32_sdwa v142, v142, v34 dst_sel:WORD_1 dst_unused:UNUSED_PAD src0_sel:BYTE_0 src1_sel:DWORD
	ds_read_b128 v[32:35], v22 offset:16
	v_or_b32_sdwa v138, v155, v142 dst_sel:DWORD dst_unused:UNUSED_PAD src0_sel:WORD_0 src1_sel:DWORD
	v_mov_b32_e32 v142, 0
	s_waitcnt lgkmcnt(0)
	v_dot4c_i32_i8 v139, v143, v32
	v_dot4c_i32_i8 v140, v36, v32
	;; [unrolled: 1-line block ×4, first 2 shown]
	v_lshlrev_b32_e32 v129, 2, v73
	v_dot4c_i32_i8 v139, v144, v33
	v_dot4c_i32_i8 v140, v37, v33
	;; [unrolled: 1-line block ×4, first 2 shown]
	v_add_nc_u32_e32 v143, 0x1080, v23
	v_dot4c_i32_i8 v139, v145, v34
	v_dot4c_i32_i8 v140, v132, v34
	v_dot4c_i32_i8 v141, v136, v34
	v_dot4c_i32_i8 v142, v134, v34
	v_add3_u32 v38, s22, v128, v129
	ds_read2_b32 v[36:37], v23 offset1:1
	ds_read2_b32 v[32:33], v23 offset0:2 offset1:3
	ds_read2_b32 v[131:132], v27 offset1:1
	v_dot4c_i32_i8 v139, v147, v35
	ds_read2_b32 v[133:134], v27 offset0:2 offset1:3
	v_dot4c_i32_i8 v140, v135, v35
	v_dot4c_i32_i8 v141, v138, v35
	ds_read2_b32 v[135:136], v26 offset0:2 offset1:3
	v_dot4c_i32_i8 v142, v137, v35
	ds_read2_b32 v[34:35], v25 offset0:2 offset1:3
	ds_read2_b32 v[137:138], v143 offset1:1
	ds_read2_b32 v[26:27], v26 offset1:1
	ds_read_b32 v38, v38
	s_waitcnt lgkmcnt(8)
	v_ashrrev_i32_e32 v36, s20, v36
	s_waitcnt lgkmcnt(7)
	v_ashrrev_i32_e32 v143, s20, v32
	v_ashrrev_i32_e32 v144, s20, v33
	s_waitcnt lgkmcnt(6)
	v_ashrrev_i32_e32 v131, s1, v131
	v_ashrrev_i32_e32 v132, s1, v132
	;; [unrolled: 1-line block ×3, first 2 shown]
	s_waitcnt lgkmcnt(3)
	v_ashrrev_i32_e32 v145, s1, v34
	v_ashrrev_i32_e32 v146, s1, v35
	s_waitcnt lgkmcnt(1)
	v_ashrrev_i32_e32 v147, s1, v26
	v_add_nc_u32_e32 v26, 0x1088, v23
	v_ashrrev_i32_e32 v148, s1, v27
	v_lshlrev_b32_e32 v132, 2, v132
	v_ashrrev_i32_e32 v133, s1, v133
	v_ashrrev_i32_e32 v134, s1, v134
	ds_read2_b32 v[26:27], v26 offset1:1
	v_ashrrev_i32_e32 v135, s1, v135
	v_and_b32_e32 v132, 0x4040404, v132
	v_lshlrev_b32_e32 v133, 2, v133
	v_lshlrev_b32_e32 v134, 2, v134
	v_ashrrev_i32_e32 v136, s1, v136
	v_lshlrev_b32_e32 v135, 2, v135
	v_lshrrev_b16 v161, 8, v132
	v_and_b32_e32 v133, 0x4040404, v133
	v_and_b32_e32 v134, 0x4040404, v134
	v_lshlrev_b32_e32 v136, 2, v136
	v_and_b32_e32 v135, 0x4040404, v135
	v_lshlrev_b32_e32 v145, 2, v145
	v_lshrrev_b16 v163, 8, v133
	v_lshrrev_b16 v165, 8, v134
	v_and_b32_e32 v136, 0x4040404, v136
	v_lshrrev_b16 v167, 8, v135
	v_and_b32_e32 v145, 0x4040404, v145
	v_lshlrev_b32_e32 v146, 2, v146
	v_ashrrev_i32_e32 v137, s20, v137
	s_waitcnt lgkmcnt(0)
	v_ashrrev_i32_e32 v149, s20, v26
	v_add_nc_u32_e32 v26, 0x2100, v23
	v_ashrrev_i32_e32 v150, s20, v27
	ds_read2_b32 v[26:27], v26 offset1:1
	ds_read2_b32 v[32:33], v31 offset1:1
	ds_read2_b32 v[34:35], v31 offset0:2 offset1:3
	v_add3_u32 v31, s22, v121, v122
	v_lshrrev_b16 v169, 8, v136
	v_lshrrev_b16 v171, 8, v145
	v_and_b32_e32 v146, 0x4040404, v146
	v_lshlrev_b32_e32 v147, 2, v147
	v_ashrrev_i32_e32 v138, s20, v138
	v_lshlrev_b32_e32 v148, 2, v148
	v_lshrrev_b16 v173, 8, v146
	v_and_b32_e32 v147, 0x4040404, v147
	v_and_b32_e32 v148, 0x4040404, v148
	v_lshrrev_b16 v175, 8, v147
	v_lshrrev_b16 v177, 8, v148
	s_waitcnt lgkmcnt(2)
	v_ashrrev_i32_e32 v151, s20, v26
	v_add_nc_u32_e32 v26, 0x2108, v23
	v_ashrrev_i32_e32 v152, s20, v27
	s_waitcnt lgkmcnt(1)
	v_ashrrev_i32_e32 v153, s1, v32
	v_ashrrev_i32_e32 v33, s1, v33
	s_waitcnt lgkmcnt(0)
	v_ashrrev_i32_e32 v34, s1, v34
	ds_read2_b32 v[26:27], v26 offset1:1
	v_ashrrev_i32_e32 v35, s1, v35
	v_lshlrev_b32_e32 v153, 2, v153
	v_lshlrev_b32_e32 v33, 2, v33
	;; [unrolled: 1-line block ×4, first 2 shown]
	v_and_b32_e32 v153, 0x4040404, v153
	v_and_b32_e32 v33, 0x4040404, v33
	;; [unrolled: 1-line block ×4, first 2 shown]
	v_lshrrev_b16 v179, 8, v153
	v_lshrrev_b16 v181, 8, v33
	v_lshrrev_b16 v183, 8, v34
	v_lshrrev_b16 v185, 8, v35
	s_waitcnt lgkmcnt(0)
	v_ashrrev_i32_e32 v154, s20, v26
	ds_read2_b32 v[25:26], v25 offset1:1
	ds_read_b32 v155, v31
	v_add_nc_u32_e32 v31, 0x3180, v23
	v_add_nc_u32_e32 v23, 0x3188, v23
	v_ashrrev_i32_e32 v27, s20, v27
	ds_read2_b32 v[31:32], v31 offset1:1
	s_waitcnt lgkmcnt(2)
	v_ashrrev_i32_e32 v156, s1, v25
	v_ashrrev_i32_e32 v157, s1, v26
	ds_read2_b32 v[25:26], v23 offset1:1
	s_add_i32 s1, s1, 1
	s_cmp_lt_u32 s20, 6
	v_lshlrev_b32_e32 v156, 2, v156
	v_lshlrev_b32_e32 v157, 2, v157
	s_waitcnt lgkmcnt(1)
	v_ashrrev_i32_e32 v31, s20, v31
	v_ashrrev_i32_e32 v32, s20, v32
	v_and_b32_e32 v156, 0x4040404, v156
	v_and_b32_e32 v157, 0x4040404, v157
	v_lshrrev_b16 v187, 8, v156
	v_lshrrev_b16 v189, 8, v157
	s_waitcnt lgkmcnt(0)
	v_ashrrev_i32_e32 v23, s20, v25
	v_ashrrev_i32_e32 v25, s20, v26
	v_lshlrev_b32_e32 v26, 2, v131
	v_and_b32_e32 v131, 0x3030303, v36
	v_bfe_u32 v36, v36, 24, 2
	v_and_b32_e32 v26, 0x4040404, v26
	v_lshrrev_b16 v158, 8, v131
	v_lshrrev_b16 v159, 8, v26
	v_sub_nc_u16 v158, v158, v159
	v_lshrrev_b32_e32 v159, 24, v26
	v_lshlrev_b16 v158, 8, v158
	v_sub_nc_u16 v36, v36, v159
	v_lshrrev_b32_e32 v159, 16, v131
	v_sub_nc_u16 v131, v131, v26
	v_lshrrev_b32_e32 v26, 16, v26
	v_lshlrev_b16 v36, 8, v36
	v_or_b32_sdwa v131, v131, v158 dst_sel:DWORD dst_unused:UNUSED_PAD src0_sel:BYTE_0 src1_sel:DWORD
	v_sub_nc_u16 v26, v159, v26
	v_and_b32_e32 v159, 0x3030303, v37
	v_bfe_u32 v37, v37, 24, 2
	v_or_b32_sdwa v26, v26, v36 dst_sel:WORD_1 dst_unused:UNUSED_PAD src0_sel:BYTE_0 src1_sel:DWORD
	v_lshrrev_b16 v160, 8, v159
	v_or_b32_sdwa v26, v131, v26 dst_sel:DWORD dst_unused:UNUSED_PAD src0_sel:WORD_0 src1_sel:DWORD
	v_sub_nc_u16 v160, v160, v161
	v_lshrrev_b32_e32 v161, 24, v132
	v_lshlrev_b16 v36, 8, v160
	v_sub_nc_u16 v37, v37, v161
	v_lshrrev_b32_e32 v161, 16, v159
	v_sub_nc_u16 v159, v159, v132
	v_lshrrev_b32_e32 v132, 16, v132
	v_lshlrev_b16 v37, 8, v37
	v_or_b32_sdwa v36, v159, v36 dst_sel:DWORD dst_unused:UNUSED_PAD src0_sel:BYTE_0 src1_sel:DWORD
	v_sub_nc_u16 v132, v161, v132
	v_and_b32_e32 v161, 0x3030303, v143
	v_bfe_u32 v143, v143, 24, 2
	v_or_b32_sdwa v37, v132, v37 dst_sel:WORD_1 dst_unused:UNUSED_PAD src0_sel:BYTE_0 src1_sel:DWORD
	v_lshrrev_b16 v162, 8, v161
	v_or_b32_sdwa v36, v36, v37 dst_sel:DWORD dst_unused:UNUSED_PAD src0_sel:WORD_0 src1_sel:DWORD
	;; [unrolled: 15-line block ×4, first 2 shown]
	v_sub_nc_u16 v166, v166, v167
	v_lshrrev_b32_e32 v167, 24, v135
	v_mov_b32_e32 v143, 0
	v_lshlrev_b16 v144, 8, v166
	v_sub_nc_u16 v149, v149, v167
	v_lshrrev_b32_e32 v167, 16, v165
	v_sub_nc_u16 v165, v165, v135
	v_lshrrev_b32_e32 v135, 16, v135
	v_lshlrev_b16 v149, 8, v149
	v_or_b32_sdwa v144, v165, v144 dst_sel:DWORD dst_unused:UNUSED_PAD src0_sel:BYTE_0 src1_sel:DWORD
	v_sub_nc_u16 v135, v167, v135
	v_and_b32_e32 v167, 0x3030303, v150
	v_bfe_u32 v150, v150, 24, 2
	v_or_b32_sdwa v135, v135, v149 dst_sel:WORD_1 dst_unused:UNUSED_PAD src0_sel:BYTE_0 src1_sel:DWORD
	v_lshrrev_b16 v168, 8, v167
	v_or_b32_sdwa v132, v144, v135 dst_sel:DWORD dst_unused:UNUSED_PAD src0_sel:WORD_0 src1_sel:DWORD
	v_sub_nc_u16 v168, v168, v169
	v_lshrrev_b32_e32 v169, 24, v136
	v_lshlrev_b16 v149, 8, v168
	v_sub_nc_u16 v150, v150, v169
	v_lshrrev_b32_e32 v169, 16, v167
	v_sub_nc_u16 v167, v167, v136
	v_lshrrev_b32_e32 v136, 16, v136
	v_lshlrev_b16 v150, 8, v150
	v_or_b32_sdwa v149, v167, v149 dst_sel:DWORD dst_unused:UNUSED_PAD src0_sel:BYTE_0 src1_sel:DWORD
	v_sub_nc_u16 v136, v169, v136
	v_and_b32_e32 v169, 0x3030303, v23
	v_bfe_u32 v23, v23, 24, 2
	v_or_b32_sdwa v136, v136, v150 dst_sel:WORD_1 dst_unused:UNUSED_PAD src0_sel:BYTE_0 src1_sel:DWORD
	v_lshrrev_b16 v170, 8, v169
	v_or_b32_sdwa v133, v149, v136 dst_sel:DWORD dst_unused:UNUSED_PAD src0_sel:WORD_0 src1_sel:DWORD
	v_sub_nc_u16 v170, v170, v171
	v_lshrrev_b32_e32 v171, 24, v145
	;; [unrolled: 15-line block ×11, first 2 shown]
	v_lshlrev_b16 v156, 8, v188
	v_sub_nc_u16 v32, v32, v189
	v_lshrrev_b32_e32 v189, 16, v187
	v_sub_nc_u16 v187, v187, v157
	v_lshrrev_b32_e32 v157, 16, v157
	v_lshlrev_b16 v32, 8, v32
	v_or_b32_sdwa v156, v187, v156 dst_sel:DWORD dst_unused:UNUSED_PAD src0_sel:BYTE_0 src1_sel:DWORD
	v_sub_nc_u16 v157, v189, v157
	v_or_b32_sdwa v32, v157, v32 dst_sel:WORD_1 dst_unused:UNUSED_PAD src0_sel:BYTE_0 src1_sel:DWORD
	v_or_b32_sdwa v144, v156, v32 dst_sel:DWORD dst_unused:UNUSED_PAD src0_sel:WORD_0 src1_sel:DWORD
	ds_read_b128 v[31:34], v22
	v_add_nc_u32_e32 v22, 32, v22
	s_waitcnt lgkmcnt(0)
	v_dot4c_i32_i8 v143, v26, v31
	v_mov_b32_e32 v26, 0
	v_dot4c_i32_i8 v143, v36, v32
	v_dot4c_i32_i8 v26, v134, v31
	v_mov_b32_e32 v134, 0
	v_dot4c_i32_i8 v143, v37, v33
	v_dot4c_i32_i8 v26, v135, v32
	v_dot4c_i32_i8 v134, v136, v31
	v_mov_b32_e32 v136, 0
	v_lshrrev_b16 v37, 8, v28
	v_dot4c_i32_i8 v143, v131, v34
	v_dot4c_i32_i8 v26, v132, v33
	;; [unrolled: 1-line block ×4, first 2 shown]
	v_add_nc_u32_e32 v31, s21, v111
	ds_read_b32 v35, v21
	v_bfe_i32 v28, v28, 0, 8
	v_dot4c_i32_i8 v134, v138, v33
	v_dot4c_i32_i8 v136, v144, v32
	v_add_nc_u32_e32 v32, s21, v107
	ds_read_u16 v31, v31 offset:2
	ds_read_u16 v32, v32 offset:2
	v_dot4c_i32_i8 v136, v23, v33
	v_lshrrev_b16 v23, 8, v30
	v_bfe_i32 v30, v30, 0, 8
	v_dot4c_i32_i8 v26, v133, v34
	v_dot4c_i32_i8 v134, v27, v34
	;; [unrolled: 1-line block ×3, first 2 shown]
	v_add_nc_u32_e32 v21, 4, v21
	s_mov_b32 s21, s20
	v_mul_lo_u32 v25, v26, v28
	v_mul_lo_u32 v27, v136, v30
	s_waitcnt lgkmcnt(1)
	v_lshrrev_b16 v36, 8, v31
	v_bfe_i32 v31, v31, 0, 8
	s_waitcnt lgkmcnt(0)
	v_lshrrev_b16 v132, 8, v32
	v_bfe_i32 v32, v32, 0, 8
	v_bfe_i32 v33, v36, 0, 8
	;; [unrolled: 1-line block ×5, first 2 shown]
	v_mul_lo_u32 v23, v143, v31
	v_mul_lo_u32 v26, v134, v32
	v_mad_u64_u32 v[30:31], null, v139, v33, v[23:24]
	v_mad_u64_u32 v[31:32], null, v140, v36, v[25:26]
	;; [unrolled: 1-line block ×4, first 2 shown]
	v_mul_f32_e32 v23, v35, v38
	v_mul_f32_e32 v24, v35, v24
	;; [unrolled: 1-line block ×4, first 2 shown]
	v_cvt_f32_i32_e32 v29, v30
	v_cvt_f32_i32_e32 v30, v31
	v_cvt_f32_i32_e32 v25, v25
	v_cvt_f32_i32_e32 v26, v26
	v_fmac_f32_e32 v40, v23, v29
	v_fmac_f32_e32 v86, v24, v30
	;; [unrolled: 1-line block ×4, first 2 shown]
	s_cbranch_scc1 .LBB190_11
; %bb.12:                               ;   in Loop: Header=BB190_5 Depth=1
	s_or_b32 s1, s4, 0x80
	s_cmp_ge_i32 s1, s9
	s_barrier
	buffer_gl0_inv
	s_cbranch_scc1 .LBB190_4
; %bb.13:                               ;   in Loop: Header=BB190_5 Depth=1
	v_add_nc_u32_e32 v21, s5, v96
	v_cmp_gt_i32_e64 s1, s8, v21
	s_and_b32 s19, s0, s1
	s_and_saveexec_b32 s1, s19
	s_cbranch_execz .LBB190_15
; %bb.14:                               ;   in Loop: Header=BB190_5 Depth=1
	v_add_nc_u32_e32 v21, v99, v21
	v_mad_i64_i32 v[21:22], null, v21, 36, v[19:20]
	global_load_dword v21, v[21:22], off offset:4
	s_waitcnt vmcnt(0)
	ds_write_b32 v82, v21
.LBB190_15:                             ;   in Loop: Header=BB190_5 Depth=1
	s_or_b32 exec_lo, exec_lo, s1
	s_and_saveexec_b32 s19, vcc_lo
	s_cbranch_execz .LBB190_18
; %bb.16:                               ;   in Loop: Header=BB190_5 Depth=1
	v_or_b32_e32 v21, 4, v130
	v_cmp_gt_i32_e64 s1, s8, v21
	s_and_b32 s1, s0, s1
	s_and_b32 exec_lo, exec_lo, s1
	s_cbranch_execz .LBB190_18
; %bb.17:                               ;   in Loop: Header=BB190_5 Depth=1
	v_ashrrev_i32_e32 v21, 31, v130
	v_add_co_u32 v22, s1, v99, v130
	v_add_co_ci_u32_e64 v23, null, v103, v21, s1
	v_mad_u64_u32 v[21:22], null, v22, 36, s[2:3]
	v_mad_i32_i24 v22, v23, 36, v22
	global_load_dword v21, v[21:22], off offset:144
	s_waitcnt vmcnt(0)
	v_cvt_f32_f16_e32 v21, v21
	ds_write_b32 v84, v21
.LBB190_18:                             ;   in Loop: Header=BB190_5 Depth=1
	s_or_b32 exec_lo, exec_lo, s19
	v_mov_b32_e32 v131, v1
	v_mov_b32_e32 v132, v83
	s_mov_b32 s1, 8
	s_mov_b32 s21, 6
	;; [unrolled: 1-line block ×3, first 2 shown]
	s_waitcnt lgkmcnt(0)
	s_barrier
	buffer_gl0_inv
.LBB190_19:                             ;   Parent Loop BB190_5 Depth=1
                                        ; =>  This Inner Loop Header: Depth=2
	s_add_i32 s20, s21, 2
	s_add_i32 s22, s21, -6
	s_lshr_b32 s23, s20, 4
	s_and_b32 s24, s20, 0x3ffffff8
	s_lshl_b32 s25, s23, 5
	v_lshl_add_u32 v133, s24, 2, v101
	s_add_i32 s24, s25, 0x4200
	s_lshl_b32 s23, s23, 2
	v_add3_u32 v25, s24, v127, v114
	v_add3_u32 v26, s24, v115, v116
	v_add3_u32 v134, s24, v119, v120
	v_add_nc_u32_e32 v38, 0x1080, v133
	ds_read2_b32 v[35:36], v133 offset1:1
	ds_read2_b32 v[33:34], v133 offset0:2 offset1:3
	ds_read2_b32 v[21:22], v133 offset0:4 offset1:5
	ds_read2_b32 v[23:24], v133 offset0:6 offset1:7
	ds_read2_b32 v[135:136], v25 offset1:1
	ds_read2_b32 v[137:138], v25 offset0:2 offset1:3
	ds_read2_b32 v[139:140], v26 offset1:1
	ds_read2_b32 v[141:142], v26 offset0:2 offset1:3
	ds_read2_b32 v[148:149], v134 offset0:2 offset1:3
	;; [unrolled: 1-line block ×5, first 2 shown]
	ds_read2_b32 v[150:151], v38 offset1:1
	ds_read2_b32 v[25:26], v26 offset0:6 offset1:7
	v_add_nc_u32_e32 v37, 0x2100, v133
	s_addk_i32 s23, 0x7380
	v_add_nc_u32_e32 v154, 0x2118, v133
	s_waitcnt lgkmcnt(13)
	v_ashrrev_i32_e32 v158, s22, v35
	v_ashrrev_i32_e32 v159, s22, v36
	s_waitcnt lgkmcnt(12)
	v_ashrrev_i32_e32 v160, s22, v33
	v_ashrrev_i32_e32 v161, s22, v34
	s_waitcnt lgkmcnt(9)
	v_ashrrev_i32_e32 v162, s19, v135
	v_and_b32_e32 v174, 0x3030303, v158
	v_ashrrev_i32_e32 v163, s19, v136
	v_bfe_u32 v158, v158, 24, 2
	ds_read2_b32 v[33:34], v134 offset0:4 offset1:5
	ds_read2_b32 v[152:153], v37 offset1:1
	ds_read2_b32 v[35:36], v134 offset1:1
	v_lshlrev_b32_e32 v162, 2, v162
	v_lshrrev_b16 v175, 8, v174
	v_lshlrev_b32_e32 v163, 2, v163
	s_waitcnt lgkmcnt(11)
	v_ashrrev_i32_e32 v164, s19, v137
	v_add3_u32 v37, s24, v123, v124
	v_and_b32_e32 v162, 0x4040404, v162
	v_ashrrev_i32_e32 v165, s19, v138
	v_and_b32_e32 v163, 0x4040404, v163
	v_lshlrev_b32_e32 v164, 2, v164
	s_waitcnt lgkmcnt(10)
	v_ashrrev_i32_e32 v146, s19, v140
	v_lshrrev_b16 v176, 8, v162
	s_waitcnt lgkmcnt(9)
	v_ashrrev_i32_e32 v145, s19, v141
	v_lshrrev_b16 v178, 8, v163
	v_and_b32_e32 v164, 0x4040404, v164
	v_ashrrev_i32_e32 v144, s19, v142
	v_sub_nc_u16 v175, v175, v176
	v_lshrrev_b32_e32 v176, 24, v162
	s_waitcnt lgkmcnt(8)
	v_ashrrev_i32_e32 v141, s19, v148
	v_lshrrev_b16 v180, 8, v164
	s_waitcnt lgkmcnt(0)
	v_ashrrev_i32_e32 v143, s19, v35
	v_add_nc_u32_e32 v35, 0x3180, v133
	v_sub_nc_u16 v158, v158, v176
	v_lshrrev_b32_e32 v176, 16, v174
	v_sub_nc_u16 v174, v174, v162
	v_lshrrev_b32_e32 v162, 16, v162
	v_ashrrev_i32_e32 v142, s19, v36
	v_ashrrev_i32_e32 v140, s19, v149
	ds_read2_b32 v[148:149], v35 offset1:1
	ds_read2_b32 v[35:36], v37 offset1:1
	v_lshlrev_b32_e32 v165, 2, v165
	v_sub_nc_u16 v162, v176, v162
	v_and_b32_e32 v176, 0x3030303, v159
	v_bfe_u32 v159, v159, 24, 2
	v_ashrrev_i32_e32 v147, s19, v139
	v_and_b32_e32 v165, 0x4040404, v165
	v_ashrrev_i32_e32 v166, s22, v150
	v_lshrrev_b16 v177, 8, v176
	v_add_nc_u32_e32 v150, 0x1088, v133
	v_lshlrev_b32_e32 v147, 2, v147
	v_lshrrev_b16 v182, 8, v165
	v_ashrrev_i32_e32 v167, s22, v151
	v_sub_nc_u16 v177, v177, v178
	v_lshrrev_b32_e32 v178, 24, v163
	v_and_b32_e32 v147, 0x4040404, v147
	v_lshlrev_b32_e32 v146, 2, v146
	v_lshlrev_b32_e32 v145, 2, v145
	;; [unrolled: 1-line block ×3, first 2 shown]
	v_sub_nc_u16 v159, v159, v178
	v_lshrrev_b32_e32 v178, 16, v176
	v_sub_nc_u16 v176, v176, v163
	v_lshrrev_b32_e32 v163, 16, v163
	s_waitcnt lgkmcnt(0)
	v_ashrrev_i32_e32 v139, s19, v35
	v_ashrrev_i32_e32 v137, s19, v36
	ds_read2_b32 v[135:136], v37 offset0:2 offset1:3
	ds_read2_b32 v[35:36], v37 offset0:4 offset1:5
	;; [unrolled: 1-line block ×3, first 2 shown]
	v_lshrrev_b16 v184, 8, v147
	v_sub_nc_u16 v163, v178, v163
	v_and_b32_e32 v178, 0x3030303, v160
	v_bfe_u32 v160, v160, 24, 2
	ds_read2_b32 v[150:151], v150 offset1:1
	v_and_b32_e32 v146, 0x4040404, v146
	v_and_b32_e32 v145, 0x4040404, v145
	v_lshrrev_b16 v179, 8, v178
	v_and_b32_e32 v144, 0x4040404, v144
	v_ashrrev_i32_e32 v170, s22, v152
	v_lshrrev_b16 v186, 8, v146
	v_lshrrev_b16 v188, 8, v145
	v_sub_nc_u16 v179, v179, v180
	v_lshrrev_b32_e32 v180, 24, v164
	v_lshrrev_b16 v190, 8, v144
	v_lshlrev_b32_e32 v143, 2, v143
	v_add_nc_u32_e32 v152, 0x2110, v133
	s_waitcnt lgkmcnt(3)
	v_ashrrev_i32_e32 v138, s19, v135
	v_sub_nc_u16 v160, v160, v180
	v_lshrrev_b32_e32 v180, 16, v178
	v_sub_nc_u16 v178, v178, v164
	v_lshrrev_b32_e32 v164, 16, v164
	v_add3_u32 v135, s23, v128, v129
	v_and_b32_e32 v143, 0x4040404, v143
	s_waitcnt lgkmcnt(0)
	v_ashrrev_i32_e32 v168, s22, v150
	v_ashrrev_i32_e32 v169, s22, v151
	v_sub_nc_u16 v164, v180, v164
	v_and_b32_e32 v180, 0x3030303, v161
	v_bfe_u32 v161, v161, 24, 2
	ds_read_b32 v135, v135
	v_lshrrev_b16 v192, 8, v143
	v_add_nc_u32_e32 v150, 0x2108, v133
	v_lshrrev_b16 v181, 8, v180
	v_ashrrev_i32_e32 v171, s22, v153
	v_lshlrev_b32_e32 v142, 2, v142
	ds_read2_b32 v[150:151], v150 offset1:1
	ds_read2_b32 v[152:153], v152 offset1:1
	;; [unrolled: 1-line block ×3, first 2 shown]
	ds_read2_b32 v[156:157], v134 offset0:6 offset1:7
	v_sub_nc_u16 v181, v181, v182
	v_lshrrev_b32_e32 v182, 24, v165
	v_and_b32_e32 v142, 0x4040404, v142
	v_lshlrev_b32_e32 v141, 2, v141
	v_lshlrev_b32_e32 v140, 2, v140
	v_ashrrev_i32_e32 v172, s22, v148
	v_sub_nc_u16 v161, v161, v182
	v_lshrrev_b32_e32 v182, 16, v180
	v_sub_nc_u16 v180, v180, v165
	v_lshrrev_b32_e32 v165, 16, v165
	v_lshrrev_b16 v194, 8, v142
	v_and_b32_e32 v141, 0x4040404, v141
	v_and_b32_e32 v140, 0x4040404, v140
	v_lshlrev_b32_e32 v139, 2, v139
	v_sub_nc_u16 v165, v182, v165
	v_and_b32_e32 v182, 0x3030303, v166
	v_bfe_u32 v166, v166, 24, 2
	s_waitcnt lgkmcnt(3)
	v_ashrrev_i32_e32 v150, s22, v150
	v_lshrrev_b16 v196, 8, v141
	v_ashrrev_i32_e32 v151, s22, v151
	v_lshrrev_b16 v183, 8, v182
	v_lshrrev_b16 v198, 8, v140
	v_and_b32_e32 v139, 0x4040404, v139
	v_add3_u32 v134, s23, v121, v122
	v_add_nc_u32_e32 v148, 0x3188, v133
	v_sub_nc_u16 v183, v183, v184
	v_lshrrev_b32_e32 v184, 24, v147
	v_lshrrev_b16 v200, 8, v139
	ds_read_b32 v134, v134
	v_ashrrev_i32_e32 v173, s22, v149
	ds_read2_b32 v[148:149], v148 offset1:1
	v_sub_nc_u16 v166, v166, v184
	v_lshrrev_b32_e32 v184, 16, v182
	v_sub_nc_u16 v182, v182, v147
	v_lshrrev_b32_e32 v147, 16, v147
	v_lshlrev_b32_e32 v137, 2, v137
	v_lshlrev_b32_e32 v138, 2, v138
	v_ashrrev_i32_e32 v136, s19, v136
	v_lshlrev_b16 v158, 8, v158
	v_sub_nc_u16 v147, v184, v147
	v_and_b32_e32 v184, 0x3030303, v167
	v_bfe_u32 v167, v167, 24, 2
	v_and_b32_e32 v137, 0x4040404, v137
	v_and_b32_e32 v138, 0x4040404, v138
	v_lshlrev_b32_e32 v136, 2, v136
	v_lshrrev_b16 v185, 8, v184
	v_lshlrev_b16 v159, 8, v159
	v_lshrrev_b16 v202, 8, v137
	v_lshrrev_b16 v204, 8, v138
	v_and_b32_e32 v136, 0x4040404, v136
	v_sub_nc_u16 v185, v185, v186
	v_lshrrev_b32_e32 v186, 24, v146
	s_waitcnt lgkmcnt(0)
	v_ashrrev_i32_e32 v148, s22, v148
	v_ashrrev_i32_e32 v149, s22, v149
	v_lshrrev_b16 v206, 8, v136
	v_lshlrev_b16 v160, 8, v160
	v_sub_nc_u16 v167, v167, v186
	v_lshrrev_b32_e32 v186, 16, v184
	v_sub_nc_u16 v184, v184, v146
	v_lshrrev_b32_e32 v146, 16, v146
	v_lshlrev_b16 v161, 8, v161
	v_lshlrev_b16 v175, 8, v175
	v_or_b32_sdwa v158, v162, v158 dst_sel:WORD_1 dst_unused:UNUSED_PAD src0_sel:BYTE_0 src1_sel:DWORD
	v_lshlrev_b16 v162, 8, v177
	v_sub_nc_u16 v146, v186, v146
	v_and_b32_e32 v186, 0x3030303, v168
	v_bfe_u32 v168, v168, 24, 2
	v_or_b32_sdwa v159, v163, v159 dst_sel:WORD_1 dst_unused:UNUSED_PAD src0_sel:BYTE_0 src1_sel:DWORD
	v_lshlrev_b16 v163, 8, v179
	v_or_b32_sdwa v160, v164, v160 dst_sel:WORD_1 dst_unused:UNUSED_PAD src0_sel:BYTE_0 src1_sel:DWORD
	v_lshrrev_b16 v187, 8, v186
	v_lshlrev_b16 v164, 8, v181
	v_or_b32_sdwa v161, v165, v161 dst_sel:WORD_1 dst_unused:UNUSED_PAD src0_sel:BYTE_0 src1_sel:DWORD
	v_lshlrev_b16 v165, 8, v183
	v_lshlrev_b16 v166, 8, v166
	v_sub_nc_u16 v187, v187, v188
	v_lshrrev_b32_e32 v188, 24, v145
	v_or_b32_sdwa v174, v174, v175 dst_sel:DWORD dst_unused:UNUSED_PAD src0_sel:BYTE_0 src1_sel:DWORD
	v_or_b32_sdwa v162, v176, v162 dst_sel:DWORD dst_unused:UNUSED_PAD src0_sel:BYTE_0 src1_sel:DWORD
	;; [unrolled: 1-line block ×4, first 2 shown]
	v_sub_nc_u16 v168, v168, v188
	v_lshrrev_b32_e32 v188, 16, v186
	v_sub_nc_u16 v186, v186, v145
	v_lshrrev_b32_e32 v145, 16, v145
	v_or_b32_sdwa v165, v182, v165 dst_sel:DWORD dst_unused:UNUSED_PAD src0_sel:BYTE_0 src1_sel:DWORD
	v_or_b32_sdwa v147, v147, v166 dst_sel:WORD_1 dst_unused:UNUSED_PAD src0_sel:BYTE_0 src1_sel:DWORD
	v_lshlrev_b16 v166, 8, v185
	v_lshlrev_b16 v167, 8, v167
	v_sub_nc_u16 v145, v188, v145
	v_and_b32_e32 v188, 0x3030303, v169
	v_bfe_u32 v169, v169, 24, 2
	v_or_b32_sdwa v147, v165, v147 dst_sel:DWORD dst_unused:UNUSED_PAD src0_sel:WORD_0 src1_sel:DWORD
	v_or_b32_sdwa v166, v184, v166 dst_sel:DWORD dst_unused:UNUSED_PAD src0_sel:BYTE_0 src1_sel:DWORD
	v_or_b32_sdwa v146, v146, v167 dst_sel:WORD_1 dst_unused:UNUSED_PAD src0_sel:BYTE_0 src1_sel:DWORD
	v_lshrrev_b16 v189, 8, v188
	v_ashrrev_i32_e32 v27, s19, v27
	v_ashrrev_i32_e32 v28, s19, v28
	v_lshlrev_b16 v167, 8, v187
	v_or_b32_sdwa v146, v166, v146 dst_sel:DWORD dst_unused:UNUSED_PAD src0_sel:WORD_0 src1_sel:DWORD
	v_sub_nc_u16 v189, v189, v190
	v_lshrrev_b32_e32 v190, 24, v144
	v_mov_b32_e32 v166, 0
	v_lshlrev_b32_e32 v27, 2, v27
	v_lshlrev_b32_e32 v28, 2, v28
	v_lshlrev_b16 v168, 8, v168
	v_sub_nc_u16 v169, v169, v190
	v_lshrrev_b32_e32 v190, 16, v188
	v_sub_nc_u16 v188, v188, v144
	v_lshrrev_b32_e32 v144, 16, v144
	v_and_b32_e32 v27, 0x4040404, v27
	v_lshlrev_b16 v169, 8, v169
	v_and_b32_e32 v28, 0x4040404, v28
	v_or_b32_sdwa v167, v186, v167 dst_sel:DWORD dst_unused:UNUSED_PAD src0_sel:BYTE_0 src1_sel:DWORD
	v_sub_nc_u16 v144, v190, v144
	v_and_b32_e32 v190, 0x3030303, v170
	v_bfe_u32 v170, v170, 24, 2
	v_or_b32_sdwa v145, v145, v168 dst_sel:WORD_1 dst_unused:UNUSED_PAD src0_sel:BYTE_0 src1_sel:DWORD
	v_ashrrev_i32_e32 v29, s19, v29
	v_or_b32_sdwa v144, v144, v169 dst_sel:WORD_1 dst_unused:UNUSED_PAD src0_sel:BYTE_0 src1_sel:DWORD
	v_lshrrev_b16 v191, 8, v190
	s_and_b32 s24, s1, -16
	v_or_b32_sdwa v145, v167, v145 dst_sel:DWORD dst_unused:UNUSED_PAD src0_sel:WORD_0 src1_sel:DWORD
	v_lshlrev_b32_e32 v29, 2, v29
	s_add_i32 s21, s21, s24
	v_sub_nc_u16 v191, v191, v192
	v_lshrrev_b32_e32 v192, 24, v143
	v_lshlrev_b16 v168, 8, v189
	v_and_b32_e32 v29, 0x4040404, v29
	v_ashrrev_i32_e32 v30, s19, v30
	v_lshlrev_b16 v169, 8, v191
	v_sub_nc_u16 v170, v170, v192
	v_lshrrev_b32_e32 v192, 16, v190
	v_sub_nc_u16 v190, v190, v143
	v_lshrrev_b32_e32 v143, 16, v143
	v_or_b32_sdwa v168, v188, v168 dst_sel:DWORD dst_unused:UNUSED_PAD src0_sel:BYTE_0 src1_sel:DWORD
	v_lshlrev_b16 v170, 8, v170
	v_lshrrev_b16 v167, 8, v29
	v_or_b32_sdwa v169, v190, v169 dst_sel:DWORD dst_unused:UNUSED_PAD src0_sel:BYTE_0 src1_sel:DWORD
	v_sub_nc_u16 v143, v192, v143
	v_and_b32_e32 v192, 0x3030303, v171
	v_bfe_u32 v171, v171, 24, 2
	v_or_b32_sdwa v144, v168, v144 dst_sel:DWORD dst_unused:UNUSED_PAD src0_sel:WORD_0 src1_sel:DWORD
	v_lshlrev_b32_e32 v30, 2, v30
	v_or_b32_sdwa v143, v143, v170 dst_sel:WORD_1 dst_unused:UNUSED_PAD src0_sel:BYTE_0 src1_sel:DWORD
	v_lshrrev_b16 v193, 8, v192
	v_ashrrev_i32_e32 v31, s19, v31
	v_ashrrev_i32_e32 v32, s19, v32
	v_and_b32_e32 v30, 0x4040404, v30
	v_ashrrev_i32_e32 v33, s19, v33
	v_sub_nc_u16 v193, v193, v194
	v_lshrrev_b32_e32 v194, 24, v142
	v_lshlrev_b32_e32 v31, 2, v31
	v_lshlrev_b32_e32 v32, 2, v32
	v_ashrrev_i32_e32 v152, s22, v152
	v_lshlrev_b16 v170, 8, v193
	v_sub_nc_u16 v171, v171, v194
	v_lshrrev_b32_e32 v194, 16, v192
	v_sub_nc_u16 v192, v192, v142
	v_lshrrev_b32_e32 v142, 16, v142
	v_and_b32_e32 v31, 0x4040404, v31
	v_lshlrev_b16 v171, 8, v171
	v_and_b32_e32 v32, 0x4040404, v32
	v_or_b32_sdwa v170, v192, v170 dst_sel:DWORD dst_unused:UNUSED_PAD src0_sel:BYTE_0 src1_sel:DWORD
	v_sub_nc_u16 v142, v194, v142
	v_and_b32_e32 v194, 0x3030303, v150
	v_bfe_u32 v150, v150, 24, 2
	v_lshlrev_b32_e32 v33, 2, v33
	v_ashrrev_i32_e32 v34, s19, v34
	v_or_b32_sdwa v142, v142, v171 dst_sel:WORD_1 dst_unused:UNUSED_PAD src0_sel:BYTE_0 src1_sel:DWORD
	v_lshrrev_b16 v195, 8, v194
	v_ashrrev_i32_e32 v153, s22, v153
	v_and_b32_e32 v33, 0x4040404, v33
	v_lshlrev_b32_e32 v34, 2, v34
	v_ashrrev_i32_e32 v35, s19, v35
	v_sub_nc_u16 v195, v195, v196
	v_lshrrev_b32_e32 v196, 24, v141
	v_lshrrev_b16 v175, 8, v33
	v_and_b32_e32 v34, 0x4040404, v34
	v_lshlrev_b32_e32 v35, 2, v35
	v_lshlrev_b16 v171, 8, v195
	v_sub_nc_u16 v150, v150, v196
	v_lshrrev_b32_e32 v196, 16, v194
	v_sub_nc_u16 v194, v194, v141
	v_lshrrev_b32_e32 v141, 16, v141
	v_lshrrev_b16 v177, 8, v34
	v_lshlrev_b16 v150, 8, v150
	v_and_b32_e32 v35, 0x4040404, v35
	v_or_b32_sdwa v171, v194, v171 dst_sel:DWORD dst_unused:UNUSED_PAD src0_sel:BYTE_0 src1_sel:DWORD
	v_sub_nc_u16 v141, v196, v141
	v_and_b32_e32 v196, 0x3030303, v151
	v_bfe_u32 v151, v151, 24, 2
	v_lshrrev_b16 v179, 8, v35
	v_ashrrev_i32_e32 v36, s19, v36
	v_or_b32_sdwa v141, v141, v150 dst_sel:WORD_1 dst_unused:UNUSED_PAD src0_sel:BYTE_0 src1_sel:DWORD
	v_lshrrev_b16 v197, 8, v196
	v_ashrrev_i32_e32 v25, s19, v25
	v_ashrrev_i32_e32 v26, s19, v26
	v_lshlrev_b32_e32 v36, 2, v36
	v_ashrrev_i32_e32 v154, s22, v154
	v_sub_nc_u16 v197, v197, v198
	v_lshrrev_b32_e32 v198, 24, v140
	v_lshlrev_b32_e32 v25, 2, v25
	v_and_b32_e32 v36, 0x4040404, v36
	v_lshlrev_b32_e32 v26, 2, v26
	v_lshlrev_b16 v150, 8, v197
	v_sub_nc_u16 v151, v151, v198
	v_lshrrev_b32_e32 v198, 16, v196
	v_sub_nc_u16 v196, v196, v140
	v_lshrrev_b32_e32 v140, 16, v140
	v_lshrrev_b16 v181, 8, v36
	v_lshlrev_b16 v151, 8, v151
	v_and_b32_e32 v25, 0x4040404, v25
	v_or_b32_sdwa v150, v196, v150 dst_sel:DWORD dst_unused:UNUSED_PAD src0_sel:BYTE_0 src1_sel:DWORD
	v_sub_nc_u16 v140, v198, v140
	v_and_b32_e32 v198, 0x3030303, v172
	v_bfe_u32 v172, v172, 24, 2
	v_lshrrev_b16 v183, 8, v25
	v_and_b32_e32 v26, 0x4040404, v26
	v_or_b32_sdwa v140, v140, v151 dst_sel:WORD_1 dst_unused:UNUSED_PAD src0_sel:BYTE_0 src1_sel:DWORD
	v_lshrrev_b16 v199, 8, v198
	v_ashrrev_i32_e32 v155, s22, v155
	v_ashrrev_i32_e32 v37, s19, v37
	v_lshrrev_b16 v185, 8, v26
	v_or_b32_sdwa v150, v150, v140 dst_sel:DWORD dst_unused:UNUSED_PAD src0_sel:WORD_0 src1_sel:DWORD
	v_sub_nc_u16 v199, v199, v200
	v_lshrrev_b32_e32 v200, 24, v139
	v_lshlrev_b32_e32 v37, 2, v37
	v_ashrrev_i32_e32 v38, s19, v38
	s_add_i32 s1, s1, 2
	v_lshlrev_b16 v151, 8, v199
	v_sub_nc_u16 v172, v172, v200
	v_lshrrev_b32_e32 v200, 16, v198
	v_sub_nc_u16 v198, v198, v139
	v_lshrrev_b32_e32 v139, 16, v139
	v_and_b32_e32 v37, 0x4040404, v37
	v_lshlrev_b16 v172, 8, v172
	v_lshlrev_b32_e32 v38, 2, v38
	v_or_b32_sdwa v151, v198, v151 dst_sel:DWORD dst_unused:UNUSED_PAD src0_sel:BYTE_0 src1_sel:DWORD
	v_sub_nc_u16 v139, v200, v139
	v_and_b32_e32 v200, 0x3030303, v173
	v_bfe_u32 v173, v173, 24, 2
	v_lshrrev_b16 v191, 8, v37
	v_and_b32_e32 v38, 0x4040404, v38
	v_or_b32_sdwa v139, v139, v172 dst_sel:WORD_1 dst_unused:UNUSED_PAD src0_sel:BYTE_0 src1_sel:DWORD
	v_lshrrev_b16 v201, 8, v200
	v_lshrrev_b16 v193, 8, v38
	v_or_b32_sdwa v151, v151, v139 dst_sel:DWORD dst_unused:UNUSED_PAD src0_sel:WORD_0 src1_sel:DWORD
	v_sub_nc_u16 v201, v201, v202
	v_lshrrev_b32_e32 v202, 24, v137
	v_lshlrev_b16 v172, 8, v201
	v_sub_nc_u16 v173, v173, v202
	v_lshrrev_b32_e32 v202, 16, v200
	v_sub_nc_u16 v200, v200, v137
	v_lshrrev_b32_e32 v137, 16, v137
	v_lshlrev_b16 v173, 8, v173
	v_or_b32_sdwa v172, v200, v172 dst_sel:DWORD dst_unused:UNUSED_PAD src0_sel:BYTE_0 src1_sel:DWORD
	v_sub_nc_u16 v137, v202, v137
	v_and_b32_e32 v202, 0x3030303, v148
	v_bfe_u32 v148, v148, 24, 2
	v_or_b32_sdwa v137, v137, v173 dst_sel:WORD_1 dst_unused:UNUSED_PAD src0_sel:BYTE_0 src1_sel:DWORD
	v_lshrrev_b16 v203, 8, v202
	v_sub_nc_u16 v203, v203, v204
	v_lshrrev_b32_e32 v204, 24, v138
	v_lshlrev_b16 v173, 8, v203
	v_sub_nc_u16 v148, v148, v204
	v_lshrrev_b32_e32 v204, 16, v202
	v_sub_nc_u16 v202, v202, v138
	v_lshrrev_b32_e32 v138, 16, v138
	v_lshlrev_b16 v148, 8, v148
	v_or_b32_sdwa v173, v202, v173 dst_sel:DWORD dst_unused:UNUSED_PAD src0_sel:BYTE_0 src1_sel:DWORD
	v_sub_nc_u16 v138, v204, v138
	v_and_b32_e32 v204, 0x3030303, v149
	v_bfe_u32 v149, v149, 24, 2
	v_or_b32_sdwa v138, v138, v148 dst_sel:WORD_1 dst_unused:UNUSED_PAD src0_sel:BYTE_0 src1_sel:DWORD
	v_lshrrev_b16 v205, 8, v204
	v_or_b32_sdwa v165, v173, v138 dst_sel:DWORD dst_unused:UNUSED_PAD src0_sel:WORD_0 src1_sel:DWORD
	v_sub_nc_u16 v205, v205, v206
	v_lshrrev_b32_e32 v206, 24, v136
	v_lshrrev_b16 v173, 8, v32
	v_lshlrev_b16 v148, 8, v205
	v_sub_nc_u16 v149, v149, v206
	v_lshrrev_b32_e32 v206, 16, v204
	v_sub_nc_u16 v204, v204, v136
	v_lshrrev_b32_e32 v136, 16, v136
	v_lshlrev_b16 v149, 8, v149
	v_or_b32_sdwa v148, v204, v148 dst_sel:DWORD dst_unused:UNUSED_PAD src0_sel:BYTE_0 src1_sel:DWORD
	v_sub_nc_u16 v136, v206, v136
	v_or_b32_sdwa v136, v136, v149 dst_sel:WORD_1 dst_unused:UNUSED_PAD src0_sel:BYTE_0 src1_sel:DWORD
	v_or_b32_sdwa v149, v174, v158 dst_sel:DWORD dst_unused:UNUSED_PAD src0_sel:WORD_0 src1_sel:DWORD
	v_or_b32_sdwa v158, v162, v159 dst_sel:DWORD dst_unused:UNUSED_PAD src0_sel:WORD_0 src1_sel:DWORD
	;; [unrolled: 1-line block ×9, first 2 shown]
	ds_read_b128 v[136:139], v131
	ds_read_b128 v[140:143], v131 offset:16
	v_lshrrev_b16 v169, 8, v30
	v_lshrrev_b16 v171, 8, v31
	v_add_nc_u32_e32 v131, 32, v131
	s_waitcnt lgkmcnt(1)
	v_dot4c_i32_i8 v166, v149, v136
	v_mov_b32_e32 v149, 0
	v_dot4c_i32_i8 v166, v158, v137
	v_dot4c_i32_i8 v149, v147, v136
	v_mov_b32_e32 v147, 0
	v_dot4c_i32_i8 v166, v159, v138
	v_dot4c_i32_i8 v149, v146, v137
	;; [unrolled: 1-line block ×3, first 2 shown]
	v_mov_b32_e32 v161, 0
	v_dot4c_i32_i8 v166, v160, v139
	v_dot4c_i32_i8 v149, v145, v138
	;; [unrolled: 1-line block ×4, first 2 shown]
	v_ashrrev_i32_e32 v136, s22, v21
	v_lshrrev_b16 v162, 8, v27
	v_add_nc_u32_e32 v21, s21, v89
	v_dot4c_i32_i8 v147, v163, v138
	v_dot4c_i32_i8 v161, v164, v137
	v_and_b32_e32 v159, 0x3030303, v136
	v_bfe_u32 v136, v136, 24, 2
	v_ashrrev_i32_e32 v137, s22, v22
	v_lshrrev_b16 v164, 8, v28
	v_dot4c_i32_i8 v161, v165, v138
	v_lshrrev_b16 v160, 8, v159
	v_ashrrev_i32_e32 v138, s22, v23
	ds_read_u16 v146, v21 offset:26370
	v_add3_u32 v21, s23, v117, v118
	v_dot4c_i32_i8 v161, v148, v139
	v_sub_nc_u16 v160, v160, v162
	v_lshrrev_b32_e32 v162, 24, v27
	v_add_nc_u32_e32 v23, 0x1098, v133
	ds_read_b32 v148, v21
	v_add_nc_u32_e32 v21, 0x1090, v133
	v_dot4c_i32_i8 v149, v144, v139
	v_sub_nc_u16 v136, v136, v162
	v_lshrrev_b32_e32 v162, 16, v159
	v_sub_nc_u16 v159, v159, v27
	v_lshrrev_b32_e32 v27, 16, v27
	v_dot4c_i32_i8 v147, v150, v139
	v_ashrrev_i32_e32 v139, s22, v24
	ds_read2_b32 v[21:22], v21 offset1:1
	ds_read2_b32 v[23:24], v23 offset1:1
	v_ashrrev_i32_e32 v144, s19, v156
	v_sub_nc_u16 v27, v162, v27
	v_and_b32_e32 v162, 0x3030303, v137
	v_bfe_u32 v137, v137, 24, 2
	v_ashrrev_i32_e32 v145, s19, v157
	v_lshlrev_b32_e32 v144, 2, v144
	v_lshlrev_b16 v160, 8, v160
	v_lshrrev_b16 v163, 8, v162
	v_lshlrev_b16 v136, 8, v136
	v_lshlrev_b32_e32 v145, 2, v145
	v_and_b32_e32 v144, 0x4040404, v144
	v_or_b32_sdwa v159, v159, v160 dst_sel:DWORD dst_unused:UNUSED_PAD src0_sel:BYTE_0 src1_sel:DWORD
	v_sub_nc_u16 v163, v163, v164
	v_lshrrev_b32_e32 v164, 24, v28
	v_and_b32_e32 v145, 0x4040404, v145
	v_lshrrev_b16 v187, 8, v144
	v_or_b32_sdwa v27, v27, v136 dst_sel:WORD_1 dst_unused:UNUSED_PAD src0_sel:BYTE_0 src1_sel:DWORD
	v_lshlrev_b16 v136, 8, v163
	v_sub_nc_u16 v137, v137, v164
	v_lshrrev_b32_e32 v164, 16, v162
	v_sub_nc_u16 v162, v162, v28
	v_lshrrev_b32_e32 v28, 16, v28
	s_waitcnt lgkmcnt(1)
	v_ashrrev_i32_e32 v150, s22, v21
	v_ashrrev_i32_e32 v151, s22, v22
	v_add_nc_u32_e32 v22, s21, v87
	s_waitcnt lgkmcnt(0)
	v_ashrrev_i32_e32 v156, s22, v23
	v_sub_nc_u16 v28, v164, v28
	v_and_b32_e32 v164, 0x3030303, v138
	v_bfe_u32 v138, v138, 24, 2
	v_add_nc_u32_e32 v21, 0x3190, v133
	v_add_nc_u32_e32 v23, 0x3198, v133
	ds_read_u16 v133, v22 offset:28418
	v_lshrrev_b16 v165, 8, v164
	v_add3_u32 v22, s23, v125, v126
	v_ashrrev_i32_e32 v157, s22, v24
	ds_read_b32 v158, v22
	ds_read2_b32 v[21:22], v21 offset1:1
	ds_read2_b32 v[23:24], v23 offset1:1
	v_sub_nc_u16 v165, v165, v167
	v_lshrrev_b32_e32 v167, 24, v29
	v_lshrrev_b16 v189, 8, v145
	v_or_b32_sdwa v27, v159, v27 dst_sel:DWORD dst_unused:UNUSED_PAD src0_sel:WORD_0 src1_sel:DWORD
	v_lshlrev_b16 v137, 8, v137
	v_or_b32_sdwa v136, v162, v136 dst_sel:DWORD dst_unused:UNUSED_PAD src0_sel:BYTE_0 src1_sel:DWORD
	v_sub_nc_u16 v138, v138, v167
	v_lshrrev_b32_e32 v167, 16, v164
	v_sub_nc_u16 v164, v164, v29
	v_lshrrev_b32_e32 v29, 16, v29
	v_or_b32_sdwa v28, v28, v137 dst_sel:WORD_1 dst_unused:UNUSED_PAD src0_sel:BYTE_0 src1_sel:DWORD
	v_lshlrev_b16 v137, 8, v165
	v_lshlrev_b16 v138, 8, v138
	s_add_i32 s19, s19, 1
	v_sub_nc_u16 v29, v167, v29
	v_and_b32_e32 v167, 0x3030303, v139
	v_bfe_u32 v139, v139, 24, 2
	v_or_b32_sdwa v28, v136, v28 dst_sel:DWORD dst_unused:UNUSED_PAD src0_sel:WORD_0 src1_sel:DWORD
	s_waitcnt lgkmcnt(1)
	v_ashrrev_i32_e32 v21, s22, v21
	v_ashrrev_i32_e32 v22, s22, v22
	v_lshrrev_b16 v168, 8, v167
	s_waitcnt lgkmcnt(0)
	v_ashrrev_i32_e32 v23, s22, v23
	v_ashrrev_i32_e32 v24, s22, v24
	v_mov_b32_e32 v136, 0
	v_or_b32_sdwa v137, v164, v137 dst_sel:DWORD dst_unused:UNUSED_PAD src0_sel:BYTE_0 src1_sel:DWORD
	v_sub_nc_u16 v168, v168, v169
	v_lshrrev_b32_e32 v169, 24, v30
	v_or_b32_sdwa v29, v29, v138 dst_sel:WORD_1 dst_unused:UNUSED_PAD src0_sel:BYTE_0 src1_sel:DWORD
	s_cmp_lt_u32 s20, 14
	v_lshlrev_b16 v138, 8, v168
	v_sub_nc_u16 v139, v139, v169
	v_lshrrev_b32_e32 v169, 16, v167
	v_sub_nc_u16 v167, v167, v30
	v_lshrrev_b32_e32 v30, 16, v30
	v_or_b32_sdwa v29, v137, v29 dst_sel:DWORD dst_unused:UNUSED_PAD src0_sel:WORD_0 src1_sel:DWORD
	v_lshlrev_b16 v139, 8, v139
	v_or_b32_sdwa v138, v167, v138 dst_sel:DWORD dst_unused:UNUSED_PAD src0_sel:BYTE_0 src1_sel:DWORD
	v_sub_nc_u16 v30, v169, v30
	v_and_b32_e32 v169, 0x3030303, v150
	v_bfe_u32 v150, v150, 24, 2
	v_or_b32_sdwa v30, v30, v139 dst_sel:WORD_1 dst_unused:UNUSED_PAD src0_sel:BYTE_0 src1_sel:DWORD
	v_lshrrev_b16 v170, 8, v169
	v_or_b32_sdwa v30, v138, v30 dst_sel:DWORD dst_unused:UNUSED_PAD src0_sel:WORD_0 src1_sel:DWORD
	v_sub_nc_u16 v170, v170, v171
	v_lshrrev_b32_e32 v171, 24, v31
	v_lshlrev_b16 v139, 8, v170
	v_sub_nc_u16 v150, v150, v171
	v_lshrrev_b32_e32 v171, 16, v169
	v_sub_nc_u16 v169, v169, v31
	v_lshrrev_b32_e32 v31, 16, v31
	v_lshlrev_b16 v150, 8, v150
	v_or_b32_sdwa v139, v169, v139 dst_sel:DWORD dst_unused:UNUSED_PAD src0_sel:BYTE_0 src1_sel:DWORD
	v_sub_nc_u16 v31, v171, v31
	v_and_b32_e32 v171, 0x3030303, v151
	v_bfe_u32 v151, v151, 24, 2
	v_or_b32_sdwa v31, v31, v150 dst_sel:WORD_1 dst_unused:UNUSED_PAD src0_sel:BYTE_0 src1_sel:DWORD
	v_lshrrev_b16 v172, 8, v171
	v_or_b32_sdwa v31, v139, v31 dst_sel:DWORD dst_unused:UNUSED_PAD src0_sel:WORD_0 src1_sel:DWORD
	v_sub_nc_u16 v172, v172, v173
	v_lshrrev_b32_e32 v173, 24, v32
	v_lshlrev_b16 v150, 8, v172
	v_sub_nc_u16 v151, v151, v173
	v_lshrrev_b32_e32 v173, 16, v171
	v_sub_nc_u16 v171, v171, v32
	v_lshrrev_b32_e32 v32, 16, v32
	;; [unrolled: 15-line block ×3, first 2 shown]
	v_lshlrev_b16 v152, 8, v152
	v_or_b32_sdwa v151, v173, v151 dst_sel:DWORD dst_unused:UNUSED_PAD src0_sel:BYTE_0 src1_sel:DWORD
	v_sub_nc_u16 v33, v175, v33
	v_and_b32_e32 v175, 0x3030303, v153
	v_bfe_u32 v153, v153, 24, 2
	v_or_b32_sdwa v33, v33, v152 dst_sel:WORD_1 dst_unused:UNUSED_PAD src0_sel:BYTE_0 src1_sel:DWORD
	v_lshrrev_b16 v176, 8, v175
	v_or_b32_sdwa v33, v151, v33 dst_sel:DWORD dst_unused:UNUSED_PAD src0_sel:WORD_0 src1_sel:DWORD
	v_sub_nc_u16 v176, v176, v177
	v_lshrrev_b32_e32 v177, 24, v34
	v_dot4c_i32_i8 v136, v33, v140
	v_lshlrev_b16 v152, 8, v176
	v_sub_nc_u16 v153, v153, v177
	v_lshrrev_b32_e32 v177, 16, v175
	v_sub_nc_u16 v175, v175, v34
	v_lshrrev_b32_e32 v34, 16, v34
	v_lshlrev_b16 v153, 8, v153
	v_or_b32_sdwa v152, v175, v152 dst_sel:DWORD dst_unused:UNUSED_PAD src0_sel:BYTE_0 src1_sel:DWORD
	v_sub_nc_u16 v34, v177, v34
	v_and_b32_e32 v177, 0x3030303, v21
	v_bfe_u32 v21, v21, 24, 2
	v_or_b32_sdwa v34, v34, v153 dst_sel:WORD_1 dst_unused:UNUSED_PAD src0_sel:BYTE_0 src1_sel:DWORD
	v_lshrrev_b16 v178, 8, v177
	v_or_b32_sdwa v34, v152, v34 dst_sel:DWORD dst_unused:UNUSED_PAD src0_sel:WORD_0 src1_sel:DWORD
	v_sub_nc_u16 v178, v178, v179
	v_lshrrev_b32_e32 v179, 24, v35
	v_dot4c_i32_i8 v136, v34, v141
	v_lshlrev_b16 v153, 8, v178
	v_sub_nc_u16 v21, v21, v179
	v_lshrrev_b32_e32 v179, 16, v177
	v_sub_nc_u16 v177, v177, v35
	v_lshrrev_b32_e32 v35, 16, v35
	v_lshlrev_b16 v21, 8, v21
	v_or_b32_sdwa v153, v177, v153 dst_sel:DWORD dst_unused:UNUSED_PAD src0_sel:BYTE_0 src1_sel:DWORD
	v_sub_nc_u16 v35, v179, v35
	v_and_b32_e32 v179, 0x3030303, v22
	v_bfe_u32 v22, v22, 24, 2
	v_or_b32_sdwa v21, v35, v21 dst_sel:WORD_1 dst_unused:UNUSED_PAD src0_sel:BYTE_0 src1_sel:DWORD
	v_lshrrev_b16 v180, 8, v179
	v_or_b32_sdwa v21, v153, v21 dst_sel:DWORD dst_unused:UNUSED_PAD src0_sel:WORD_0 src1_sel:DWORD
	v_sub_nc_u16 v180, v180, v181
	v_lshrrev_b32_e32 v181, 24, v36
	v_lshlrev_b16 v35, 8, v180
	v_sub_nc_u16 v22, v22, v181
	v_lshrrev_b32_e32 v181, 16, v179
	v_sub_nc_u16 v179, v179, v36
	v_lshrrev_b32_e32 v36, 16, v36
	v_lshlrev_b16 v22, 8, v22
	v_or_b32_sdwa v35, v179, v35 dst_sel:DWORD dst_unused:UNUSED_PAD src0_sel:BYTE_0 src1_sel:DWORD
	v_sub_nc_u16 v36, v181, v36
	v_and_b32_e32 v181, 0x3030303, v156
	v_bfe_u32 v156, v156, 24, 2
	v_or_b32_sdwa v22, v36, v22 dst_sel:WORD_1 dst_unused:UNUSED_PAD src0_sel:BYTE_0 src1_sel:DWORD
	v_lshrrev_b16 v182, 8, v181
	v_or_b32_sdwa v22, v35, v22 dst_sel:DWORD dst_unused:UNUSED_PAD src0_sel:WORD_0 src1_sel:DWORD
	v_sub_nc_u16 v182, v182, v183
	v_lshrrev_b32_e32 v183, 24, v25
	;; [unrolled: 15-line block ×5, first 2 shown]
	v_dot4c_i32_i8 v136, v35, v142
	v_lshlrev_b16 v154, 8, v188
	v_sub_nc_u16 v155, v155, v189
	v_lshrrev_b32_e32 v189, 16, v187
	v_sub_nc_u16 v187, v187, v145
	v_lshrrev_b32_e32 v145, 16, v145
	v_lshlrev_b16 v155, 8, v155
	v_or_b32_sdwa v154, v187, v154 dst_sel:DWORD dst_unused:UNUSED_PAD src0_sel:BYTE_0 src1_sel:DWORD
	v_sub_nc_u16 v145, v189, v145
	v_and_b32_e32 v189, 0x3030303, v23
	v_bfe_u32 v23, v23, 24, 2
	v_or_b32_sdwa v145, v145, v155 dst_sel:WORD_1 dst_unused:UNUSED_PAD src0_sel:BYTE_0 src1_sel:DWORD
	v_lshrrev_b16 v190, 8, v189
	v_or_b32_sdwa v36, v154, v145 dst_sel:DWORD dst_unused:UNUSED_PAD src0_sel:WORD_0 src1_sel:DWORD
	v_sub_nc_u16 v190, v190, v191
	v_lshrrev_b32_e32 v191, 24, v37
	v_dot4c_i32_i8 v136, v36, v143
	v_lshlrev_b16 v155, 8, v190
	v_sub_nc_u16 v23, v23, v191
	v_lshrrev_b32_e32 v191, 16, v189
	v_sub_nc_u16 v189, v189, v37
	v_lshrrev_b32_e32 v37, 16, v37
	v_lshlrev_b16 v23, 8, v23
	v_or_b32_sdwa v155, v189, v155 dst_sel:DWORD dst_unused:UNUSED_PAD src0_sel:BYTE_0 src1_sel:DWORD
	v_sub_nc_u16 v37, v191, v37
	v_and_b32_e32 v191, 0x3030303, v24
	v_bfe_u32 v24, v24, 24, 2
	v_or_b32_sdwa v23, v37, v23 dst_sel:WORD_1 dst_unused:UNUSED_PAD src0_sel:BYTE_0 src1_sel:DWORD
	v_lshrrev_b16 v192, 8, v191
	v_or_b32_sdwa v23, v155, v23 dst_sel:DWORD dst_unused:UNUSED_PAD src0_sel:WORD_0 src1_sel:DWORD
	v_sub_nc_u16 v192, v192, v193
	v_lshrrev_b32_e32 v193, 24, v38
	v_lshlrev_b16 v37, 8, v192
	v_sub_nc_u16 v24, v24, v193
	v_lshrrev_b32_e32 v193, 16, v191
	v_sub_nc_u16 v191, v191, v38
	v_lshrrev_b32_e32 v38, 16, v38
	v_lshlrev_b16 v24, 8, v24
	v_or_b32_sdwa v37, v191, v37 dst_sel:DWORD dst_unused:UNUSED_PAD src0_sel:BYTE_0 src1_sel:DWORD
	v_sub_nc_u16 v38, v193, v38
	v_or_b32_sdwa v24, v38, v24 dst_sel:WORD_1 dst_unused:UNUSED_PAD src0_sel:BYTE_0 src1_sel:DWORD
	v_mov_b32_e32 v38, 0
	v_or_b32_sdwa v24, v37, v24 dst_sel:DWORD dst_unused:UNUSED_PAD src0_sel:WORD_0 src1_sel:DWORD
	v_mov_b32_e32 v37, 0
	v_dot4c_i32_i8 v38, v27, v140
	v_add_nc_u32_e32 v27, s21, v90
	v_dot4c_i32_i8 v37, v31, v140
	v_mov_b32_e32 v31, 0
	v_dot4c_i32_i8 v38, v28, v141
	v_dot4c_i32_i8 v37, v32, v141
	;; [unrolled: 1-line block ×3, first 2 shown]
	v_add_nc_u32_e32 v21, s21, v88
	ds_read_u16 v27, v27 offset:25346
	ds_read_u16 v21, v21 offset:27394
	v_dot4c_i32_i8 v31, v22, v141
	v_bfe_i32 v22, v146, 0, 8
	v_dot4c_i32_i8 v38, v29, v142
	v_lshrrev_b16 v29, 8, v133
	v_bfe_i32 v133, v133, 0, 8
	v_dot4c_i32_i8 v31, v23, v142
	v_mul_lo_u32 v22, v149, v22
	v_dot4c_i32_i8 v37, v25, v142
	v_dot4c_i32_i8 v38, v30, v143
	ds_read_b32 v33, v132
	v_dot4c_i32_i8 v31, v24, v143
	v_mul_lo_u32 v24, v161, v133
	v_dot4c_i32_i8 v37, v26, v143
	v_bfe_i32 v29, v29, 0, 8
	v_add_nc_u32_e32 v132, 4, v132
	s_mov_b32 s21, s20
	s_waitcnt lgkmcnt(2)
	v_lshrrev_b16 v28, 8, v27
	v_bfe_i32 v27, v27, 0, 8
	s_waitcnt lgkmcnt(1)
	v_lshrrev_b16 v32, 8, v21
	v_bfe_i32 v34, v21, 0, 8
	v_lshrrev_b16 v21, 8, v146
	v_bfe_i32 v28, v28, 0, 8
	v_bfe_i32 v32, v32, 0, 8
	v_mul_lo_u32 v23, v147, v34
	v_bfe_i32 v137, v21, 0, 8
	v_mul_lo_u32 v21, v166, v27
	v_mad_u64_u32 v[25:26], null, v38, v28, v[21:22]
	v_mad_u64_u32 v[26:27], null, v37, v137, v[22:23]
	;; [unrolled: 1-line block ×3, first 2 shown]
	s_waitcnt lgkmcnt(0)
	v_mul_f32_e32 v21, v33, v135
	v_mul_f32_e32 v22, v33, v148
	v_mad_u64_u32 v[28:29], null, v31, v29, v[24:25]
	v_mul_f32_e32 v23, v33, v134
	v_mul_f32_e32 v24, v33, v158
	v_cvt_f32_i32_e32 v25, v25
	v_cvt_f32_i32_e32 v26, v26
	;; [unrolled: 1-line block ×4, first 2 shown]
	v_fmac_f32_e32 v40, v21, v25
	v_fmac_f32_e32 v86, v22, v26
	;; [unrolled: 1-line block ×4, first 2 shown]
	s_cbranch_scc1 .LBB190_19
; %bb.20:                               ;   in Loop: Header=BB190_5 Depth=1
	s_or_b32 s1, s4, 0x100
	s_cmp_ge_i32 s1, s9
	s_barrier
	buffer_gl0_inv
	s_cbranch_scc1 .LBB190_4
; %bb.21:                               ;   in Loop: Header=BB190_5 Depth=1
	v_add_nc_u32_e32 v21, s5, v97
	v_cmp_gt_i32_e64 s1, s8, v21
	s_and_b32 s19, s0, s1
	s_and_saveexec_b32 s1, s19
	s_cbranch_execz .LBB190_23
; %bb.22:                               ;   in Loop: Header=BB190_5 Depth=1
	v_add_nc_u32_e32 v21, v99, v21
	v_mad_i64_i32 v[21:22], null, v21, 36, v[19:20]
	global_load_dword v21, v[21:22], off offset:4
	s_waitcnt vmcnt(0)
	ds_write_b32 v82, v21
.LBB190_23:                             ;   in Loop: Header=BB190_5 Depth=1
	s_or_b32 exec_lo, exec_lo, s1
	s_and_saveexec_b32 s19, vcc_lo
	s_cbranch_execz .LBB190_26
; %bb.24:                               ;   in Loop: Header=BB190_5 Depth=1
	v_or_b32_e32 v21, 8, v130
	v_cmp_gt_i32_e64 s1, s8, v21
	s_and_b32 s1, s0, s1
	s_and_b32 exec_lo, exec_lo, s1
	s_cbranch_execz .LBB190_26
; %bb.25:                               ;   in Loop: Header=BB190_5 Depth=1
	v_ashrrev_i32_e32 v21, 31, v130
	v_add_co_u32 v22, s1, v99, v130
	v_add_co_ci_u32_e64 v23, null, v103, v21, s1
	v_mad_u64_u32 v[21:22], null, v22, 36, s[2:3]
	v_mad_i32_i24 v22, v23, 36, v22
	global_load_dword v21, v[21:22], off offset:288
	s_waitcnt vmcnt(0)
	v_cvt_f32_f16_e32 v21, v21
	ds_write_b32 v84, v21
.LBB190_26:                             ;   in Loop: Header=BB190_5 Depth=1
	s_or_b32 exec_lo, exec_lo, s19
	v_mov_b32_e32 v131, v1
	v_mov_b32_e32 v132, v83
	s_mov_b32 s1, 16
	s_mov_b32 s21, 14
	;; [unrolled: 1-line block ×3, first 2 shown]
	s_waitcnt lgkmcnt(0)
	s_barrier
	buffer_gl0_inv
.LBB190_27:                             ;   Parent Loop BB190_5 Depth=1
                                        ; =>  This Inner Loop Header: Depth=2
	s_add_i32 s20, s21, 2
	s_add_i32 s22, s21, -14
	s_lshr_b32 s23, s20, 4
	s_and_b32 s24, s20, 0x3ffffff8
	s_lshl_b32 s25, s23, 5
	v_lshl_add_u32 v133, s24, 2, v101
	s_add_i32 s24, s25, 0x4200
	s_lshl_b32 s23, s23, 2
	v_add3_u32 v25, s24, v127, v114
	v_add3_u32 v26, s24, v115, v116
	;; [unrolled: 1-line block ×3, first 2 shown]
	v_add_nc_u32_e32 v38, 0x1080, v133
	ds_read2_b32 v[35:36], v133 offset1:1
	ds_read2_b32 v[33:34], v133 offset0:2 offset1:3
	ds_read2_b32 v[21:22], v133 offset0:4 offset1:5
	;; [unrolled: 1-line block ×3, first 2 shown]
	ds_read2_b32 v[135:136], v25 offset1:1
	ds_read2_b32 v[137:138], v25 offset0:2 offset1:3
	ds_read2_b32 v[139:140], v26 offset1:1
	ds_read2_b32 v[141:142], v26 offset0:2 offset1:3
	ds_read2_b32 v[148:149], v134 offset0:2 offset1:3
	;; [unrolled: 1-line block ×5, first 2 shown]
	ds_read2_b32 v[150:151], v38 offset1:1
	ds_read2_b32 v[25:26], v26 offset0:6 offset1:7
	v_add_nc_u32_e32 v37, 0x2100, v133
	s_addk_i32 s23, 0x7380
	v_add_nc_u32_e32 v154, 0x2118, v133
	s_waitcnt lgkmcnt(13)
	v_ashrrev_i32_e32 v158, s22, v35
	v_ashrrev_i32_e32 v159, s22, v36
	s_waitcnt lgkmcnt(12)
	v_ashrrev_i32_e32 v160, s22, v33
	v_ashrrev_i32_e32 v161, s22, v34
	s_waitcnt lgkmcnt(9)
	v_ashrrev_i32_e32 v162, s19, v135
	v_and_b32_e32 v174, 0x3030303, v158
	v_ashrrev_i32_e32 v163, s19, v136
	v_bfe_u32 v158, v158, 24, 2
	ds_read2_b32 v[33:34], v134 offset0:4 offset1:5
	ds_read2_b32 v[152:153], v37 offset1:1
	ds_read2_b32 v[35:36], v134 offset1:1
	v_lshlrev_b32_e32 v162, 2, v162
	v_lshrrev_b16 v175, 8, v174
	v_lshlrev_b32_e32 v163, 2, v163
	s_waitcnt lgkmcnt(11)
	v_ashrrev_i32_e32 v164, s19, v137
	v_add3_u32 v37, s24, v123, v124
	v_and_b32_e32 v162, 0x4040404, v162
	v_ashrrev_i32_e32 v165, s19, v138
	v_and_b32_e32 v163, 0x4040404, v163
	v_lshlrev_b32_e32 v164, 2, v164
	s_waitcnt lgkmcnt(10)
	v_ashrrev_i32_e32 v146, s19, v140
	v_lshrrev_b16 v176, 8, v162
	s_waitcnt lgkmcnt(9)
	v_ashrrev_i32_e32 v145, s19, v141
	v_lshrrev_b16 v178, 8, v163
	v_and_b32_e32 v164, 0x4040404, v164
	v_ashrrev_i32_e32 v144, s19, v142
	v_sub_nc_u16 v175, v175, v176
	v_lshrrev_b32_e32 v176, 24, v162
	s_waitcnt lgkmcnt(8)
	v_ashrrev_i32_e32 v141, s19, v148
	v_lshrrev_b16 v180, 8, v164
	s_waitcnt lgkmcnt(0)
	v_ashrrev_i32_e32 v143, s19, v35
	v_add_nc_u32_e32 v35, 0x3180, v133
	v_sub_nc_u16 v158, v158, v176
	v_lshrrev_b32_e32 v176, 16, v174
	v_sub_nc_u16 v174, v174, v162
	v_lshrrev_b32_e32 v162, 16, v162
	v_ashrrev_i32_e32 v142, s19, v36
	v_ashrrev_i32_e32 v140, s19, v149
	ds_read2_b32 v[148:149], v35 offset1:1
	ds_read2_b32 v[35:36], v37 offset1:1
	v_lshlrev_b32_e32 v165, 2, v165
	v_sub_nc_u16 v162, v176, v162
	v_and_b32_e32 v176, 0x3030303, v159
	v_bfe_u32 v159, v159, 24, 2
	v_ashrrev_i32_e32 v147, s19, v139
	v_and_b32_e32 v165, 0x4040404, v165
	v_ashrrev_i32_e32 v166, s22, v150
	v_lshrrev_b16 v177, 8, v176
	v_add_nc_u32_e32 v150, 0x1088, v133
	v_lshlrev_b32_e32 v147, 2, v147
	v_lshrrev_b16 v182, 8, v165
	v_ashrrev_i32_e32 v167, s22, v151
	v_sub_nc_u16 v177, v177, v178
	v_lshrrev_b32_e32 v178, 24, v163
	v_and_b32_e32 v147, 0x4040404, v147
	v_lshlrev_b32_e32 v146, 2, v146
	v_lshlrev_b32_e32 v145, 2, v145
	;; [unrolled: 1-line block ×3, first 2 shown]
	v_sub_nc_u16 v159, v159, v178
	v_lshrrev_b32_e32 v178, 16, v176
	v_sub_nc_u16 v176, v176, v163
	v_lshrrev_b32_e32 v163, 16, v163
	s_waitcnt lgkmcnt(0)
	v_ashrrev_i32_e32 v139, s19, v35
	v_ashrrev_i32_e32 v137, s19, v36
	ds_read2_b32 v[135:136], v37 offset0:2 offset1:3
	ds_read2_b32 v[35:36], v37 offset0:4 offset1:5
	;; [unrolled: 1-line block ×3, first 2 shown]
	v_lshrrev_b16 v184, 8, v147
	v_sub_nc_u16 v163, v178, v163
	v_and_b32_e32 v178, 0x3030303, v160
	v_bfe_u32 v160, v160, 24, 2
	ds_read2_b32 v[150:151], v150 offset1:1
	v_and_b32_e32 v146, 0x4040404, v146
	v_and_b32_e32 v145, 0x4040404, v145
	v_lshrrev_b16 v179, 8, v178
	v_and_b32_e32 v144, 0x4040404, v144
	v_ashrrev_i32_e32 v170, s22, v152
	v_lshrrev_b16 v186, 8, v146
	v_lshrrev_b16 v188, 8, v145
	v_sub_nc_u16 v179, v179, v180
	v_lshrrev_b32_e32 v180, 24, v164
	v_lshrrev_b16 v190, 8, v144
	v_lshlrev_b32_e32 v143, 2, v143
	v_add_nc_u32_e32 v152, 0x2110, v133
	s_waitcnt lgkmcnt(3)
	v_ashrrev_i32_e32 v138, s19, v135
	v_sub_nc_u16 v160, v160, v180
	v_lshrrev_b32_e32 v180, 16, v178
	v_sub_nc_u16 v178, v178, v164
	v_lshrrev_b32_e32 v164, 16, v164
	v_add3_u32 v135, s23, v128, v129
	v_and_b32_e32 v143, 0x4040404, v143
	s_waitcnt lgkmcnt(0)
	v_ashrrev_i32_e32 v168, s22, v150
	v_ashrrev_i32_e32 v169, s22, v151
	v_sub_nc_u16 v164, v180, v164
	v_and_b32_e32 v180, 0x3030303, v161
	v_bfe_u32 v161, v161, 24, 2
	ds_read_b32 v135, v135
	v_lshrrev_b16 v192, 8, v143
	v_add_nc_u32_e32 v150, 0x2108, v133
	v_lshrrev_b16 v181, 8, v180
	v_ashrrev_i32_e32 v171, s22, v153
	v_lshlrev_b32_e32 v142, 2, v142
	ds_read2_b32 v[150:151], v150 offset1:1
	ds_read2_b32 v[152:153], v152 offset1:1
	ds_read2_b32 v[154:155], v154 offset1:1
	ds_read2_b32 v[156:157], v134 offset0:6 offset1:7
	v_sub_nc_u16 v181, v181, v182
	v_lshrrev_b32_e32 v182, 24, v165
	v_and_b32_e32 v142, 0x4040404, v142
	v_lshlrev_b32_e32 v141, 2, v141
	v_lshlrev_b32_e32 v140, 2, v140
	v_ashrrev_i32_e32 v172, s22, v148
	v_sub_nc_u16 v161, v161, v182
	v_lshrrev_b32_e32 v182, 16, v180
	v_sub_nc_u16 v180, v180, v165
	v_lshrrev_b32_e32 v165, 16, v165
	v_lshrrev_b16 v194, 8, v142
	v_and_b32_e32 v141, 0x4040404, v141
	v_and_b32_e32 v140, 0x4040404, v140
	v_lshlrev_b32_e32 v139, 2, v139
	v_sub_nc_u16 v165, v182, v165
	v_and_b32_e32 v182, 0x3030303, v166
	v_bfe_u32 v166, v166, 24, 2
	s_waitcnt lgkmcnt(3)
	v_ashrrev_i32_e32 v150, s22, v150
	v_lshrrev_b16 v196, 8, v141
	v_ashrrev_i32_e32 v151, s22, v151
	v_lshrrev_b16 v183, 8, v182
	v_lshrrev_b16 v198, 8, v140
	v_and_b32_e32 v139, 0x4040404, v139
	v_add3_u32 v134, s23, v121, v122
	v_add_nc_u32_e32 v148, 0x3188, v133
	v_sub_nc_u16 v183, v183, v184
	v_lshrrev_b32_e32 v184, 24, v147
	v_lshrrev_b16 v200, 8, v139
	ds_read_b32 v134, v134
	v_ashrrev_i32_e32 v173, s22, v149
	ds_read2_b32 v[148:149], v148 offset1:1
	v_sub_nc_u16 v166, v166, v184
	v_lshrrev_b32_e32 v184, 16, v182
	v_sub_nc_u16 v182, v182, v147
	v_lshrrev_b32_e32 v147, 16, v147
	v_lshlrev_b32_e32 v137, 2, v137
	v_lshlrev_b32_e32 v138, 2, v138
	v_ashrrev_i32_e32 v136, s19, v136
	v_lshlrev_b16 v158, 8, v158
	v_sub_nc_u16 v147, v184, v147
	v_and_b32_e32 v184, 0x3030303, v167
	v_bfe_u32 v167, v167, 24, 2
	v_and_b32_e32 v137, 0x4040404, v137
	v_and_b32_e32 v138, 0x4040404, v138
	v_lshlrev_b32_e32 v136, 2, v136
	v_lshrrev_b16 v185, 8, v184
	v_lshlrev_b16 v159, 8, v159
	v_lshrrev_b16 v202, 8, v137
	v_lshrrev_b16 v204, 8, v138
	v_and_b32_e32 v136, 0x4040404, v136
	v_sub_nc_u16 v185, v185, v186
	v_lshrrev_b32_e32 v186, 24, v146
	s_waitcnt lgkmcnt(0)
	v_ashrrev_i32_e32 v148, s22, v148
	v_ashrrev_i32_e32 v149, s22, v149
	v_lshrrev_b16 v206, 8, v136
	v_lshlrev_b16 v160, 8, v160
	v_sub_nc_u16 v167, v167, v186
	v_lshrrev_b32_e32 v186, 16, v184
	v_sub_nc_u16 v184, v184, v146
	v_lshrrev_b32_e32 v146, 16, v146
	v_lshlrev_b16 v161, 8, v161
	v_lshlrev_b16 v175, 8, v175
	v_or_b32_sdwa v158, v162, v158 dst_sel:WORD_1 dst_unused:UNUSED_PAD src0_sel:BYTE_0 src1_sel:DWORD
	v_lshlrev_b16 v162, 8, v177
	v_sub_nc_u16 v146, v186, v146
	v_and_b32_e32 v186, 0x3030303, v168
	v_bfe_u32 v168, v168, 24, 2
	v_or_b32_sdwa v159, v163, v159 dst_sel:WORD_1 dst_unused:UNUSED_PAD src0_sel:BYTE_0 src1_sel:DWORD
	v_lshlrev_b16 v163, 8, v179
	v_or_b32_sdwa v160, v164, v160 dst_sel:WORD_1 dst_unused:UNUSED_PAD src0_sel:BYTE_0 src1_sel:DWORD
	v_lshrrev_b16 v187, 8, v186
	v_lshlrev_b16 v164, 8, v181
	v_or_b32_sdwa v161, v165, v161 dst_sel:WORD_1 dst_unused:UNUSED_PAD src0_sel:BYTE_0 src1_sel:DWORD
	v_lshlrev_b16 v165, 8, v183
	v_lshlrev_b16 v166, 8, v166
	v_sub_nc_u16 v187, v187, v188
	v_lshrrev_b32_e32 v188, 24, v145
	v_or_b32_sdwa v174, v174, v175 dst_sel:DWORD dst_unused:UNUSED_PAD src0_sel:BYTE_0 src1_sel:DWORD
	v_or_b32_sdwa v162, v176, v162 dst_sel:DWORD dst_unused:UNUSED_PAD src0_sel:BYTE_0 src1_sel:DWORD
	;; [unrolled: 1-line block ×4, first 2 shown]
	v_sub_nc_u16 v168, v168, v188
	v_lshrrev_b32_e32 v188, 16, v186
	v_sub_nc_u16 v186, v186, v145
	v_lshrrev_b32_e32 v145, 16, v145
	v_or_b32_sdwa v165, v182, v165 dst_sel:DWORD dst_unused:UNUSED_PAD src0_sel:BYTE_0 src1_sel:DWORD
	v_or_b32_sdwa v147, v147, v166 dst_sel:WORD_1 dst_unused:UNUSED_PAD src0_sel:BYTE_0 src1_sel:DWORD
	v_lshlrev_b16 v166, 8, v185
	v_lshlrev_b16 v167, 8, v167
	v_sub_nc_u16 v145, v188, v145
	v_and_b32_e32 v188, 0x3030303, v169
	v_bfe_u32 v169, v169, 24, 2
	v_or_b32_sdwa v147, v165, v147 dst_sel:DWORD dst_unused:UNUSED_PAD src0_sel:WORD_0 src1_sel:DWORD
	v_or_b32_sdwa v166, v184, v166 dst_sel:DWORD dst_unused:UNUSED_PAD src0_sel:BYTE_0 src1_sel:DWORD
	v_or_b32_sdwa v146, v146, v167 dst_sel:WORD_1 dst_unused:UNUSED_PAD src0_sel:BYTE_0 src1_sel:DWORD
	v_lshrrev_b16 v189, 8, v188
	v_ashrrev_i32_e32 v27, s19, v27
	v_ashrrev_i32_e32 v28, s19, v28
	v_lshlrev_b16 v167, 8, v187
	v_or_b32_sdwa v146, v166, v146 dst_sel:DWORD dst_unused:UNUSED_PAD src0_sel:WORD_0 src1_sel:DWORD
	v_sub_nc_u16 v189, v189, v190
	v_lshrrev_b32_e32 v190, 24, v144
	v_mov_b32_e32 v166, 0
	v_lshlrev_b32_e32 v27, 2, v27
	v_lshlrev_b32_e32 v28, 2, v28
	v_lshlrev_b16 v168, 8, v168
	v_sub_nc_u16 v169, v169, v190
	v_lshrrev_b32_e32 v190, 16, v188
	v_sub_nc_u16 v188, v188, v144
	v_lshrrev_b32_e32 v144, 16, v144
	v_and_b32_e32 v27, 0x4040404, v27
	v_lshlrev_b16 v169, 8, v169
	v_and_b32_e32 v28, 0x4040404, v28
	v_or_b32_sdwa v167, v186, v167 dst_sel:DWORD dst_unused:UNUSED_PAD src0_sel:BYTE_0 src1_sel:DWORD
	v_sub_nc_u16 v144, v190, v144
	v_and_b32_e32 v190, 0x3030303, v170
	v_bfe_u32 v170, v170, 24, 2
	v_or_b32_sdwa v145, v145, v168 dst_sel:WORD_1 dst_unused:UNUSED_PAD src0_sel:BYTE_0 src1_sel:DWORD
	v_ashrrev_i32_e32 v29, s19, v29
	v_or_b32_sdwa v144, v144, v169 dst_sel:WORD_1 dst_unused:UNUSED_PAD src0_sel:BYTE_0 src1_sel:DWORD
	v_lshrrev_b16 v191, 8, v190
	s_and_b32 s24, s1, -16
	v_or_b32_sdwa v145, v167, v145 dst_sel:DWORD dst_unused:UNUSED_PAD src0_sel:WORD_0 src1_sel:DWORD
	v_lshlrev_b32_e32 v29, 2, v29
	s_add_i32 s21, s21, s24
	v_sub_nc_u16 v191, v191, v192
	v_lshrrev_b32_e32 v192, 24, v143
	v_lshlrev_b16 v168, 8, v189
	v_and_b32_e32 v29, 0x4040404, v29
	v_ashrrev_i32_e32 v30, s19, v30
	v_lshlrev_b16 v169, 8, v191
	v_sub_nc_u16 v170, v170, v192
	v_lshrrev_b32_e32 v192, 16, v190
	v_sub_nc_u16 v190, v190, v143
	v_lshrrev_b32_e32 v143, 16, v143
	v_or_b32_sdwa v168, v188, v168 dst_sel:DWORD dst_unused:UNUSED_PAD src0_sel:BYTE_0 src1_sel:DWORD
	v_lshlrev_b16 v170, 8, v170
	v_lshrrev_b16 v167, 8, v29
	v_or_b32_sdwa v169, v190, v169 dst_sel:DWORD dst_unused:UNUSED_PAD src0_sel:BYTE_0 src1_sel:DWORD
	v_sub_nc_u16 v143, v192, v143
	v_and_b32_e32 v192, 0x3030303, v171
	v_bfe_u32 v171, v171, 24, 2
	v_or_b32_sdwa v144, v168, v144 dst_sel:DWORD dst_unused:UNUSED_PAD src0_sel:WORD_0 src1_sel:DWORD
	v_lshlrev_b32_e32 v30, 2, v30
	v_or_b32_sdwa v143, v143, v170 dst_sel:WORD_1 dst_unused:UNUSED_PAD src0_sel:BYTE_0 src1_sel:DWORD
	v_lshrrev_b16 v193, 8, v192
	v_ashrrev_i32_e32 v31, s19, v31
	v_ashrrev_i32_e32 v32, s19, v32
	v_and_b32_e32 v30, 0x4040404, v30
	v_ashrrev_i32_e32 v33, s19, v33
	v_sub_nc_u16 v193, v193, v194
	v_lshrrev_b32_e32 v194, 24, v142
	v_lshlrev_b32_e32 v31, 2, v31
	v_lshlrev_b32_e32 v32, 2, v32
	v_ashrrev_i32_e32 v152, s22, v152
	v_lshlrev_b16 v170, 8, v193
	v_sub_nc_u16 v171, v171, v194
	v_lshrrev_b32_e32 v194, 16, v192
	v_sub_nc_u16 v192, v192, v142
	v_lshrrev_b32_e32 v142, 16, v142
	v_and_b32_e32 v31, 0x4040404, v31
	v_lshlrev_b16 v171, 8, v171
	v_and_b32_e32 v32, 0x4040404, v32
	v_or_b32_sdwa v170, v192, v170 dst_sel:DWORD dst_unused:UNUSED_PAD src0_sel:BYTE_0 src1_sel:DWORD
	v_sub_nc_u16 v142, v194, v142
	v_and_b32_e32 v194, 0x3030303, v150
	v_bfe_u32 v150, v150, 24, 2
	v_lshlrev_b32_e32 v33, 2, v33
	v_ashrrev_i32_e32 v34, s19, v34
	v_or_b32_sdwa v142, v142, v171 dst_sel:WORD_1 dst_unused:UNUSED_PAD src0_sel:BYTE_0 src1_sel:DWORD
	v_lshrrev_b16 v195, 8, v194
	v_ashrrev_i32_e32 v153, s22, v153
	v_and_b32_e32 v33, 0x4040404, v33
	v_lshlrev_b32_e32 v34, 2, v34
	v_ashrrev_i32_e32 v35, s19, v35
	v_sub_nc_u16 v195, v195, v196
	v_lshrrev_b32_e32 v196, 24, v141
	v_lshrrev_b16 v175, 8, v33
	v_and_b32_e32 v34, 0x4040404, v34
	v_lshlrev_b32_e32 v35, 2, v35
	v_lshlrev_b16 v171, 8, v195
	v_sub_nc_u16 v150, v150, v196
	v_lshrrev_b32_e32 v196, 16, v194
	v_sub_nc_u16 v194, v194, v141
	v_lshrrev_b32_e32 v141, 16, v141
	v_lshrrev_b16 v177, 8, v34
	v_lshlrev_b16 v150, 8, v150
	v_and_b32_e32 v35, 0x4040404, v35
	v_or_b32_sdwa v171, v194, v171 dst_sel:DWORD dst_unused:UNUSED_PAD src0_sel:BYTE_0 src1_sel:DWORD
	v_sub_nc_u16 v141, v196, v141
	v_and_b32_e32 v196, 0x3030303, v151
	v_bfe_u32 v151, v151, 24, 2
	v_lshrrev_b16 v179, 8, v35
	v_ashrrev_i32_e32 v36, s19, v36
	v_or_b32_sdwa v141, v141, v150 dst_sel:WORD_1 dst_unused:UNUSED_PAD src0_sel:BYTE_0 src1_sel:DWORD
	v_lshrrev_b16 v197, 8, v196
	v_ashrrev_i32_e32 v25, s19, v25
	v_ashrrev_i32_e32 v26, s19, v26
	v_lshlrev_b32_e32 v36, 2, v36
	v_ashrrev_i32_e32 v154, s22, v154
	v_sub_nc_u16 v197, v197, v198
	v_lshrrev_b32_e32 v198, 24, v140
	v_lshlrev_b32_e32 v25, 2, v25
	v_and_b32_e32 v36, 0x4040404, v36
	v_lshlrev_b32_e32 v26, 2, v26
	v_lshlrev_b16 v150, 8, v197
	v_sub_nc_u16 v151, v151, v198
	v_lshrrev_b32_e32 v198, 16, v196
	v_sub_nc_u16 v196, v196, v140
	v_lshrrev_b32_e32 v140, 16, v140
	v_lshrrev_b16 v181, 8, v36
	v_lshlrev_b16 v151, 8, v151
	v_and_b32_e32 v25, 0x4040404, v25
	v_or_b32_sdwa v150, v196, v150 dst_sel:DWORD dst_unused:UNUSED_PAD src0_sel:BYTE_0 src1_sel:DWORD
	v_sub_nc_u16 v140, v198, v140
	v_and_b32_e32 v198, 0x3030303, v172
	v_bfe_u32 v172, v172, 24, 2
	v_lshrrev_b16 v183, 8, v25
	v_and_b32_e32 v26, 0x4040404, v26
	v_or_b32_sdwa v140, v140, v151 dst_sel:WORD_1 dst_unused:UNUSED_PAD src0_sel:BYTE_0 src1_sel:DWORD
	v_lshrrev_b16 v199, 8, v198
	v_ashrrev_i32_e32 v155, s22, v155
	v_ashrrev_i32_e32 v37, s19, v37
	v_lshrrev_b16 v185, 8, v26
	v_or_b32_sdwa v150, v150, v140 dst_sel:DWORD dst_unused:UNUSED_PAD src0_sel:WORD_0 src1_sel:DWORD
	v_sub_nc_u16 v199, v199, v200
	v_lshrrev_b32_e32 v200, 24, v139
	v_lshlrev_b32_e32 v37, 2, v37
	v_ashrrev_i32_e32 v38, s19, v38
	s_add_i32 s1, s1, 2
	v_lshlrev_b16 v151, 8, v199
	v_sub_nc_u16 v172, v172, v200
	v_lshrrev_b32_e32 v200, 16, v198
	v_sub_nc_u16 v198, v198, v139
	v_lshrrev_b32_e32 v139, 16, v139
	v_and_b32_e32 v37, 0x4040404, v37
	v_lshlrev_b16 v172, 8, v172
	v_lshlrev_b32_e32 v38, 2, v38
	v_or_b32_sdwa v151, v198, v151 dst_sel:DWORD dst_unused:UNUSED_PAD src0_sel:BYTE_0 src1_sel:DWORD
	v_sub_nc_u16 v139, v200, v139
	v_and_b32_e32 v200, 0x3030303, v173
	v_bfe_u32 v173, v173, 24, 2
	v_lshrrev_b16 v191, 8, v37
	v_and_b32_e32 v38, 0x4040404, v38
	v_or_b32_sdwa v139, v139, v172 dst_sel:WORD_1 dst_unused:UNUSED_PAD src0_sel:BYTE_0 src1_sel:DWORD
	v_lshrrev_b16 v201, 8, v200
	v_lshrrev_b16 v193, 8, v38
	v_or_b32_sdwa v151, v151, v139 dst_sel:DWORD dst_unused:UNUSED_PAD src0_sel:WORD_0 src1_sel:DWORD
	v_sub_nc_u16 v201, v201, v202
	v_lshrrev_b32_e32 v202, 24, v137
	v_lshlrev_b16 v172, 8, v201
	v_sub_nc_u16 v173, v173, v202
	v_lshrrev_b32_e32 v202, 16, v200
	v_sub_nc_u16 v200, v200, v137
	v_lshrrev_b32_e32 v137, 16, v137
	v_lshlrev_b16 v173, 8, v173
	v_or_b32_sdwa v172, v200, v172 dst_sel:DWORD dst_unused:UNUSED_PAD src0_sel:BYTE_0 src1_sel:DWORD
	v_sub_nc_u16 v137, v202, v137
	v_and_b32_e32 v202, 0x3030303, v148
	v_bfe_u32 v148, v148, 24, 2
	v_or_b32_sdwa v137, v137, v173 dst_sel:WORD_1 dst_unused:UNUSED_PAD src0_sel:BYTE_0 src1_sel:DWORD
	v_lshrrev_b16 v203, 8, v202
	v_sub_nc_u16 v203, v203, v204
	v_lshrrev_b32_e32 v204, 24, v138
	v_lshlrev_b16 v173, 8, v203
	v_sub_nc_u16 v148, v148, v204
	v_lshrrev_b32_e32 v204, 16, v202
	v_sub_nc_u16 v202, v202, v138
	v_lshrrev_b32_e32 v138, 16, v138
	v_lshlrev_b16 v148, 8, v148
	v_or_b32_sdwa v173, v202, v173 dst_sel:DWORD dst_unused:UNUSED_PAD src0_sel:BYTE_0 src1_sel:DWORD
	v_sub_nc_u16 v138, v204, v138
	v_and_b32_e32 v204, 0x3030303, v149
	v_bfe_u32 v149, v149, 24, 2
	v_or_b32_sdwa v138, v138, v148 dst_sel:WORD_1 dst_unused:UNUSED_PAD src0_sel:BYTE_0 src1_sel:DWORD
	v_lshrrev_b16 v205, 8, v204
	v_or_b32_sdwa v165, v173, v138 dst_sel:DWORD dst_unused:UNUSED_PAD src0_sel:WORD_0 src1_sel:DWORD
	v_sub_nc_u16 v205, v205, v206
	v_lshrrev_b32_e32 v206, 24, v136
	v_lshrrev_b16 v173, 8, v32
	v_lshlrev_b16 v148, 8, v205
	v_sub_nc_u16 v149, v149, v206
	v_lshrrev_b32_e32 v206, 16, v204
	v_sub_nc_u16 v204, v204, v136
	v_lshrrev_b32_e32 v136, 16, v136
	v_lshlrev_b16 v149, 8, v149
	v_or_b32_sdwa v148, v204, v148 dst_sel:DWORD dst_unused:UNUSED_PAD src0_sel:BYTE_0 src1_sel:DWORD
	v_sub_nc_u16 v136, v206, v136
	v_or_b32_sdwa v136, v136, v149 dst_sel:WORD_1 dst_unused:UNUSED_PAD src0_sel:BYTE_0 src1_sel:DWORD
	v_or_b32_sdwa v149, v174, v158 dst_sel:DWORD dst_unused:UNUSED_PAD src0_sel:WORD_0 src1_sel:DWORD
	v_or_b32_sdwa v158, v162, v159 dst_sel:DWORD dst_unused:UNUSED_PAD src0_sel:WORD_0 src1_sel:DWORD
	;; [unrolled: 1-line block ×9, first 2 shown]
	ds_read_b128 v[136:139], v131
	ds_read_b128 v[140:143], v131 offset:16
	v_lshrrev_b16 v169, 8, v30
	v_lshrrev_b16 v171, 8, v31
	v_add_nc_u32_e32 v131, 32, v131
	s_waitcnt lgkmcnt(1)
	v_dot4c_i32_i8 v166, v149, v136
	v_mov_b32_e32 v149, 0
	v_dot4c_i32_i8 v166, v158, v137
	v_dot4c_i32_i8 v149, v147, v136
	v_mov_b32_e32 v147, 0
	v_dot4c_i32_i8 v166, v159, v138
	v_dot4c_i32_i8 v149, v146, v137
	;; [unrolled: 1-line block ×3, first 2 shown]
	v_mov_b32_e32 v161, 0
	v_dot4c_i32_i8 v166, v160, v139
	v_dot4c_i32_i8 v149, v145, v138
	;; [unrolled: 1-line block ×4, first 2 shown]
	v_ashrrev_i32_e32 v136, s22, v21
	v_lshrrev_b16 v162, 8, v27
	v_add_nc_u32_e32 v21, s21, v89
	v_dot4c_i32_i8 v147, v163, v138
	v_dot4c_i32_i8 v161, v164, v137
	v_and_b32_e32 v159, 0x3030303, v136
	v_bfe_u32 v136, v136, 24, 2
	v_ashrrev_i32_e32 v137, s22, v22
	v_lshrrev_b16 v164, 8, v28
	v_dot4c_i32_i8 v161, v165, v138
	v_lshrrev_b16 v160, 8, v159
	v_ashrrev_i32_e32 v138, s22, v23
	ds_read_u16 v146, v21 offset:26354
	v_add3_u32 v21, s23, v117, v118
	v_dot4c_i32_i8 v161, v148, v139
	v_sub_nc_u16 v160, v160, v162
	v_lshrrev_b32_e32 v162, 24, v27
	v_add_nc_u32_e32 v23, 0x1098, v133
	ds_read_b32 v148, v21
	v_add_nc_u32_e32 v21, 0x1090, v133
	v_dot4c_i32_i8 v149, v144, v139
	v_sub_nc_u16 v136, v136, v162
	v_lshrrev_b32_e32 v162, 16, v159
	v_sub_nc_u16 v159, v159, v27
	v_lshrrev_b32_e32 v27, 16, v27
	v_dot4c_i32_i8 v147, v150, v139
	v_ashrrev_i32_e32 v139, s22, v24
	ds_read2_b32 v[21:22], v21 offset1:1
	ds_read2_b32 v[23:24], v23 offset1:1
	v_ashrrev_i32_e32 v144, s19, v156
	v_sub_nc_u16 v27, v162, v27
	v_and_b32_e32 v162, 0x3030303, v137
	v_bfe_u32 v137, v137, 24, 2
	v_ashrrev_i32_e32 v145, s19, v157
	v_lshlrev_b32_e32 v144, 2, v144
	v_lshlrev_b16 v160, 8, v160
	v_lshrrev_b16 v163, 8, v162
	v_lshlrev_b16 v136, 8, v136
	v_lshlrev_b32_e32 v145, 2, v145
	v_and_b32_e32 v144, 0x4040404, v144
	v_or_b32_sdwa v159, v159, v160 dst_sel:DWORD dst_unused:UNUSED_PAD src0_sel:BYTE_0 src1_sel:DWORD
	v_sub_nc_u16 v163, v163, v164
	v_lshrrev_b32_e32 v164, 24, v28
	v_and_b32_e32 v145, 0x4040404, v145
	v_lshrrev_b16 v187, 8, v144
	v_or_b32_sdwa v27, v27, v136 dst_sel:WORD_1 dst_unused:UNUSED_PAD src0_sel:BYTE_0 src1_sel:DWORD
	v_lshlrev_b16 v136, 8, v163
	v_sub_nc_u16 v137, v137, v164
	v_lshrrev_b32_e32 v164, 16, v162
	v_sub_nc_u16 v162, v162, v28
	v_lshrrev_b32_e32 v28, 16, v28
	s_waitcnt lgkmcnt(1)
	v_ashrrev_i32_e32 v150, s22, v21
	v_ashrrev_i32_e32 v151, s22, v22
	v_add_nc_u32_e32 v22, s21, v87
	s_waitcnt lgkmcnt(0)
	v_ashrrev_i32_e32 v156, s22, v23
	v_sub_nc_u16 v28, v164, v28
	v_and_b32_e32 v164, 0x3030303, v138
	v_bfe_u32 v138, v138, 24, 2
	v_add_nc_u32_e32 v21, 0x3190, v133
	v_add_nc_u32_e32 v23, 0x3198, v133
	ds_read_u16 v133, v22 offset:28402
	v_lshrrev_b16 v165, 8, v164
	v_add3_u32 v22, s23, v125, v126
	v_ashrrev_i32_e32 v157, s22, v24
	ds_read_b32 v158, v22
	ds_read2_b32 v[21:22], v21 offset1:1
	ds_read2_b32 v[23:24], v23 offset1:1
	v_sub_nc_u16 v165, v165, v167
	v_lshrrev_b32_e32 v167, 24, v29
	v_lshrrev_b16 v189, 8, v145
	v_or_b32_sdwa v27, v159, v27 dst_sel:DWORD dst_unused:UNUSED_PAD src0_sel:WORD_0 src1_sel:DWORD
	v_lshlrev_b16 v137, 8, v137
	v_or_b32_sdwa v136, v162, v136 dst_sel:DWORD dst_unused:UNUSED_PAD src0_sel:BYTE_0 src1_sel:DWORD
	v_sub_nc_u16 v138, v138, v167
	v_lshrrev_b32_e32 v167, 16, v164
	v_sub_nc_u16 v164, v164, v29
	v_lshrrev_b32_e32 v29, 16, v29
	v_or_b32_sdwa v28, v28, v137 dst_sel:WORD_1 dst_unused:UNUSED_PAD src0_sel:BYTE_0 src1_sel:DWORD
	v_lshlrev_b16 v137, 8, v165
	v_lshlrev_b16 v138, 8, v138
	s_add_i32 s19, s19, 1
	v_sub_nc_u16 v29, v167, v29
	v_and_b32_e32 v167, 0x3030303, v139
	v_bfe_u32 v139, v139, 24, 2
	v_or_b32_sdwa v28, v136, v28 dst_sel:DWORD dst_unused:UNUSED_PAD src0_sel:WORD_0 src1_sel:DWORD
	s_waitcnt lgkmcnt(1)
	v_ashrrev_i32_e32 v21, s22, v21
	v_ashrrev_i32_e32 v22, s22, v22
	v_lshrrev_b16 v168, 8, v167
	s_waitcnt lgkmcnt(0)
	v_ashrrev_i32_e32 v23, s22, v23
	v_ashrrev_i32_e32 v24, s22, v24
	v_mov_b32_e32 v136, 0
	v_or_b32_sdwa v137, v164, v137 dst_sel:DWORD dst_unused:UNUSED_PAD src0_sel:BYTE_0 src1_sel:DWORD
	v_sub_nc_u16 v168, v168, v169
	v_lshrrev_b32_e32 v169, 24, v30
	v_or_b32_sdwa v29, v29, v138 dst_sel:WORD_1 dst_unused:UNUSED_PAD src0_sel:BYTE_0 src1_sel:DWORD
	s_cmp_lt_u32 s20, 22
	v_lshlrev_b16 v138, 8, v168
	v_sub_nc_u16 v139, v139, v169
	v_lshrrev_b32_e32 v169, 16, v167
	v_sub_nc_u16 v167, v167, v30
	v_lshrrev_b32_e32 v30, 16, v30
	v_or_b32_sdwa v29, v137, v29 dst_sel:DWORD dst_unused:UNUSED_PAD src0_sel:WORD_0 src1_sel:DWORD
	v_lshlrev_b16 v139, 8, v139
	v_or_b32_sdwa v138, v167, v138 dst_sel:DWORD dst_unused:UNUSED_PAD src0_sel:BYTE_0 src1_sel:DWORD
	v_sub_nc_u16 v30, v169, v30
	v_and_b32_e32 v169, 0x3030303, v150
	v_bfe_u32 v150, v150, 24, 2
	v_or_b32_sdwa v30, v30, v139 dst_sel:WORD_1 dst_unused:UNUSED_PAD src0_sel:BYTE_0 src1_sel:DWORD
	v_lshrrev_b16 v170, 8, v169
	v_or_b32_sdwa v30, v138, v30 dst_sel:DWORD dst_unused:UNUSED_PAD src0_sel:WORD_0 src1_sel:DWORD
	v_sub_nc_u16 v170, v170, v171
	v_lshrrev_b32_e32 v171, 24, v31
	v_lshlrev_b16 v139, 8, v170
	v_sub_nc_u16 v150, v150, v171
	v_lshrrev_b32_e32 v171, 16, v169
	v_sub_nc_u16 v169, v169, v31
	v_lshrrev_b32_e32 v31, 16, v31
	v_lshlrev_b16 v150, 8, v150
	v_or_b32_sdwa v139, v169, v139 dst_sel:DWORD dst_unused:UNUSED_PAD src0_sel:BYTE_0 src1_sel:DWORD
	v_sub_nc_u16 v31, v171, v31
	v_and_b32_e32 v171, 0x3030303, v151
	v_bfe_u32 v151, v151, 24, 2
	v_or_b32_sdwa v31, v31, v150 dst_sel:WORD_1 dst_unused:UNUSED_PAD src0_sel:BYTE_0 src1_sel:DWORD
	v_lshrrev_b16 v172, 8, v171
	v_or_b32_sdwa v31, v139, v31 dst_sel:DWORD dst_unused:UNUSED_PAD src0_sel:WORD_0 src1_sel:DWORD
	v_sub_nc_u16 v172, v172, v173
	v_lshrrev_b32_e32 v173, 24, v32
	v_lshlrev_b16 v150, 8, v172
	v_sub_nc_u16 v151, v151, v173
	v_lshrrev_b32_e32 v173, 16, v171
	v_sub_nc_u16 v171, v171, v32
	v_lshrrev_b32_e32 v32, 16, v32
	;; [unrolled: 15-line block ×3, first 2 shown]
	v_lshlrev_b16 v152, 8, v152
	v_or_b32_sdwa v151, v173, v151 dst_sel:DWORD dst_unused:UNUSED_PAD src0_sel:BYTE_0 src1_sel:DWORD
	v_sub_nc_u16 v33, v175, v33
	v_and_b32_e32 v175, 0x3030303, v153
	v_bfe_u32 v153, v153, 24, 2
	v_or_b32_sdwa v33, v33, v152 dst_sel:WORD_1 dst_unused:UNUSED_PAD src0_sel:BYTE_0 src1_sel:DWORD
	v_lshrrev_b16 v176, 8, v175
	v_or_b32_sdwa v33, v151, v33 dst_sel:DWORD dst_unused:UNUSED_PAD src0_sel:WORD_0 src1_sel:DWORD
	v_sub_nc_u16 v176, v176, v177
	v_lshrrev_b32_e32 v177, 24, v34
	v_dot4c_i32_i8 v136, v33, v140
	v_lshlrev_b16 v152, 8, v176
	v_sub_nc_u16 v153, v153, v177
	v_lshrrev_b32_e32 v177, 16, v175
	v_sub_nc_u16 v175, v175, v34
	v_lshrrev_b32_e32 v34, 16, v34
	v_lshlrev_b16 v153, 8, v153
	v_or_b32_sdwa v152, v175, v152 dst_sel:DWORD dst_unused:UNUSED_PAD src0_sel:BYTE_0 src1_sel:DWORD
	v_sub_nc_u16 v34, v177, v34
	v_and_b32_e32 v177, 0x3030303, v21
	v_bfe_u32 v21, v21, 24, 2
	v_or_b32_sdwa v34, v34, v153 dst_sel:WORD_1 dst_unused:UNUSED_PAD src0_sel:BYTE_0 src1_sel:DWORD
	v_lshrrev_b16 v178, 8, v177
	v_or_b32_sdwa v34, v152, v34 dst_sel:DWORD dst_unused:UNUSED_PAD src0_sel:WORD_0 src1_sel:DWORD
	v_sub_nc_u16 v178, v178, v179
	v_lshrrev_b32_e32 v179, 24, v35
	v_dot4c_i32_i8 v136, v34, v141
	v_lshlrev_b16 v153, 8, v178
	v_sub_nc_u16 v21, v21, v179
	v_lshrrev_b32_e32 v179, 16, v177
	v_sub_nc_u16 v177, v177, v35
	v_lshrrev_b32_e32 v35, 16, v35
	v_lshlrev_b16 v21, 8, v21
	v_or_b32_sdwa v153, v177, v153 dst_sel:DWORD dst_unused:UNUSED_PAD src0_sel:BYTE_0 src1_sel:DWORD
	v_sub_nc_u16 v35, v179, v35
	v_and_b32_e32 v179, 0x3030303, v22
	v_bfe_u32 v22, v22, 24, 2
	v_or_b32_sdwa v21, v35, v21 dst_sel:WORD_1 dst_unused:UNUSED_PAD src0_sel:BYTE_0 src1_sel:DWORD
	v_lshrrev_b16 v180, 8, v179
	v_or_b32_sdwa v21, v153, v21 dst_sel:DWORD dst_unused:UNUSED_PAD src0_sel:WORD_0 src1_sel:DWORD
	v_sub_nc_u16 v180, v180, v181
	v_lshrrev_b32_e32 v181, 24, v36
	v_lshlrev_b16 v35, 8, v180
	v_sub_nc_u16 v22, v22, v181
	v_lshrrev_b32_e32 v181, 16, v179
	v_sub_nc_u16 v179, v179, v36
	v_lshrrev_b32_e32 v36, 16, v36
	v_lshlrev_b16 v22, 8, v22
	v_or_b32_sdwa v35, v179, v35 dst_sel:DWORD dst_unused:UNUSED_PAD src0_sel:BYTE_0 src1_sel:DWORD
	v_sub_nc_u16 v36, v181, v36
	v_and_b32_e32 v181, 0x3030303, v156
	v_bfe_u32 v156, v156, 24, 2
	v_or_b32_sdwa v22, v36, v22 dst_sel:WORD_1 dst_unused:UNUSED_PAD src0_sel:BYTE_0 src1_sel:DWORD
	v_lshrrev_b16 v182, 8, v181
	v_or_b32_sdwa v22, v35, v22 dst_sel:DWORD dst_unused:UNUSED_PAD src0_sel:WORD_0 src1_sel:DWORD
	v_sub_nc_u16 v182, v182, v183
	v_lshrrev_b32_e32 v183, 24, v25
	;; [unrolled: 15-line block ×5, first 2 shown]
	v_dot4c_i32_i8 v136, v35, v142
	v_lshlrev_b16 v154, 8, v188
	v_sub_nc_u16 v155, v155, v189
	v_lshrrev_b32_e32 v189, 16, v187
	v_sub_nc_u16 v187, v187, v145
	v_lshrrev_b32_e32 v145, 16, v145
	v_lshlrev_b16 v155, 8, v155
	v_or_b32_sdwa v154, v187, v154 dst_sel:DWORD dst_unused:UNUSED_PAD src0_sel:BYTE_0 src1_sel:DWORD
	v_sub_nc_u16 v145, v189, v145
	v_and_b32_e32 v189, 0x3030303, v23
	v_bfe_u32 v23, v23, 24, 2
	v_or_b32_sdwa v145, v145, v155 dst_sel:WORD_1 dst_unused:UNUSED_PAD src0_sel:BYTE_0 src1_sel:DWORD
	v_lshrrev_b16 v190, 8, v189
	v_or_b32_sdwa v36, v154, v145 dst_sel:DWORD dst_unused:UNUSED_PAD src0_sel:WORD_0 src1_sel:DWORD
	v_sub_nc_u16 v190, v190, v191
	v_lshrrev_b32_e32 v191, 24, v37
	v_dot4c_i32_i8 v136, v36, v143
	v_lshlrev_b16 v155, 8, v190
	v_sub_nc_u16 v23, v23, v191
	v_lshrrev_b32_e32 v191, 16, v189
	v_sub_nc_u16 v189, v189, v37
	v_lshrrev_b32_e32 v37, 16, v37
	v_lshlrev_b16 v23, 8, v23
	v_or_b32_sdwa v155, v189, v155 dst_sel:DWORD dst_unused:UNUSED_PAD src0_sel:BYTE_0 src1_sel:DWORD
	v_sub_nc_u16 v37, v191, v37
	v_and_b32_e32 v191, 0x3030303, v24
	v_bfe_u32 v24, v24, 24, 2
	v_or_b32_sdwa v23, v37, v23 dst_sel:WORD_1 dst_unused:UNUSED_PAD src0_sel:BYTE_0 src1_sel:DWORD
	v_lshrrev_b16 v192, 8, v191
	v_or_b32_sdwa v23, v155, v23 dst_sel:DWORD dst_unused:UNUSED_PAD src0_sel:WORD_0 src1_sel:DWORD
	v_sub_nc_u16 v192, v192, v193
	v_lshrrev_b32_e32 v193, 24, v38
	v_lshlrev_b16 v37, 8, v192
	v_sub_nc_u16 v24, v24, v193
	v_lshrrev_b32_e32 v193, 16, v191
	v_sub_nc_u16 v191, v191, v38
	v_lshrrev_b32_e32 v38, 16, v38
	v_lshlrev_b16 v24, 8, v24
	v_or_b32_sdwa v37, v191, v37 dst_sel:DWORD dst_unused:UNUSED_PAD src0_sel:BYTE_0 src1_sel:DWORD
	v_sub_nc_u16 v38, v193, v38
	v_or_b32_sdwa v24, v38, v24 dst_sel:WORD_1 dst_unused:UNUSED_PAD src0_sel:BYTE_0 src1_sel:DWORD
	v_mov_b32_e32 v38, 0
	v_or_b32_sdwa v24, v37, v24 dst_sel:DWORD dst_unused:UNUSED_PAD src0_sel:WORD_0 src1_sel:DWORD
	v_mov_b32_e32 v37, 0
	v_dot4c_i32_i8 v38, v27, v140
	v_add_nc_u32_e32 v27, s21, v90
	v_dot4c_i32_i8 v37, v31, v140
	v_mov_b32_e32 v31, 0
	v_dot4c_i32_i8 v38, v28, v141
	v_dot4c_i32_i8 v37, v32, v141
	;; [unrolled: 1-line block ×3, first 2 shown]
	v_add_nc_u32_e32 v21, s21, v88
	ds_read_u16 v27, v27 offset:25330
	ds_read_u16 v21, v21 offset:27378
	v_dot4c_i32_i8 v31, v22, v141
	v_bfe_i32 v22, v146, 0, 8
	v_dot4c_i32_i8 v38, v29, v142
	v_lshrrev_b16 v29, 8, v133
	v_bfe_i32 v133, v133, 0, 8
	v_dot4c_i32_i8 v31, v23, v142
	v_mul_lo_u32 v22, v149, v22
	v_dot4c_i32_i8 v37, v25, v142
	v_dot4c_i32_i8 v38, v30, v143
	ds_read_b32 v33, v132
	v_dot4c_i32_i8 v31, v24, v143
	v_mul_lo_u32 v24, v161, v133
	v_dot4c_i32_i8 v37, v26, v143
	v_bfe_i32 v29, v29, 0, 8
	v_add_nc_u32_e32 v132, 4, v132
	s_mov_b32 s21, s20
	s_waitcnt lgkmcnt(2)
	v_lshrrev_b16 v28, 8, v27
	v_bfe_i32 v27, v27, 0, 8
	s_waitcnt lgkmcnt(1)
	v_lshrrev_b16 v32, 8, v21
	v_bfe_i32 v34, v21, 0, 8
	v_lshrrev_b16 v21, 8, v146
	v_bfe_i32 v28, v28, 0, 8
	v_bfe_i32 v32, v32, 0, 8
	v_mul_lo_u32 v23, v147, v34
	v_bfe_i32 v137, v21, 0, 8
	v_mul_lo_u32 v21, v166, v27
	v_mad_u64_u32 v[25:26], null, v38, v28, v[21:22]
	v_mad_u64_u32 v[26:27], null, v37, v137, v[22:23]
	;; [unrolled: 1-line block ×3, first 2 shown]
	s_waitcnt lgkmcnt(0)
	v_mul_f32_e32 v21, v33, v135
	v_mul_f32_e32 v22, v33, v148
	v_mad_u64_u32 v[28:29], null, v31, v29, v[24:25]
	v_mul_f32_e32 v23, v33, v134
	v_mul_f32_e32 v24, v33, v158
	v_cvt_f32_i32_e32 v25, v25
	v_cvt_f32_i32_e32 v26, v26
	;; [unrolled: 1-line block ×4, first 2 shown]
	v_fmac_f32_e32 v40, v21, v25
	v_fmac_f32_e32 v86, v22, v26
	;; [unrolled: 1-line block ×4, first 2 shown]
	s_cbranch_scc1 .LBB190_27
; %bb.28:                               ;   in Loop: Header=BB190_5 Depth=1
	s_or_b32 s1, s4, 0x180
	s_cmp_ge_i32 s1, s9
	s_barrier
	buffer_gl0_inv
	s_cbranch_scc1 .LBB190_4
; %bb.29:                               ;   in Loop: Header=BB190_5 Depth=1
	v_add_nc_u32_e32 v21, s5, v98
	v_cmp_gt_i32_e64 s1, s8, v21
	s_and_b32 s4, s0, s1
	s_and_saveexec_b32 s1, s4
	s_cbranch_execz .LBB190_31
; %bb.30:                               ;   in Loop: Header=BB190_5 Depth=1
	v_add_nc_u32_e32 v21, v99, v21
	v_mad_i64_i32 v[21:22], null, v21, 36, v[19:20]
	global_load_dword v21, v[21:22], off offset:4
	s_waitcnt vmcnt(0)
	ds_write_b32 v82, v21
.LBB190_31:                             ;   in Loop: Header=BB190_5 Depth=1
	s_or_b32 exec_lo, exec_lo, s1
	s_and_saveexec_b32 s4, vcc_lo
	s_cbranch_execz .LBB190_34
; %bb.32:                               ;   in Loop: Header=BB190_5 Depth=1
	v_or_b32_e32 v21, 12, v130
	v_cmp_gt_i32_e64 s1, s8, v21
	s_and_b32 s1, s0, s1
	s_and_b32 exec_lo, exec_lo, s1
	s_cbranch_execz .LBB190_34
; %bb.33:                               ;   in Loop: Header=BB190_5 Depth=1
	v_ashrrev_i32_e32 v21, 31, v130
	v_add_co_u32 v22, s1, v99, v130
	v_add_co_ci_u32_e64 v23, null, v103, v21, s1
	v_mad_u64_u32 v[21:22], null, v22, 36, s[2:3]
	v_mad_i32_i24 v22, v23, 36, v22
	global_load_dword v21, v[21:22], off offset:432
	s_waitcnt vmcnt(0)
	v_cvt_f32_f16_e32 v21, v21
	ds_write_b32 v84, v21
.LBB190_34:                             ;   in Loop: Header=BB190_5 Depth=1
	s_or_b32 exec_lo, exec_lo, s4
	v_mov_b32_e32 v130, v1
	v_mov_b32_e32 v131, v83
	s_mov_b32 s1, 24
	s_mov_b32 s19, 22
	;; [unrolled: 1-line block ×3, first 2 shown]
	s_waitcnt lgkmcnt(0)
	s_barrier
	buffer_gl0_inv
.LBB190_35:                             ;   Parent Loop BB190_5 Depth=1
                                        ; =>  This Inner Loop Header: Depth=2
	s_add_i32 s5, s19, 2
	s_sub_i32 s20, s19, 22
	s_lshr_b32 s21, s5, 4
	s_and_b32 s22, s5, 0x3ffffff8
	s_lshl_b32 s23, s21, 5
	v_lshl_add_u32 v132, s22, 2, v101
	s_add_i32 s22, s23, 0x4200
	s_lshl_b32 s21, s21, 2
	v_add3_u32 v25, s22, v127, v114
	v_add3_u32 v26, s22, v115, v116
	v_add3_u32 v133, s22, v119, v120
	v_add_nc_u32_e32 v38, 0x1080, v132
	ds_read2_b32 v[35:36], v132 offset1:1
	ds_read2_b32 v[33:34], v132 offset0:2 offset1:3
	ds_read2_b32 v[21:22], v132 offset0:4 offset1:5
	;; [unrolled: 1-line block ×3, first 2 shown]
	ds_read2_b32 v[134:135], v25 offset1:1
	ds_read2_b32 v[136:137], v25 offset0:2 offset1:3
	ds_read2_b32 v[138:139], v26 offset1:1
	ds_read2_b32 v[140:141], v26 offset0:2 offset1:3
	ds_read2_b32 v[147:148], v133 offset0:2 offset1:3
	;; [unrolled: 1-line block ×5, first 2 shown]
	ds_read2_b32 v[149:150], v38 offset1:1
	ds_read2_b32 v[25:26], v26 offset0:6 offset1:7
	v_add_nc_u32_e32 v37, 0x2100, v132
	s_addk_i32 s21, 0x7380
	v_add_nc_u32_e32 v153, 0x2118, v132
	s_waitcnt lgkmcnt(13)
	v_ashrrev_i32_e32 v157, s20, v35
	v_ashrrev_i32_e32 v158, s20, v36
	s_waitcnt lgkmcnt(12)
	v_ashrrev_i32_e32 v159, s20, v33
	v_ashrrev_i32_e32 v160, s20, v34
	s_waitcnt lgkmcnt(9)
	v_ashrrev_i32_e32 v161, s4, v134
	v_and_b32_e32 v173, 0x3030303, v157
	v_ashrrev_i32_e32 v162, s4, v135
	v_bfe_u32 v157, v157, 24, 2
	ds_read2_b32 v[33:34], v133 offset0:4 offset1:5
	ds_read2_b32 v[151:152], v37 offset1:1
	ds_read2_b32 v[35:36], v133 offset1:1
	v_lshlrev_b32_e32 v161, 2, v161
	v_lshrrev_b16 v174, 8, v173
	v_lshlrev_b32_e32 v162, 2, v162
	s_waitcnt lgkmcnt(11)
	v_ashrrev_i32_e32 v163, s4, v136
	v_add3_u32 v37, s22, v123, v124
	v_and_b32_e32 v161, 0x4040404, v161
	v_ashrrev_i32_e32 v164, s4, v137
	v_and_b32_e32 v162, 0x4040404, v162
	v_lshlrev_b32_e32 v163, 2, v163
	s_waitcnt lgkmcnt(10)
	v_ashrrev_i32_e32 v145, s4, v139
	v_lshrrev_b16 v175, 8, v161
	s_waitcnt lgkmcnt(9)
	v_ashrrev_i32_e32 v144, s4, v140
	v_lshrrev_b16 v177, 8, v162
	v_and_b32_e32 v163, 0x4040404, v163
	v_ashrrev_i32_e32 v143, s4, v141
	v_sub_nc_u16 v174, v174, v175
	v_lshrrev_b32_e32 v175, 24, v161
	s_waitcnt lgkmcnt(8)
	v_ashrrev_i32_e32 v140, s4, v147
	v_lshrrev_b16 v179, 8, v163
	s_waitcnt lgkmcnt(0)
	v_ashrrev_i32_e32 v142, s4, v35
	v_add_nc_u32_e32 v35, 0x3180, v132
	v_sub_nc_u16 v157, v157, v175
	v_lshrrev_b32_e32 v175, 16, v173
	v_sub_nc_u16 v173, v173, v161
	v_lshrrev_b32_e32 v161, 16, v161
	v_ashrrev_i32_e32 v141, s4, v36
	v_ashrrev_i32_e32 v139, s4, v148
	ds_read2_b32 v[147:148], v35 offset1:1
	ds_read2_b32 v[35:36], v37 offset1:1
	v_lshlrev_b32_e32 v164, 2, v164
	v_sub_nc_u16 v161, v175, v161
	v_and_b32_e32 v175, 0x3030303, v158
	v_bfe_u32 v158, v158, 24, 2
	v_ashrrev_i32_e32 v146, s4, v138
	v_and_b32_e32 v164, 0x4040404, v164
	v_ashrrev_i32_e32 v165, s20, v149
	v_lshrrev_b16 v176, 8, v175
	v_add_nc_u32_e32 v149, 0x1088, v132
	v_lshlrev_b32_e32 v146, 2, v146
	v_lshrrev_b16 v181, 8, v164
	v_ashrrev_i32_e32 v166, s20, v150
	v_sub_nc_u16 v176, v176, v177
	v_lshrrev_b32_e32 v177, 24, v162
	v_and_b32_e32 v146, 0x4040404, v146
	v_lshlrev_b32_e32 v145, 2, v145
	v_lshlrev_b32_e32 v144, 2, v144
	;; [unrolled: 1-line block ×3, first 2 shown]
	v_sub_nc_u16 v158, v158, v177
	v_lshrrev_b32_e32 v177, 16, v175
	v_sub_nc_u16 v175, v175, v162
	v_lshrrev_b32_e32 v162, 16, v162
	s_waitcnt lgkmcnt(0)
	v_ashrrev_i32_e32 v138, s4, v35
	v_ashrrev_i32_e32 v136, s4, v36
	ds_read2_b32 v[134:135], v37 offset0:2 offset1:3
	ds_read2_b32 v[35:36], v37 offset0:4 offset1:5
	;; [unrolled: 1-line block ×3, first 2 shown]
	v_lshrrev_b16 v183, 8, v146
	v_sub_nc_u16 v162, v177, v162
	v_and_b32_e32 v177, 0x3030303, v159
	v_bfe_u32 v159, v159, 24, 2
	ds_read2_b32 v[149:150], v149 offset1:1
	v_and_b32_e32 v145, 0x4040404, v145
	v_and_b32_e32 v144, 0x4040404, v144
	v_lshrrev_b16 v178, 8, v177
	v_and_b32_e32 v143, 0x4040404, v143
	v_ashrrev_i32_e32 v169, s20, v151
	v_lshrrev_b16 v185, 8, v145
	v_lshrrev_b16 v187, 8, v144
	v_sub_nc_u16 v178, v178, v179
	v_lshrrev_b32_e32 v179, 24, v163
	v_lshrrev_b16 v189, 8, v143
	v_lshlrev_b32_e32 v142, 2, v142
	v_add_nc_u32_e32 v151, 0x2110, v132
	s_waitcnt lgkmcnt(3)
	v_ashrrev_i32_e32 v137, s4, v134
	v_sub_nc_u16 v159, v159, v179
	v_lshrrev_b32_e32 v179, 16, v177
	v_sub_nc_u16 v177, v177, v163
	v_lshrrev_b32_e32 v163, 16, v163
	v_add3_u32 v134, s21, v128, v129
	v_and_b32_e32 v142, 0x4040404, v142
	s_waitcnt lgkmcnt(0)
	v_ashrrev_i32_e32 v167, s20, v149
	v_ashrrev_i32_e32 v168, s20, v150
	v_sub_nc_u16 v163, v179, v163
	v_and_b32_e32 v179, 0x3030303, v160
	v_bfe_u32 v160, v160, 24, 2
	ds_read_b32 v134, v134
	v_lshrrev_b16 v191, 8, v142
	v_add_nc_u32_e32 v149, 0x2108, v132
	v_lshrrev_b16 v180, 8, v179
	v_ashrrev_i32_e32 v170, s20, v152
	v_lshlrev_b32_e32 v141, 2, v141
	ds_read2_b32 v[149:150], v149 offset1:1
	ds_read2_b32 v[151:152], v151 offset1:1
	;; [unrolled: 1-line block ×3, first 2 shown]
	ds_read2_b32 v[155:156], v133 offset0:6 offset1:7
	v_sub_nc_u16 v180, v180, v181
	v_lshrrev_b32_e32 v181, 24, v164
	v_and_b32_e32 v141, 0x4040404, v141
	v_lshlrev_b32_e32 v140, 2, v140
	v_lshlrev_b32_e32 v139, 2, v139
	v_ashrrev_i32_e32 v171, s20, v147
	v_sub_nc_u16 v160, v160, v181
	v_lshrrev_b32_e32 v181, 16, v179
	v_sub_nc_u16 v179, v179, v164
	v_lshrrev_b32_e32 v164, 16, v164
	v_lshrrev_b16 v193, 8, v141
	v_and_b32_e32 v140, 0x4040404, v140
	v_and_b32_e32 v139, 0x4040404, v139
	v_lshlrev_b32_e32 v138, 2, v138
	v_sub_nc_u16 v164, v181, v164
	v_and_b32_e32 v181, 0x3030303, v165
	v_bfe_u32 v165, v165, 24, 2
	s_waitcnt lgkmcnt(3)
	v_ashrrev_i32_e32 v149, s20, v149
	v_lshrrev_b16 v195, 8, v140
	v_ashrrev_i32_e32 v150, s20, v150
	v_lshrrev_b16 v182, 8, v181
	v_lshrrev_b16 v197, 8, v139
	v_and_b32_e32 v138, 0x4040404, v138
	v_add3_u32 v133, s21, v121, v122
	v_add_nc_u32_e32 v147, 0x3188, v132
	v_sub_nc_u16 v182, v182, v183
	v_lshrrev_b32_e32 v183, 24, v146
	v_lshrrev_b16 v199, 8, v138
	ds_read_b32 v133, v133
	v_ashrrev_i32_e32 v172, s20, v148
	ds_read2_b32 v[147:148], v147 offset1:1
	v_sub_nc_u16 v165, v165, v183
	v_lshrrev_b32_e32 v183, 16, v181
	v_sub_nc_u16 v181, v181, v146
	v_lshrrev_b32_e32 v146, 16, v146
	v_lshlrev_b32_e32 v136, 2, v136
	v_lshlrev_b32_e32 v137, 2, v137
	v_ashrrev_i32_e32 v135, s4, v135
	v_lshlrev_b16 v157, 8, v157
	v_sub_nc_u16 v146, v183, v146
	v_and_b32_e32 v183, 0x3030303, v166
	v_bfe_u32 v166, v166, 24, 2
	v_and_b32_e32 v136, 0x4040404, v136
	v_and_b32_e32 v137, 0x4040404, v137
	v_lshlrev_b32_e32 v135, 2, v135
	v_lshrrev_b16 v184, 8, v183
	v_lshlrev_b16 v158, 8, v158
	v_lshrrev_b16 v201, 8, v136
	v_lshrrev_b16 v203, 8, v137
	v_and_b32_e32 v135, 0x4040404, v135
	v_sub_nc_u16 v184, v184, v185
	v_lshrrev_b32_e32 v185, 24, v145
	s_waitcnt lgkmcnt(0)
	v_ashrrev_i32_e32 v147, s20, v147
	v_ashrrev_i32_e32 v148, s20, v148
	v_lshrrev_b16 v205, 8, v135
	v_lshlrev_b16 v159, 8, v159
	v_sub_nc_u16 v166, v166, v185
	v_lshrrev_b32_e32 v185, 16, v183
	v_sub_nc_u16 v183, v183, v145
	v_lshrrev_b32_e32 v145, 16, v145
	v_lshlrev_b16 v160, 8, v160
	v_lshlrev_b16 v174, 8, v174
	v_or_b32_sdwa v157, v161, v157 dst_sel:WORD_1 dst_unused:UNUSED_PAD src0_sel:BYTE_0 src1_sel:DWORD
	v_lshlrev_b16 v161, 8, v176
	v_sub_nc_u16 v145, v185, v145
	v_and_b32_e32 v185, 0x3030303, v167
	v_bfe_u32 v167, v167, 24, 2
	v_or_b32_sdwa v158, v162, v158 dst_sel:WORD_1 dst_unused:UNUSED_PAD src0_sel:BYTE_0 src1_sel:DWORD
	v_lshlrev_b16 v162, 8, v178
	v_or_b32_sdwa v159, v163, v159 dst_sel:WORD_1 dst_unused:UNUSED_PAD src0_sel:BYTE_0 src1_sel:DWORD
	v_lshrrev_b16 v186, 8, v185
	v_lshlrev_b16 v163, 8, v180
	v_or_b32_sdwa v160, v164, v160 dst_sel:WORD_1 dst_unused:UNUSED_PAD src0_sel:BYTE_0 src1_sel:DWORD
	v_lshlrev_b16 v164, 8, v182
	v_lshlrev_b16 v165, 8, v165
	v_sub_nc_u16 v186, v186, v187
	v_lshrrev_b32_e32 v187, 24, v144
	v_or_b32_sdwa v173, v173, v174 dst_sel:DWORD dst_unused:UNUSED_PAD src0_sel:BYTE_0 src1_sel:DWORD
	v_or_b32_sdwa v161, v175, v161 dst_sel:DWORD dst_unused:UNUSED_PAD src0_sel:BYTE_0 src1_sel:DWORD
	v_or_b32_sdwa v162, v177, v162 dst_sel:DWORD dst_unused:UNUSED_PAD src0_sel:BYTE_0 src1_sel:DWORD
	v_or_b32_sdwa v163, v179, v163 dst_sel:DWORD dst_unused:UNUSED_PAD src0_sel:BYTE_0 src1_sel:DWORD
	v_sub_nc_u16 v167, v167, v187
	v_lshrrev_b32_e32 v187, 16, v185
	v_sub_nc_u16 v185, v185, v144
	v_lshrrev_b32_e32 v144, 16, v144
	v_or_b32_sdwa v164, v181, v164 dst_sel:DWORD dst_unused:UNUSED_PAD src0_sel:BYTE_0 src1_sel:DWORD
	v_or_b32_sdwa v146, v146, v165 dst_sel:WORD_1 dst_unused:UNUSED_PAD src0_sel:BYTE_0 src1_sel:DWORD
	v_lshlrev_b16 v165, 8, v184
	v_lshlrev_b16 v166, 8, v166
	v_sub_nc_u16 v144, v187, v144
	v_and_b32_e32 v187, 0x3030303, v168
	v_bfe_u32 v168, v168, 24, 2
	v_or_b32_sdwa v146, v164, v146 dst_sel:DWORD dst_unused:UNUSED_PAD src0_sel:WORD_0 src1_sel:DWORD
	v_or_b32_sdwa v165, v183, v165 dst_sel:DWORD dst_unused:UNUSED_PAD src0_sel:BYTE_0 src1_sel:DWORD
	v_or_b32_sdwa v145, v145, v166 dst_sel:WORD_1 dst_unused:UNUSED_PAD src0_sel:BYTE_0 src1_sel:DWORD
	v_lshrrev_b16 v188, 8, v187
	v_ashrrev_i32_e32 v27, s4, v27
	v_ashrrev_i32_e32 v28, s4, v28
	v_lshlrev_b16 v166, 8, v186
	v_or_b32_sdwa v145, v165, v145 dst_sel:DWORD dst_unused:UNUSED_PAD src0_sel:WORD_0 src1_sel:DWORD
	v_sub_nc_u16 v188, v188, v189
	v_lshrrev_b32_e32 v189, 24, v143
	v_mov_b32_e32 v165, 0
	v_lshlrev_b32_e32 v27, 2, v27
	v_lshlrev_b32_e32 v28, 2, v28
	v_lshlrev_b16 v167, 8, v167
	v_sub_nc_u16 v168, v168, v189
	v_lshrrev_b32_e32 v189, 16, v187
	v_sub_nc_u16 v187, v187, v143
	v_lshrrev_b32_e32 v143, 16, v143
	v_and_b32_e32 v27, 0x4040404, v27
	v_lshlrev_b16 v168, 8, v168
	v_and_b32_e32 v28, 0x4040404, v28
	v_or_b32_sdwa v166, v185, v166 dst_sel:DWORD dst_unused:UNUSED_PAD src0_sel:BYTE_0 src1_sel:DWORD
	v_sub_nc_u16 v143, v189, v143
	v_and_b32_e32 v189, 0x3030303, v169
	v_bfe_u32 v169, v169, 24, 2
	v_or_b32_sdwa v144, v144, v167 dst_sel:WORD_1 dst_unused:UNUSED_PAD src0_sel:BYTE_0 src1_sel:DWORD
	v_ashrrev_i32_e32 v29, s4, v29
	v_or_b32_sdwa v143, v143, v168 dst_sel:WORD_1 dst_unused:UNUSED_PAD src0_sel:BYTE_0 src1_sel:DWORD
	v_lshrrev_b16 v190, 8, v189
	s_and_b32 s22, s1, -16
	v_or_b32_sdwa v144, v166, v144 dst_sel:DWORD dst_unused:UNUSED_PAD src0_sel:WORD_0 src1_sel:DWORD
	v_lshlrev_b32_e32 v29, 2, v29
	s_add_i32 s19, s19, s22
	v_sub_nc_u16 v190, v190, v191
	v_lshrrev_b32_e32 v191, 24, v142
	v_lshlrev_b16 v167, 8, v188
	v_and_b32_e32 v29, 0x4040404, v29
	v_ashrrev_i32_e32 v30, s4, v30
	v_lshlrev_b16 v168, 8, v190
	v_sub_nc_u16 v169, v169, v191
	v_lshrrev_b32_e32 v191, 16, v189
	v_sub_nc_u16 v189, v189, v142
	v_lshrrev_b32_e32 v142, 16, v142
	v_or_b32_sdwa v167, v187, v167 dst_sel:DWORD dst_unused:UNUSED_PAD src0_sel:BYTE_0 src1_sel:DWORD
	v_lshlrev_b16 v169, 8, v169
	v_lshrrev_b16 v166, 8, v29
	v_or_b32_sdwa v168, v189, v168 dst_sel:DWORD dst_unused:UNUSED_PAD src0_sel:BYTE_0 src1_sel:DWORD
	v_sub_nc_u16 v142, v191, v142
	v_and_b32_e32 v191, 0x3030303, v170
	v_bfe_u32 v170, v170, 24, 2
	v_or_b32_sdwa v143, v167, v143 dst_sel:DWORD dst_unused:UNUSED_PAD src0_sel:WORD_0 src1_sel:DWORD
	v_lshlrev_b32_e32 v30, 2, v30
	v_or_b32_sdwa v142, v142, v169 dst_sel:WORD_1 dst_unused:UNUSED_PAD src0_sel:BYTE_0 src1_sel:DWORD
	v_lshrrev_b16 v192, 8, v191
	v_ashrrev_i32_e32 v31, s4, v31
	v_ashrrev_i32_e32 v32, s4, v32
	v_and_b32_e32 v30, 0x4040404, v30
	v_ashrrev_i32_e32 v33, s4, v33
	v_sub_nc_u16 v192, v192, v193
	v_lshrrev_b32_e32 v193, 24, v141
	v_lshlrev_b32_e32 v31, 2, v31
	v_lshlrev_b32_e32 v32, 2, v32
	v_ashrrev_i32_e32 v151, s20, v151
	v_lshlrev_b16 v169, 8, v192
	v_sub_nc_u16 v170, v170, v193
	v_lshrrev_b32_e32 v193, 16, v191
	v_sub_nc_u16 v191, v191, v141
	v_lshrrev_b32_e32 v141, 16, v141
	v_and_b32_e32 v31, 0x4040404, v31
	v_lshlrev_b16 v170, 8, v170
	v_and_b32_e32 v32, 0x4040404, v32
	v_or_b32_sdwa v169, v191, v169 dst_sel:DWORD dst_unused:UNUSED_PAD src0_sel:BYTE_0 src1_sel:DWORD
	v_sub_nc_u16 v141, v193, v141
	v_and_b32_e32 v193, 0x3030303, v149
	v_bfe_u32 v149, v149, 24, 2
	v_lshlrev_b32_e32 v33, 2, v33
	v_ashrrev_i32_e32 v34, s4, v34
	v_or_b32_sdwa v141, v141, v170 dst_sel:WORD_1 dst_unused:UNUSED_PAD src0_sel:BYTE_0 src1_sel:DWORD
	v_lshrrev_b16 v194, 8, v193
	v_ashrrev_i32_e32 v152, s20, v152
	v_and_b32_e32 v33, 0x4040404, v33
	v_lshlrev_b32_e32 v34, 2, v34
	v_ashrrev_i32_e32 v35, s4, v35
	v_sub_nc_u16 v194, v194, v195
	v_lshrrev_b32_e32 v195, 24, v140
	v_lshrrev_b16 v174, 8, v33
	v_and_b32_e32 v34, 0x4040404, v34
	v_lshlrev_b32_e32 v35, 2, v35
	v_lshlrev_b16 v170, 8, v194
	v_sub_nc_u16 v149, v149, v195
	v_lshrrev_b32_e32 v195, 16, v193
	v_sub_nc_u16 v193, v193, v140
	v_lshrrev_b32_e32 v140, 16, v140
	v_lshrrev_b16 v176, 8, v34
	v_lshlrev_b16 v149, 8, v149
	v_and_b32_e32 v35, 0x4040404, v35
	v_or_b32_sdwa v170, v193, v170 dst_sel:DWORD dst_unused:UNUSED_PAD src0_sel:BYTE_0 src1_sel:DWORD
	v_sub_nc_u16 v140, v195, v140
	v_and_b32_e32 v195, 0x3030303, v150
	v_bfe_u32 v150, v150, 24, 2
	v_lshrrev_b16 v178, 8, v35
	v_ashrrev_i32_e32 v36, s4, v36
	v_or_b32_sdwa v140, v140, v149 dst_sel:WORD_1 dst_unused:UNUSED_PAD src0_sel:BYTE_0 src1_sel:DWORD
	v_lshrrev_b16 v196, 8, v195
	v_ashrrev_i32_e32 v25, s4, v25
	v_ashrrev_i32_e32 v26, s4, v26
	v_lshlrev_b32_e32 v36, 2, v36
	v_ashrrev_i32_e32 v153, s20, v153
	v_sub_nc_u16 v196, v196, v197
	v_lshrrev_b32_e32 v197, 24, v139
	v_lshlrev_b32_e32 v25, 2, v25
	v_and_b32_e32 v36, 0x4040404, v36
	v_lshlrev_b32_e32 v26, 2, v26
	v_lshlrev_b16 v149, 8, v196
	v_sub_nc_u16 v150, v150, v197
	v_lshrrev_b32_e32 v197, 16, v195
	v_sub_nc_u16 v195, v195, v139
	v_lshrrev_b32_e32 v139, 16, v139
	v_lshrrev_b16 v180, 8, v36
	v_lshlrev_b16 v150, 8, v150
	v_and_b32_e32 v25, 0x4040404, v25
	v_or_b32_sdwa v149, v195, v149 dst_sel:DWORD dst_unused:UNUSED_PAD src0_sel:BYTE_0 src1_sel:DWORD
	v_sub_nc_u16 v139, v197, v139
	v_and_b32_e32 v197, 0x3030303, v171
	v_bfe_u32 v171, v171, 24, 2
	v_lshrrev_b16 v182, 8, v25
	v_and_b32_e32 v26, 0x4040404, v26
	v_or_b32_sdwa v139, v139, v150 dst_sel:WORD_1 dst_unused:UNUSED_PAD src0_sel:BYTE_0 src1_sel:DWORD
	v_lshrrev_b16 v198, 8, v197
	v_ashrrev_i32_e32 v154, s20, v154
	v_ashrrev_i32_e32 v37, s4, v37
	v_lshrrev_b16 v184, 8, v26
	v_or_b32_sdwa v149, v149, v139 dst_sel:DWORD dst_unused:UNUSED_PAD src0_sel:WORD_0 src1_sel:DWORD
	v_sub_nc_u16 v198, v198, v199
	v_lshrrev_b32_e32 v199, 24, v138
	v_lshlrev_b32_e32 v37, 2, v37
	v_ashrrev_i32_e32 v38, s4, v38
	s_add_i32 s1, s1, 2
	v_lshlrev_b16 v150, 8, v198
	v_sub_nc_u16 v171, v171, v199
	v_lshrrev_b32_e32 v199, 16, v197
	v_sub_nc_u16 v197, v197, v138
	v_lshrrev_b32_e32 v138, 16, v138
	v_and_b32_e32 v37, 0x4040404, v37
	v_lshlrev_b16 v171, 8, v171
	v_lshlrev_b32_e32 v38, 2, v38
	v_or_b32_sdwa v150, v197, v150 dst_sel:DWORD dst_unused:UNUSED_PAD src0_sel:BYTE_0 src1_sel:DWORD
	v_sub_nc_u16 v138, v199, v138
	v_and_b32_e32 v199, 0x3030303, v172
	v_bfe_u32 v172, v172, 24, 2
	v_lshrrev_b16 v190, 8, v37
	v_and_b32_e32 v38, 0x4040404, v38
	v_or_b32_sdwa v138, v138, v171 dst_sel:WORD_1 dst_unused:UNUSED_PAD src0_sel:BYTE_0 src1_sel:DWORD
	v_lshrrev_b16 v200, 8, v199
	v_lshrrev_b16 v192, 8, v38
	v_or_b32_sdwa v150, v150, v138 dst_sel:DWORD dst_unused:UNUSED_PAD src0_sel:WORD_0 src1_sel:DWORD
	v_sub_nc_u16 v200, v200, v201
	v_lshrrev_b32_e32 v201, 24, v136
	v_lshlrev_b16 v171, 8, v200
	v_sub_nc_u16 v172, v172, v201
	v_lshrrev_b32_e32 v201, 16, v199
	v_sub_nc_u16 v199, v199, v136
	v_lshrrev_b32_e32 v136, 16, v136
	v_lshlrev_b16 v172, 8, v172
	v_or_b32_sdwa v171, v199, v171 dst_sel:DWORD dst_unused:UNUSED_PAD src0_sel:BYTE_0 src1_sel:DWORD
	v_sub_nc_u16 v136, v201, v136
	v_and_b32_e32 v201, 0x3030303, v147
	v_bfe_u32 v147, v147, 24, 2
	v_or_b32_sdwa v136, v136, v172 dst_sel:WORD_1 dst_unused:UNUSED_PAD src0_sel:BYTE_0 src1_sel:DWORD
	v_lshrrev_b16 v202, 8, v201
	v_sub_nc_u16 v202, v202, v203
	v_lshrrev_b32_e32 v203, 24, v137
	v_lshlrev_b16 v172, 8, v202
	v_sub_nc_u16 v147, v147, v203
	v_lshrrev_b32_e32 v203, 16, v201
	v_sub_nc_u16 v201, v201, v137
	v_lshrrev_b32_e32 v137, 16, v137
	v_lshlrev_b16 v147, 8, v147
	v_or_b32_sdwa v172, v201, v172 dst_sel:DWORD dst_unused:UNUSED_PAD src0_sel:BYTE_0 src1_sel:DWORD
	v_sub_nc_u16 v137, v203, v137
	v_and_b32_e32 v203, 0x3030303, v148
	v_bfe_u32 v148, v148, 24, 2
	v_or_b32_sdwa v137, v137, v147 dst_sel:WORD_1 dst_unused:UNUSED_PAD src0_sel:BYTE_0 src1_sel:DWORD
	v_lshrrev_b16 v204, 8, v203
	v_or_b32_sdwa v164, v172, v137 dst_sel:DWORD dst_unused:UNUSED_PAD src0_sel:WORD_0 src1_sel:DWORD
	v_sub_nc_u16 v204, v204, v205
	v_lshrrev_b32_e32 v205, 24, v135
	v_lshrrev_b16 v172, 8, v32
	v_lshlrev_b16 v147, 8, v204
	v_sub_nc_u16 v148, v148, v205
	v_lshrrev_b32_e32 v205, 16, v203
	v_sub_nc_u16 v203, v203, v135
	v_lshrrev_b32_e32 v135, 16, v135
	v_lshlrev_b16 v148, 8, v148
	v_or_b32_sdwa v147, v203, v147 dst_sel:DWORD dst_unused:UNUSED_PAD src0_sel:BYTE_0 src1_sel:DWORD
	v_sub_nc_u16 v135, v205, v135
	v_or_b32_sdwa v135, v135, v148 dst_sel:WORD_1 dst_unused:UNUSED_PAD src0_sel:BYTE_0 src1_sel:DWORD
	v_or_b32_sdwa v148, v173, v157 dst_sel:DWORD dst_unused:UNUSED_PAD src0_sel:WORD_0 src1_sel:DWORD
	v_or_b32_sdwa v157, v161, v158 dst_sel:DWORD dst_unused:UNUSED_PAD src0_sel:WORD_0 src1_sel:DWORD
	;; [unrolled: 1-line block ×9, first 2 shown]
	ds_read_b128 v[135:138], v130
	ds_read_b128 v[139:142], v130 offset:16
	v_lshrrev_b16 v168, 8, v30
	v_lshrrev_b16 v170, 8, v31
	v_add_nc_u32_e32 v130, 32, v130
	s_waitcnt lgkmcnt(1)
	v_dot4c_i32_i8 v165, v148, v135
	v_mov_b32_e32 v148, 0
	v_dot4c_i32_i8 v165, v157, v136
	v_dot4c_i32_i8 v148, v146, v135
	v_mov_b32_e32 v146, 0
	v_dot4c_i32_i8 v165, v158, v137
	v_dot4c_i32_i8 v148, v145, v136
	;; [unrolled: 1-line block ×3, first 2 shown]
	v_mov_b32_e32 v160, 0
	v_dot4c_i32_i8 v165, v159, v138
	v_dot4c_i32_i8 v148, v144, v137
	;; [unrolled: 1-line block ×4, first 2 shown]
	v_ashrrev_i32_e32 v135, s20, v21
	v_lshrrev_b16 v161, 8, v27
	v_add_nc_u32_e32 v21, s19, v89
	v_dot4c_i32_i8 v146, v162, v137
	v_dot4c_i32_i8 v160, v163, v136
	v_and_b32_e32 v158, 0x3030303, v135
	v_bfe_u32 v135, v135, 24, 2
	v_ashrrev_i32_e32 v136, s20, v22
	v_lshrrev_b16 v163, 8, v28
	v_dot4c_i32_i8 v160, v164, v137
	v_lshrrev_b16 v159, 8, v158
	v_ashrrev_i32_e32 v137, s20, v23
	ds_read_u16 v145, v21 offset:26354
	v_add3_u32 v21, s21, v117, v118
	v_dot4c_i32_i8 v160, v147, v138
	v_sub_nc_u16 v159, v159, v161
	v_lshrrev_b32_e32 v161, 24, v27
	v_add_nc_u32_e32 v23, 0x1098, v132
	ds_read_b32 v147, v21
	v_add_nc_u32_e32 v21, 0x1090, v132
	v_dot4c_i32_i8 v148, v143, v138
	v_sub_nc_u16 v135, v135, v161
	v_lshrrev_b32_e32 v161, 16, v158
	v_sub_nc_u16 v158, v158, v27
	v_lshrrev_b32_e32 v27, 16, v27
	v_dot4c_i32_i8 v146, v149, v138
	v_ashrrev_i32_e32 v138, s20, v24
	ds_read2_b32 v[21:22], v21 offset1:1
	ds_read2_b32 v[23:24], v23 offset1:1
	v_ashrrev_i32_e32 v143, s4, v155
	v_sub_nc_u16 v27, v161, v27
	v_and_b32_e32 v161, 0x3030303, v136
	v_bfe_u32 v136, v136, 24, 2
	v_ashrrev_i32_e32 v144, s4, v156
	v_lshlrev_b32_e32 v143, 2, v143
	v_lshlrev_b16 v159, 8, v159
	v_lshrrev_b16 v162, 8, v161
	v_lshlrev_b16 v135, 8, v135
	v_lshlrev_b32_e32 v144, 2, v144
	v_and_b32_e32 v143, 0x4040404, v143
	v_or_b32_sdwa v158, v158, v159 dst_sel:DWORD dst_unused:UNUSED_PAD src0_sel:BYTE_0 src1_sel:DWORD
	v_sub_nc_u16 v162, v162, v163
	v_lshrrev_b32_e32 v163, 24, v28
	v_and_b32_e32 v144, 0x4040404, v144
	v_lshrrev_b16 v186, 8, v143
	v_or_b32_sdwa v27, v27, v135 dst_sel:WORD_1 dst_unused:UNUSED_PAD src0_sel:BYTE_0 src1_sel:DWORD
	v_lshlrev_b16 v135, 8, v162
	v_sub_nc_u16 v136, v136, v163
	v_lshrrev_b32_e32 v163, 16, v161
	v_sub_nc_u16 v161, v161, v28
	v_lshrrev_b32_e32 v28, 16, v28
	s_waitcnt lgkmcnt(1)
	v_ashrrev_i32_e32 v149, s20, v21
	v_ashrrev_i32_e32 v150, s20, v22
	v_add_nc_u32_e32 v22, s19, v87
	s_waitcnt lgkmcnt(0)
	v_ashrrev_i32_e32 v155, s20, v23
	v_sub_nc_u16 v28, v163, v28
	v_and_b32_e32 v163, 0x3030303, v137
	v_bfe_u32 v137, v137, 24, 2
	v_add_nc_u32_e32 v21, 0x3190, v132
	v_add_nc_u32_e32 v23, 0x3198, v132
	ds_read_u16 v132, v22 offset:28402
	v_lshrrev_b16 v164, 8, v163
	v_add3_u32 v22, s21, v125, v126
	v_ashrrev_i32_e32 v156, s20, v24
	ds_read_b32 v157, v22
	ds_read2_b32 v[21:22], v21 offset1:1
	ds_read2_b32 v[23:24], v23 offset1:1
	v_sub_nc_u16 v164, v164, v166
	v_lshrrev_b32_e32 v166, 24, v29
	v_lshrrev_b16 v188, 8, v144
	v_or_b32_sdwa v27, v158, v27 dst_sel:DWORD dst_unused:UNUSED_PAD src0_sel:WORD_0 src1_sel:DWORD
	v_lshlrev_b16 v136, 8, v136
	v_or_b32_sdwa v135, v161, v135 dst_sel:DWORD dst_unused:UNUSED_PAD src0_sel:BYTE_0 src1_sel:DWORD
	v_sub_nc_u16 v137, v137, v166
	v_lshrrev_b32_e32 v166, 16, v163
	v_sub_nc_u16 v163, v163, v29
	v_lshrrev_b32_e32 v29, 16, v29
	v_or_b32_sdwa v28, v28, v136 dst_sel:WORD_1 dst_unused:UNUSED_PAD src0_sel:BYTE_0 src1_sel:DWORD
	v_lshlrev_b16 v136, 8, v164
	v_lshlrev_b16 v137, 8, v137
	s_add_i32 s4, s4, 1
	v_sub_nc_u16 v29, v166, v29
	v_and_b32_e32 v166, 0x3030303, v138
	v_bfe_u32 v138, v138, 24, 2
	v_or_b32_sdwa v28, v135, v28 dst_sel:DWORD dst_unused:UNUSED_PAD src0_sel:WORD_0 src1_sel:DWORD
	s_waitcnt lgkmcnt(1)
	v_ashrrev_i32_e32 v21, s20, v21
	v_ashrrev_i32_e32 v22, s20, v22
	v_lshrrev_b16 v167, 8, v166
	s_waitcnt lgkmcnt(0)
	v_ashrrev_i32_e32 v23, s20, v23
	v_ashrrev_i32_e32 v24, s20, v24
	v_mov_b32_e32 v135, 0
	v_or_b32_sdwa v136, v163, v136 dst_sel:DWORD dst_unused:UNUSED_PAD src0_sel:BYTE_0 src1_sel:DWORD
	v_sub_nc_u16 v167, v167, v168
	v_lshrrev_b32_e32 v168, 24, v30
	v_or_b32_sdwa v29, v29, v137 dst_sel:WORD_1 dst_unused:UNUSED_PAD src0_sel:BYTE_0 src1_sel:DWORD
	s_cmp_lt_u32 s5, 30
	v_lshlrev_b16 v137, 8, v167
	v_sub_nc_u16 v138, v138, v168
	v_lshrrev_b32_e32 v168, 16, v166
	v_sub_nc_u16 v166, v166, v30
	v_lshrrev_b32_e32 v30, 16, v30
	v_or_b32_sdwa v29, v136, v29 dst_sel:DWORD dst_unused:UNUSED_PAD src0_sel:WORD_0 src1_sel:DWORD
	v_lshlrev_b16 v138, 8, v138
	v_or_b32_sdwa v137, v166, v137 dst_sel:DWORD dst_unused:UNUSED_PAD src0_sel:BYTE_0 src1_sel:DWORD
	v_sub_nc_u16 v30, v168, v30
	v_and_b32_e32 v168, 0x3030303, v149
	v_bfe_u32 v149, v149, 24, 2
	v_or_b32_sdwa v30, v30, v138 dst_sel:WORD_1 dst_unused:UNUSED_PAD src0_sel:BYTE_0 src1_sel:DWORD
	v_lshrrev_b16 v169, 8, v168
	v_or_b32_sdwa v30, v137, v30 dst_sel:DWORD dst_unused:UNUSED_PAD src0_sel:WORD_0 src1_sel:DWORD
	v_sub_nc_u16 v169, v169, v170
	v_lshrrev_b32_e32 v170, 24, v31
	v_lshlrev_b16 v138, 8, v169
	v_sub_nc_u16 v149, v149, v170
	v_lshrrev_b32_e32 v170, 16, v168
	v_sub_nc_u16 v168, v168, v31
	v_lshrrev_b32_e32 v31, 16, v31
	v_lshlrev_b16 v149, 8, v149
	v_or_b32_sdwa v138, v168, v138 dst_sel:DWORD dst_unused:UNUSED_PAD src0_sel:BYTE_0 src1_sel:DWORD
	v_sub_nc_u16 v31, v170, v31
	v_and_b32_e32 v170, 0x3030303, v150
	v_bfe_u32 v150, v150, 24, 2
	v_or_b32_sdwa v31, v31, v149 dst_sel:WORD_1 dst_unused:UNUSED_PAD src0_sel:BYTE_0 src1_sel:DWORD
	v_lshrrev_b16 v171, 8, v170
	v_or_b32_sdwa v31, v138, v31 dst_sel:DWORD dst_unused:UNUSED_PAD src0_sel:WORD_0 src1_sel:DWORD
	v_sub_nc_u16 v171, v171, v172
	v_lshrrev_b32_e32 v172, 24, v32
	v_lshlrev_b16 v149, 8, v171
	v_sub_nc_u16 v150, v150, v172
	v_lshrrev_b32_e32 v172, 16, v170
	v_sub_nc_u16 v170, v170, v32
	v_lshrrev_b32_e32 v32, 16, v32
	;; [unrolled: 15-line block ×3, first 2 shown]
	v_lshlrev_b16 v151, 8, v151
	v_or_b32_sdwa v150, v172, v150 dst_sel:DWORD dst_unused:UNUSED_PAD src0_sel:BYTE_0 src1_sel:DWORD
	v_sub_nc_u16 v33, v174, v33
	v_and_b32_e32 v174, 0x3030303, v152
	v_bfe_u32 v152, v152, 24, 2
	v_or_b32_sdwa v33, v33, v151 dst_sel:WORD_1 dst_unused:UNUSED_PAD src0_sel:BYTE_0 src1_sel:DWORD
	v_lshrrev_b16 v175, 8, v174
	v_or_b32_sdwa v33, v150, v33 dst_sel:DWORD dst_unused:UNUSED_PAD src0_sel:WORD_0 src1_sel:DWORD
	v_sub_nc_u16 v175, v175, v176
	v_lshrrev_b32_e32 v176, 24, v34
	v_dot4c_i32_i8 v135, v33, v139
	v_lshlrev_b16 v151, 8, v175
	v_sub_nc_u16 v152, v152, v176
	v_lshrrev_b32_e32 v176, 16, v174
	v_sub_nc_u16 v174, v174, v34
	v_lshrrev_b32_e32 v34, 16, v34
	v_lshlrev_b16 v152, 8, v152
	v_or_b32_sdwa v151, v174, v151 dst_sel:DWORD dst_unused:UNUSED_PAD src0_sel:BYTE_0 src1_sel:DWORD
	v_sub_nc_u16 v34, v176, v34
	v_and_b32_e32 v176, 0x3030303, v21
	v_bfe_u32 v21, v21, 24, 2
	v_or_b32_sdwa v34, v34, v152 dst_sel:WORD_1 dst_unused:UNUSED_PAD src0_sel:BYTE_0 src1_sel:DWORD
	v_lshrrev_b16 v177, 8, v176
	v_or_b32_sdwa v34, v151, v34 dst_sel:DWORD dst_unused:UNUSED_PAD src0_sel:WORD_0 src1_sel:DWORD
	v_sub_nc_u16 v177, v177, v178
	v_lshrrev_b32_e32 v178, 24, v35
	v_dot4c_i32_i8 v135, v34, v140
	v_lshlrev_b16 v152, 8, v177
	v_sub_nc_u16 v21, v21, v178
	v_lshrrev_b32_e32 v178, 16, v176
	v_sub_nc_u16 v176, v176, v35
	v_lshrrev_b32_e32 v35, 16, v35
	v_lshlrev_b16 v21, 8, v21
	v_or_b32_sdwa v152, v176, v152 dst_sel:DWORD dst_unused:UNUSED_PAD src0_sel:BYTE_0 src1_sel:DWORD
	v_sub_nc_u16 v35, v178, v35
	v_and_b32_e32 v178, 0x3030303, v22
	v_bfe_u32 v22, v22, 24, 2
	v_or_b32_sdwa v21, v35, v21 dst_sel:WORD_1 dst_unused:UNUSED_PAD src0_sel:BYTE_0 src1_sel:DWORD
	v_lshrrev_b16 v179, 8, v178
	v_or_b32_sdwa v21, v152, v21 dst_sel:DWORD dst_unused:UNUSED_PAD src0_sel:WORD_0 src1_sel:DWORD
	v_sub_nc_u16 v179, v179, v180
	v_lshrrev_b32_e32 v180, 24, v36
	v_lshlrev_b16 v35, 8, v179
	v_sub_nc_u16 v22, v22, v180
	v_lshrrev_b32_e32 v180, 16, v178
	v_sub_nc_u16 v178, v178, v36
	v_lshrrev_b32_e32 v36, 16, v36
	v_lshlrev_b16 v22, 8, v22
	v_or_b32_sdwa v35, v178, v35 dst_sel:DWORD dst_unused:UNUSED_PAD src0_sel:BYTE_0 src1_sel:DWORD
	v_sub_nc_u16 v36, v180, v36
	v_and_b32_e32 v180, 0x3030303, v155
	v_bfe_u32 v155, v155, 24, 2
	v_or_b32_sdwa v22, v36, v22 dst_sel:WORD_1 dst_unused:UNUSED_PAD src0_sel:BYTE_0 src1_sel:DWORD
	v_lshrrev_b16 v181, 8, v180
	v_or_b32_sdwa v22, v35, v22 dst_sel:DWORD dst_unused:UNUSED_PAD src0_sel:WORD_0 src1_sel:DWORD
	v_sub_nc_u16 v181, v181, v182
	v_lshrrev_b32_e32 v182, 24, v25
	;; [unrolled: 15-line block ×5, first 2 shown]
	v_dot4c_i32_i8 v135, v35, v141
	v_lshlrev_b16 v153, 8, v187
	v_sub_nc_u16 v154, v154, v188
	v_lshrrev_b32_e32 v188, 16, v186
	v_sub_nc_u16 v186, v186, v144
	v_lshrrev_b32_e32 v144, 16, v144
	v_lshlrev_b16 v154, 8, v154
	v_or_b32_sdwa v153, v186, v153 dst_sel:DWORD dst_unused:UNUSED_PAD src0_sel:BYTE_0 src1_sel:DWORD
	v_sub_nc_u16 v144, v188, v144
	v_and_b32_e32 v188, 0x3030303, v23
	v_bfe_u32 v23, v23, 24, 2
	v_or_b32_sdwa v144, v144, v154 dst_sel:WORD_1 dst_unused:UNUSED_PAD src0_sel:BYTE_0 src1_sel:DWORD
	v_lshrrev_b16 v189, 8, v188
	v_or_b32_sdwa v36, v153, v144 dst_sel:DWORD dst_unused:UNUSED_PAD src0_sel:WORD_0 src1_sel:DWORD
	v_sub_nc_u16 v189, v189, v190
	v_lshrrev_b32_e32 v190, 24, v37
	v_dot4c_i32_i8 v135, v36, v142
	v_lshlrev_b16 v154, 8, v189
	v_sub_nc_u16 v23, v23, v190
	v_lshrrev_b32_e32 v190, 16, v188
	v_sub_nc_u16 v188, v188, v37
	v_lshrrev_b32_e32 v37, 16, v37
	v_lshlrev_b16 v23, 8, v23
	v_or_b32_sdwa v154, v188, v154 dst_sel:DWORD dst_unused:UNUSED_PAD src0_sel:BYTE_0 src1_sel:DWORD
	v_sub_nc_u16 v37, v190, v37
	v_and_b32_e32 v190, 0x3030303, v24
	v_bfe_u32 v24, v24, 24, 2
	v_or_b32_sdwa v23, v37, v23 dst_sel:WORD_1 dst_unused:UNUSED_PAD src0_sel:BYTE_0 src1_sel:DWORD
	v_lshrrev_b16 v191, 8, v190
	v_or_b32_sdwa v23, v154, v23 dst_sel:DWORD dst_unused:UNUSED_PAD src0_sel:WORD_0 src1_sel:DWORD
	v_sub_nc_u16 v191, v191, v192
	v_lshrrev_b32_e32 v192, 24, v38
	v_lshlrev_b16 v37, 8, v191
	v_sub_nc_u16 v24, v24, v192
	v_lshrrev_b32_e32 v192, 16, v190
	v_sub_nc_u16 v190, v190, v38
	v_lshrrev_b32_e32 v38, 16, v38
	v_lshlrev_b16 v24, 8, v24
	v_or_b32_sdwa v37, v190, v37 dst_sel:DWORD dst_unused:UNUSED_PAD src0_sel:BYTE_0 src1_sel:DWORD
	v_sub_nc_u16 v38, v192, v38
	v_or_b32_sdwa v24, v38, v24 dst_sel:WORD_1 dst_unused:UNUSED_PAD src0_sel:BYTE_0 src1_sel:DWORD
	v_mov_b32_e32 v38, 0
	v_or_b32_sdwa v24, v37, v24 dst_sel:DWORD dst_unused:UNUSED_PAD src0_sel:WORD_0 src1_sel:DWORD
	v_mov_b32_e32 v37, 0
	v_dot4c_i32_i8 v38, v27, v139
	v_add_nc_u32_e32 v27, s19, v90
	v_dot4c_i32_i8 v37, v31, v139
	v_mov_b32_e32 v31, 0
	v_dot4c_i32_i8 v38, v28, v140
	v_dot4c_i32_i8 v37, v32, v140
	;; [unrolled: 1-line block ×3, first 2 shown]
	v_add_nc_u32_e32 v21, s19, v88
	ds_read_u16 v27, v27 offset:25330
	ds_read_u16 v21, v21 offset:27378
	v_dot4c_i32_i8 v31, v22, v140
	v_bfe_i32 v22, v145, 0, 8
	v_dot4c_i32_i8 v38, v29, v141
	v_lshrrev_b16 v29, 8, v132
	v_bfe_i32 v132, v132, 0, 8
	v_dot4c_i32_i8 v31, v23, v141
	v_mul_lo_u32 v22, v148, v22
	v_dot4c_i32_i8 v37, v25, v141
	v_dot4c_i32_i8 v38, v30, v142
	ds_read_b32 v33, v131
	v_dot4c_i32_i8 v31, v24, v142
	v_mul_lo_u32 v24, v160, v132
	v_dot4c_i32_i8 v37, v26, v142
	v_bfe_i32 v29, v29, 0, 8
	v_add_nc_u32_e32 v131, 4, v131
	s_mov_b32 s19, s5
	s_waitcnt lgkmcnt(2)
	v_lshrrev_b16 v28, 8, v27
	v_bfe_i32 v27, v27, 0, 8
	s_waitcnt lgkmcnt(1)
	v_lshrrev_b16 v32, 8, v21
	v_bfe_i32 v34, v21, 0, 8
	v_lshrrev_b16 v21, 8, v145
	v_bfe_i32 v28, v28, 0, 8
	v_bfe_i32 v32, v32, 0, 8
	v_mul_lo_u32 v23, v146, v34
	v_bfe_i32 v136, v21, 0, 8
	v_mul_lo_u32 v21, v165, v27
	v_mad_u64_u32 v[25:26], null, v38, v28, v[21:22]
	v_mad_u64_u32 v[26:27], null, v37, v136, v[22:23]
	;; [unrolled: 1-line block ×3, first 2 shown]
	s_waitcnt lgkmcnt(0)
	v_mul_f32_e32 v21, v33, v134
	v_mul_f32_e32 v22, v33, v147
	v_mad_u64_u32 v[28:29], null, v31, v29, v[24:25]
	v_mul_f32_e32 v23, v33, v133
	v_mul_f32_e32 v24, v33, v157
	v_cvt_f32_i32_e32 v25, v25
	v_cvt_f32_i32_e32 v26, v26
	v_cvt_f32_i32_e32 v27, v27
	v_cvt_f32_i32_e32 v28, v28
	v_fmac_f32_e32 v40, v21, v25
	v_fmac_f32_e32 v86, v22, v26
	;; [unrolled: 1-line block ×4, first 2 shown]
	s_cbranch_scc1 .LBB190_35
; %bb.36:                               ;   in Loop: Header=BB190_5 Depth=1
	s_barrier
	buffer_gl0_inv
	s_branch .LBB190_4
.LBB190_37:
	s_mul_i32 s0, s14, s11
	s_waitcnt vmcnt(0)
	v_cmp_gt_i32_e32 vcc_lo, s0, v39
	s_and_saveexec_b32 s0, vcc_lo
	s_cbranch_execz .LBB190_46
; %bb.38:
	v_add_nc_u32_e32 v1, s6, v0
	v_mul_lo_u32 v0, v39, s13
	s_mov_b32 s0, exec_lo
	v_cmpx_gt_u32_e64 s13, v1
	s_cbranch_execz .LBB190_40
; %bb.39:
	v_add_nc_u32_e32 v2, v0, v1
	v_mov_b32_e32 v3, 0
	v_lshlrev_b64 v[2:3], 2, v[2:3]
	v_add_co_u32 v2, vcc_lo, s16, v2
	v_add_co_ci_u32_e64 v3, null, s17, v3, vcc_lo
	global_store_dword v[2:3], v40, off
.LBB190_40:
	s_or_b32 exec_lo, exec_lo, s0
	v_add_nc_u32_e32 v2, 32, v1
	s_mov_b32 s0, exec_lo
	v_cmpx_gt_u32_e64 s13, v2
	s_cbranch_execz .LBB190_42
; %bb.41:
	v_add_nc_u32_e32 v2, v0, v2
	v_mov_b32_e32 v3, 0
	v_lshlrev_b64 v[2:3], 2, v[2:3]
	v_add_co_u32 v2, vcc_lo, s16, v2
	v_add_co_ci_u32_e64 v3, null, s17, v3, vcc_lo
	global_store_dword v[2:3], v86, off
.LBB190_42:
	s_or_b32 exec_lo, exec_lo, s0
	v_add_nc_u32_e32 v2, 64, v1
	;; [unrolled: 13-line block ×3, first 2 shown]
	v_cmp_gt_u32_e32 vcc_lo, s13, v1
	s_and_b32 exec_lo, exec_lo, vcc_lo
	s_cbranch_execz .LBB190_46
; %bb.45:
	v_add_nc_u32_e32 v0, v0, v1
	v_mov_b32_e32 v1, 0
	v_lshlrev_b64 v[0:1], 2, v[0:1]
	v_add_co_u32 v0, vcc_lo, s16, v0
	v_add_co_ci_u32_e64 v1, null, s17, v1, vcc_lo
	global_store_dword v[0:1], v18, off
.LBB190_46:
	s_endpgm
	.section	.rodata,"a",@progbits
	.p2align	6, 0x0
	.amdhsa_kernel _ZL8moe_q3_KIfLb1EEvPKvS1_PT_PKiS5_S5_iiiiiii
		.amdhsa_group_segment_fixed_size 31776
		.amdhsa_private_segment_fixed_size 0
		.amdhsa_kernarg_size 76
		.amdhsa_user_sgpr_count 6
		.amdhsa_user_sgpr_private_segment_buffer 1
		.amdhsa_user_sgpr_dispatch_ptr 0
		.amdhsa_user_sgpr_queue_ptr 0
		.amdhsa_user_sgpr_kernarg_segment_ptr 1
		.amdhsa_user_sgpr_dispatch_id 0
		.amdhsa_user_sgpr_flat_scratch_init 0
		.amdhsa_user_sgpr_private_segment_size 0
		.amdhsa_wavefront_size32 1
		.amdhsa_uses_dynamic_stack 0
		.amdhsa_system_sgpr_private_segment_wavefront_offset 0
		.amdhsa_system_sgpr_workgroup_id_x 1
		.amdhsa_system_sgpr_workgroup_id_y 1
		.amdhsa_system_sgpr_workgroup_id_z 0
		.amdhsa_system_sgpr_workgroup_info 0
		.amdhsa_system_vgpr_workitem_id 1
		.amdhsa_next_free_vgpr 207
		.amdhsa_next_free_sgpr 26
		.amdhsa_reserve_vcc 1
		.amdhsa_reserve_flat_scratch 0
		.amdhsa_float_round_mode_32 0
		.amdhsa_float_round_mode_16_64 0
		.amdhsa_float_denorm_mode_32 3
		.amdhsa_float_denorm_mode_16_64 3
		.amdhsa_dx10_clamp 1
		.amdhsa_ieee_mode 1
		.amdhsa_fp16_overflow 0
		.amdhsa_workgroup_processor_mode 1
		.amdhsa_memory_ordered 1
		.amdhsa_forward_progress 1
		.amdhsa_shared_vgpr_count 0
		.amdhsa_exception_fp_ieee_invalid_op 0
		.amdhsa_exception_fp_denorm_src 0
		.amdhsa_exception_fp_ieee_div_zero 0
		.amdhsa_exception_fp_ieee_overflow 0
		.amdhsa_exception_fp_ieee_underflow 0
		.amdhsa_exception_fp_ieee_inexact 0
		.amdhsa_exception_int_div_zero 0
	.end_amdhsa_kernel
	.section	.text._ZL8moe_q3_KIfLb1EEvPKvS1_PT_PKiS5_S5_iiiiiii,"axG",@progbits,_ZL8moe_q3_KIfLb1EEvPKvS1_PT_PKiS5_S5_iiiiiii,comdat
.Lfunc_end190:
	.size	_ZL8moe_q3_KIfLb1EEvPKvS1_PT_PKiS5_S5_iiiiiii, .Lfunc_end190-_ZL8moe_q3_KIfLb1EEvPKvS1_PT_PKiS5_S5_iiiiiii
                                        ; -- End function
	.set _ZL8moe_q3_KIfLb1EEvPKvS1_PT_PKiS5_S5_iiiiiii.num_vgpr, 207
	.set _ZL8moe_q3_KIfLb1EEvPKvS1_PT_PKiS5_S5_iiiiiii.num_agpr, 0
	.set _ZL8moe_q3_KIfLb1EEvPKvS1_PT_PKiS5_S5_iiiiiii.numbered_sgpr, 26
	.set _ZL8moe_q3_KIfLb1EEvPKvS1_PT_PKiS5_S5_iiiiiii.num_named_barrier, 0
	.set _ZL8moe_q3_KIfLb1EEvPKvS1_PT_PKiS5_S5_iiiiiii.private_seg_size, 0
	.set _ZL8moe_q3_KIfLb1EEvPKvS1_PT_PKiS5_S5_iiiiiii.uses_vcc, 1
	.set _ZL8moe_q3_KIfLb1EEvPKvS1_PT_PKiS5_S5_iiiiiii.uses_flat_scratch, 0
	.set _ZL8moe_q3_KIfLb1EEvPKvS1_PT_PKiS5_S5_iiiiiii.has_dyn_sized_stack, 0
	.set _ZL8moe_q3_KIfLb1EEvPKvS1_PT_PKiS5_S5_iiiiiii.has_recursion, 0
	.set _ZL8moe_q3_KIfLb1EEvPKvS1_PT_PKiS5_S5_iiiiiii.has_indirect_call, 0
	.section	.AMDGPU.csdata,"",@progbits
; Kernel info:
; codeLenInByte = 26796
; TotalNumSgprs: 28
; NumVgprs: 207
; ScratchSize: 0
; MemoryBound: 0
; FloatMode: 240
; IeeeMode: 1
; LDSByteSize: 31776 bytes/workgroup (compile time only)
; SGPRBlocks: 0
; VGPRBlocks: 25
; NumSGPRsForWavesPerEU: 28
; NumVGPRsForWavesPerEU: 207
; Occupancy: 4
; WaveLimiterHint : 1
; COMPUTE_PGM_RSRC2:SCRATCH_EN: 0
; COMPUTE_PGM_RSRC2:USER_SGPR: 6
; COMPUTE_PGM_RSRC2:TRAP_HANDLER: 0
; COMPUTE_PGM_RSRC2:TGID_X_EN: 1
; COMPUTE_PGM_RSRC2:TGID_Y_EN: 1
; COMPUTE_PGM_RSRC2:TGID_Z_EN: 0
; COMPUTE_PGM_RSRC2:TIDIG_COMP_CNT: 1
	.section	.text._ZL8moe_q4_KIfLb0EEvPKvS1_PT_PKiS5_S5_iiiiiii,"axG",@progbits,_ZL8moe_q4_KIfLb0EEvPKvS1_PT_PKiS5_S5_iiiiiii,comdat
	.globl	_ZL8moe_q4_KIfLb0EEvPKvS1_PT_PKiS5_S5_iiiiiii ; -- Begin function _ZL8moe_q4_KIfLb0EEvPKvS1_PT_PKiS5_S5_iiiiiii
	.p2align	8
	.type	_ZL8moe_q4_KIfLb0EEvPKvS1_PT_PKiS5_S5_iiiiiii,@function
_ZL8moe_q4_KIfLb0EEvPKvS1_PT_PKiS5_S5_iiiiiii: ; @_ZL8moe_q4_KIfLb0EEvPKvS1_PT_PKiS5_S5_iiiiiii
; %bb.0:
	s_load_dwordx4 s[0:3], s[4:5], 0x18
	s_mov_b32 s8, s7
	s_mov_b32 s9, 0
	s_lshl_b64 s[10:11], s[8:9], 2
	s_waitcnt lgkmcnt(0)
	s_add_u32 s2, s2, s10
	s_addc_u32 s3, s3, s11
	s_load_dword s14, s[2:3], 0x0
	s_waitcnt lgkmcnt(0)
	s_cmpk_gt_u32 s14, 0xff
	s_cbranch_scc1 .LBB191_26
; %bb.1:
	s_load_dwordx2 s[2:3], s[4:5], 0x28
	s_waitcnt lgkmcnt(0)
	s_load_dword s3, s[2:3], 0x0
	s_lshl_b32 s2, s8, 3
	s_waitcnt lgkmcnt(0)
	s_cmp_gt_u32 s2, s3
	s_cbranch_scc1 .LBB191_26
; %bb.2:
	v_add_nc_u32_e32 v22, s2, v1
	v_mov_b32_e32 v23, 0
	s_lshl_b32 s16, s6, 7
	v_lshlrev_b64 v[2:3], 2, v[22:23]
	v_mov_b32_e32 v119, v23
	v_mov_b32_e32 v120, v23
	;; [unrolled: 1-line block ×3, first 2 shown]
	v_add_co_u32 v2, vcc_lo, s0, v2
	v_add_co_ci_u32_e64 v3, null, s1, v3, vcc_lo
	global_load_dword v32, v[2:3], off
	s_clause 0x2
	s_load_dwordx2 s[2:3], s[4:5], 0x30
	s_load_dwordx2 s[12:13], s[4:5], 0x10
	s_load_dwordx4 s[8:11], s[4:5], 0x3c
	s_waitcnt lgkmcnt(0)
	s_cmpk_lt_i32 s3, 0x100
	s_cbranch_scc1 .LBB191_17
; %bb.3:
	s_ashr_i32 s0, s3, 31
	s_mul_i32 s18, s14, s2
	s_lshr_b32 s0, s0, 24
	s_abs_i32 s2, s11
	s_add_i32 s0, s3, s0
	v_lshlrev_b32_e32 v5, 3, v1
	s_ashr_i32 s17, s0, 8
	v_lshrrev_b32_e32 v7, 2, v0
	s_lshl_b32 s0, s17, 3
	v_cvt_f32_u32_e32 v11, s2
	v_mad_i32_i24 v6, s17, v1, s0
	v_lshl_add_u32 v3, v1, 5, v0
	v_add_nc_u32_e32 v16, v7, v5
	v_add_nc_u16 v5, v7, v5
	v_rcp_iflag_f32_e32 v7, v11
	v_add_nc_u32_e32 v8, s0, v6
	v_and_b32_e32 v14, 0x7f, v3
	v_lshrrev_b32_e32 v3, 3, v3
	v_and_b32_e32 v9, 3, v0
	s_sub_i32 s14, 0, s2
	v_add_nc_u32_e32 v10, s0, v8
	v_mul_i32_i24_e32 v25, s17, v14
	v_and_b32_e32 v3, 12, v3
	v_lshlrev_b32_e32 v14, 2, v14
	v_mul_f32_e32 v7, 0x4f7ffffe, v7
	v_add_nc_u32_e32 v12, s0, v10
	v_add_nc_u32_e32 v17, 0xfe, v9
	v_cmp_gt_u32_e32 vcc_lo, 2, v9
	v_add3_u32 v43, v14, v3, 0x4e40
	v_cvt_u32_f32_e32 v3, v7
	v_add_nc_u32_e32 v15, s0, v12
	v_and_b32_e32 v17, 0xff, v17
	s_ashr_i32 s1, s9, 31
	v_lshlrev_b32_e32 v19, 2, v9
	v_mul_lo_u32 v22, s14, v3
	v_add_nc_u32_e32 v20, s0, v15
	v_cndmask_b32_e32 v7, v17, v9, vcc_lo
	v_cmp_ne_u32_e32 vcc_lo, 0, v9
	s_lshr_b32 s1, s1, 27
	s_waitcnt vmcnt(0)
	v_sub_nc_u32_e32 v30, 0, v32
	s_add_i32 s1, s9, s1
	v_add_nc_u32_e32 v11, s0, v20
	s_ashr_i32 s9, s1, 5
	v_cmp_lt_u32_e64 s1, 1, v9
	v_add_co_ci_u32_e64 v9, null, 0, v7, vcc_lo
	v_lshlrev_b32_e32 v44, 1, v7
	v_mul_hi_u32 v7, v3, v22
	v_add_nc_u32_e32 v23, s0, v11
	v_max_i32_e32 v30, v32, v30
	v_lshlrev_b32_e32 v4, 2, v0
	v_and_b32_e32 v16, 0x7f, v16
	v_lshrrev_b16 v5, 1, v5
	v_add_nc_u32_e32 v24, s0, v23
	v_lshl_add_u32 v47, v1, 7, 0x4a40
	v_add_nc_u32_e32 v3, v3, v7
	v_and_b32_e32 v18, 4, v4
	v_mul_i32_i24_e32 v17, s17, v16
	v_add_nc_u32_e32 v26, s0, v24
	v_xor_b32_e32 v27, 64, v16
	v_mul_hi_u32 v3, v30, v3
	v_lshl_or_b32 v16, v16, 4, v19
	v_and_b32_e32 v5, 60, v5
	v_cndmask_b32_e64 v42, 0, v18, s1
	v_add_nc_u32_e32 v18, s0, v26
	v_lshrrev_b32_e32 v48, 3, v0
	v_add_nc_u32_e32 v7, 32, v0
	v_add3_u32 v45, v16, v5, 0x4200
	v_and_b32_e32 v5, 31, v0
	v_lshrrev_b32_e32 v22, 1, v27
	v_lshl_or_b32 v19, v27, 4, v19
	v_mul_i32_i24_e32 v16, s17, v27
	v_mul_lo_u32 v27, v3, s2
	v_add_nc_u32_e32 v14, s0, v18
	v_lshl_add_u32 v49, v5, 2, v47
	v_add_nc_u32_e32 v5, v48, v4
	v_lshrrev_b32_e32 v50, 3, v7
	v_lshrrev_b32_e32 v2, 5, v0
	v_add_nc_u32_e32 v28, s0, v14
	s_load_dwordx4 s[4:7], s[4:5], 0x0
	v_lshl_add_u32 v52, v5, 2, 0x4200
	v_lshl_add_u32 v5, v7, 2, v50
	v_sub_nc_u32_e32 v27, v30, v27
	v_add_nc_u32_e32 v29, s0, v28
	v_add_nc_u32_e32 v30, 1, v3
	v_lshlrev_b32_e32 v31, 2, v2
	v_lshl_add_u32 v54, v5, 2, 0x4200
	v_subrev_nc_u32_e32 v5, s2, v27
	v_cmp_le_u32_e64 s0, s2, v27
	v_and_b32_e32 v7, 60, v50
	v_add3_u32 v53, v4, v31, 0x4e40
	v_xor_b32_e32 v31, s11, v32
	s_mul_i32 s20, s17, s16
	v_cndmask_b32_e64 v3, v3, v30, s0
	v_cndmask_b32_e64 v5, v27, v5, s0
	v_add3_u32 v55, v4, v7, 0x4e40
	v_add_nc_u32_e32 v7, 64, v0
	v_add_nc_u32_e32 v30, 0x60, v0
	;; [unrolled: 1-line block ×3, first 2 shown]
	v_cmp_le_u32_e64 s0, s2, v5
	v_ashrrev_i32_e32 v31, 31, v31
	v_lshrrev_b32_e32 v56, 3, v7
	v_lshrrev_b32_e32 v57, 3, v30
	s_mul_hi_i32 s15, s20, 0x90
	v_cndmask_b32_e64 v3, v3, v27, s0
	s_mul_i32 s14, s20, 0x90
	v_lshl_add_u32 v5, v7, 2, v56
	v_and_b32_e32 v7, 60, v56
	v_mul_i32_i24_e32 v21, s17, v1
	v_xor_b32_e32 v56, v3, v31
	v_mad_u64_u32 v[2:3], null, 0x90, v2, s[14:15]
	v_and_b32_e32 v22, 60, v22
	v_lshl_add_u32 v27, v30, 2, v57
	v_and_b32_e32 v30, 60, v57
	v_and_b32_e32 v13, 0x7c, v4
	v_mad_u32_u24 v33, 0x84, v1, v4
	v_add3_u32 v46, v19, v22, 0x4200
	v_add_nc_u32_e32 v19, 0x5050, v4
	v_and_b32_e32 v22, 28, v4
	v_sub_nc_u32_e32 v31, v56, v31
	v_lshl_add_u32 v56, v5, 2, 0x4200
	v_add3_u32 v57, v4, v7, 0x4e40
	v_add3_u32 v59, v4, v30, 0x4e40
	v_mad_u64_u32 v[4:5], null, 0x90, v21, v[2:3]
	s_waitcnt lgkmcnt(0)
	v_add_co_u32 v21, s2, s6, v22
	v_add_co_ci_u32_e64 v22, null, s7, 0, s2
	v_mad_u64_u32 v[6:7], null, 0x90, v6, v[2:3]
	v_add_co_u32 v4, s2, v4, v13
	v_add_co_ci_u32_e64 v5, null, 0, v5, s2
	v_lshl_add_u32 v58, v27, 2, 0x4200
	v_add_co_u32 v27, s2, s4, v4
	v_add_co_ci_u32_e64 v30, null, s5, v5, s2
	v_mad_u64_u32 v[4:5], null, 0x90, v8, v[2:3]
	v_add_co_u32 v6, s2, v6, v13
	v_add_co_ci_u32_e64 v7, null, 0, v7, s2
	v_add_co_u32 v61, s2, v27, 16
	v_add_co_ci_u32_e64 v62, null, 0, v30, s2
	;; [unrolled: 2-line block ×4, first 2 shown]
	v_mad_u64_u32 v[4:5], null, 0x90, v10, v[2:3]
	v_add_co_u32 v63, s2, v6, 16
	v_add_co_ci_u32_e64 v64, null, 0, v7, s2
	v_add_co_u32 v6, s2, s4, v8
	v_add_co_ci_u32_e64 v7, null, s5, v27, s2
	v_add_co_u32 v8, s2, v4, v13
	v_add_co_ci_u32_e64 v10, null, 0, v5, s2
	v_mad_u64_u32 v[4:5], null, 0x90, v12, v[2:3]
	v_add_co_u32 v65, s2, v6, 16
	v_add_co_ci_u32_e64 v66, null, 0, v7, s2
	v_add_co_u32 v6, s2, s4, v8
	v_add_co_ci_u32_e64 v7, null, s5, v10, s2
	v_add_co_u32 v8, s2, v4, v13
	v_add_co_ci_u32_e64 v10, null, 0, v5, s2
	;; [unrolled: 7-line block ×11, first 2 shown]
	v_mad_u64_u32 v[4:5], null, 0x90, v29, v[2:3]
	v_add_co_u32 v85, s2, v6, 16
	s_mul_i32 s21, s17, 0x78
	v_add_co_ci_u32_e64 v86, null, 0, v7, s2
	v_add_co_u32 v6, s2, s4, v8
	v_lshlrev_b32_e32 v51, 4, v1
	v_mad_i32_i24 v1, s17, v1, s21
	v_add_co_ci_u32_e64 v7, null, s5, v10, s2
	v_add_co_u32 v4, s2, v4, v13
	v_add_co_ci_u32_e64 v5, null, 0, v5, s2
	v_mad_u64_u32 v[1:2], null, 0x90, v1, v[2:3]
	v_add_co_u32 v4, s2, s4, v4
	v_add_co_ci_u32_e64 v5, null, s5, v5, s2
	v_add_co_u32 v87, s2, v6, 16
	v_add_co_ci_u32_e64 v88, null, 0, v7, s2
	;; [unrolled: 2-line block ×4, first 2 shown]
	v_mad_u64_u32 v[1:2], null, 0x90, v17, 0
	v_add_co_u32 v3, s2, s4, v3
	v_add_co_ci_u32_e64 v4, null, s5, v4, s2
	v_cndmask_b32_e64 v5, 0, 1, s1
	v_add_co_u32 v91, s1, v3, 16
	v_add_co_ci_u32_e64 v92, null, 0, v4, s1
	v_mad_u64_u32 v[3:4], null, 0x90, v16, 0
	v_add_co_u32 v1, s1, s14, v1
	v_lshlrev_b32_e32 v5, 2, v5
	v_lshlrev_b32_e32 v7, 2, v9
	v_add_co_ci_u32_e64 v2, null, s15, v2, s1
	v_add_co_u32 v3, s1, s14, v3
	v_or_b32_e32 v6, v1, v5
	v_add_co_ci_u32_e64 v4, null, s15, v4, s1
	v_add_co_u32 v1, s1, v1, v7
	v_add_co_ci_u32_e64 v8, null, 0, v2, s1
	v_add_co_u32 v6, s1, s4, v6
	;; [unrolled: 2-line block ×5, first 2 shown]
	v_or_b32_e32 v1, v3, v5
	v_cmp_gt_u32_e32 vcc_lo, 4, v0
	v_cmp_gt_i32_e64 s0, s8, v31
	v_add_co_ci_u32_e64 v96, null, 0, v8, s1
	v_add_co_u32 v2, s1, v3, v7
	v_add_co_ci_u32_e64 v3, null, 0, v4, s1
	v_add_co_u32 v1, s1, s4, v1
	v_mul_lo_u32 v60, v31, s9
	s_ashr_i32 s19, s18, 31
	s_and_b32 s20, vcc_lo, s0
	v_add_co_ci_u32_e64 v4, null, s5, v4, s1
	v_add_co_u32 v2, s1, s4, v2
	s_add_u32 s22, s4, s14
	s_addc_u32 s23, s5, s15
	v_add_co_ci_u32_e64 v3, null, s5, v3, s1
	v_mul_u32_u24_e32 v107, 0x84, v0
	v_add_co_u32 v97, s1, v1, 4
	v_mad_u64_u32 v[24:25], null, 0x90, v25, s[22:23]
	v_add_co_ci_u32_e64 v98, null, 0, v4, s1
	v_add_co_u32 v99, s1, v2, 4
	v_mov_b32_e32 v118, 0
	v_add_nc_u32_e32 v34, 0x840, v33
	v_add_nc_u32_e32 v35, 0xc60, v33
	;; [unrolled: 1-line block ×8, first 2 shown]
	v_add_co_ci_u32_e64 v100, null, 0, v3, s1
	v_add_nc_u32_e32 v101, v19, v51
	v_add_nc_u32_e32 v102, 0x2940, v33
	;; [unrolled: 1-line block ×7, first 2 shown]
	v_ashrrev_i32_e32 v109, 31, v60
	v_add_nc_u32_e32 v110, 0x1080, v107
	v_add_nc_u32_e32 v111, 0x1088, v107
	;; [unrolled: 1-line block ×7, first 2 shown]
	v_mov_b32_e32 v117, v0
	v_mov_b32_e32 v120, 0
	;; [unrolled: 1-line block ×4, first 2 shown]
	s_movk_i32 s2, 0x80
	s_branch .LBB191_6
.LBB191_4:                              ;   in Loop: Header=BB191_6 Depth=1
	s_or_b32 exec_lo, exec_lo, s4
	s_waitcnt lgkmcnt(0)
	s_barrier
	buffer_gl0_inv
	ds_read2_b32 v[28:29], v107 offset0:16 offset1:17
	ds_read_b128 v[17:20], v47
	ds_read_b128 v[9:12], v47 offset:16
	ds_read2_b32 v[30:31], v107 offset0:18 offset1:19
	ds_read_b128 v[13:16], v47 offset:32
	ds_read_b128 v[5:8], v47 offset:48
	ds_read_b32 v121, v53
	v_mov_b32_e32 v127, 0
	ds_read2_b32 v[124:125], v107 offset0:20 offset1:21
	ds_read2_b32 v[26:27], v52 offset0:1 offset1:3
	v_add_nc_u32_e32 v122, 0x10c0, v107
	v_mov_b32_e32 v128, 0
	ds_read_b128 v[1:4], v51 offset:20560
	ds_read2_b32 v[130:131], v107 offset0:22 offset1:23
	ds_read2_b32 v[132:133], v107 offset0:24 offset1:25
	v_add_nc_u32_e32 v123, 0x10c8, v107
	v_mov_b32_e32 v129, 0
	v_add_nc_u32_e32 v126, 0x10d0, v107
	v_add_nc_u32_e32 v138, 0x2140, v107
	v_mov_b32_e32 v151, 0
	v_mov_b32_e32 v153, 0
	v_add_nc_u32_e32 v148, 0x31c0, v107
	s_waitcnt lgkmcnt(11)
	v_and_b32_e32 v134, 0xf0f0f0f, v28
	v_and_b32_e32 v136, 0xf0f0f0f, v29
	v_lshrrev_b32_e32 v28, 4, v28
	v_lshrrev_b32_e32 v29, 4, v29
	v_mov_b32_e32 v155, 0
	s_waitcnt lgkmcnt(10)
	v_dot4c_i32_i8 v127, v134, v17
	ds_read2_b32 v[134:135], v122 offset1:1
	s_waitcnt lgkmcnt(9)
	v_and_b32_e32 v122, 0xf0f0f0f, v30
	v_and_b32_e32 v28, 0xf0f0f0f, v28
	v_lshrrev_b32_e32 v30, 4, v30
	v_dot4c_i32_i8 v127, v136, v18
	v_and_b32_e32 v136, 0xf0f0f0f, v31
	v_and_b32_e32 v29, 0xf0f0f0f, v29
	s_waitcnt lgkmcnt(8)
	v_dot4c_i32_i8 v128, v28, v13
	s_waitcnt lgkmcnt(5)
	v_and_b32_e32 v28, 0xf0f0f0f, v124
	v_dot4c_i32_i8 v127, v122, v19
	v_lshrrev_b32_e32 v31, 4, v31
	v_and_b32_e32 v30, 0xf0f0f0f, v30
	v_dot4c_i32_i8 v128, v29, v14
	v_and_b32_e32 v122, 0xf0f0f0f, v125
	v_dot4c_i32_i8 v127, v136, v20
	v_and_b32_e32 v31, 0xf0f0f0f, v31
	v_lshrrev_b32_e32 v124, 4, v124
	v_dot4c_i32_i8 v128, v30, v15
	s_waitcnt lgkmcnt(2)
	v_and_b32_e32 v30, 0xf0f0f0f, v130
	v_dot4c_i32_i8 v127, v28, v9
	ds_read2_b32 v[28:29], v123 offset1:1
	v_and_b32_e32 v136, 0xf0f0f0f, v124
	v_dot4c_i32_i8 v128, v31, v16
	s_waitcnt lgkmcnt(1)
	v_and_b32_e32 v31, 0xf0f0f0f, v134
	v_dot4c_i32_i8 v127, v122, v10
	ds_read_b32 v122, v55 offset:128
	ds_read_b32 v123, v57 offset:256
	;; [unrolled: 1-line block ×3, first 2 shown]
	v_lshrrev_b32_e32 v125, 4, v125
	v_dot4c_i32_i8 v128, v136, v5
	v_dot4c_i32_i8 v129, v31, v17
	;; [unrolled: 1-line block ×3, first 2 shown]
	ds_read2_b32 v[30:31], v126 offset1:1
	v_and_b32_e32 v136, 0xf0f0f0f, v135
	v_add_nc_u32_e32 v126, 0x10d8, v107
	v_and_b32_e32 v125, 0xf0f0f0f, v125
	v_lshrrev_b32_e32 v130, 4, v130
	v_and_b32_e32 v140, 0xf0f0f0f, v131
	v_dot4c_i32_i8 v129, v136, v18
	ds_read2_b32 v[136:137], v126 offset1:1
	ds_read2_b32 v[138:139], v138 offset1:1
	v_dot4c_i32_i8 v128, v125, v6
	v_and_b32_e32 v125, 0xf0f0f0f, v130
	s_waitcnt lgkmcnt(6)
	v_and_b32_e32 v126, 0xf0f0f0f, v28
	v_lshrrev_b32_e32 v130, 4, v131
	v_lshrrev_b32_e32 v131, 4, v134
	;; [unrolled: 1-line block ×3, first 2 shown]
	v_dot4c_i32_i8 v128, v125, v7
	v_dot4c_i32_i8 v129, v126, v19
	v_and_b32_e32 v126, 0xf0f0f0f, v29
	v_and_b32_e32 v125, 0xf0f0f0f, v130
	;; [unrolled: 1-line block ×3, first 2 shown]
	v_lshrrev_b32_e32 v131, 4, v135
	v_and_b32_e32 v28, 0xf0f0f0f, v28
	v_dot4c_i32_i8 v129, v126, v20
	s_waitcnt lgkmcnt(2)
	v_and_b32_e32 v126, 0xf0f0f0f, v30
	v_dot4c_i32_i8 v128, v125, v8
	v_and_b32_e32 v125, 0xf0f0f0f, v31
	v_dot4c_i32_i8 v151, v130, v13
	s_waitcnt lgkmcnt(1)
	v_and_b32_e32 v142, 0xf0f0f0f, v136
	v_dot4c_i32_i8 v129, v126, v9
	v_and_b32_e32 v126, 0xf0f0f0f, v131
	v_lshrrev_b32_e32 v29, 4, v29
	v_lshrrev_b32_e32 v30, 4, v30
	v_dot4c_i32_i8 v127, v140, v12
	v_dot4c_i32_i8 v129, v125, v10
	;; [unrolled: 1-line block ×3, first 2 shown]
	v_and_b32_e32 v126, 0xf0f0f0f, v29
	ds_read2_b32 v[130:131], v107 offset0:26 offset1:27
	ds_read2_b32 v[134:135], v107 offset0:28 offset1:29
	;; [unrolled: 1-line block ×3, first 2 shown]
	v_and_b32_e32 v30, 0xf0f0f0f, v30
	v_dot4c_i32_i8 v129, v142, v11
	v_dot4c_i32_i8 v151, v28, v15
	v_add_nc_u32_e32 v142, 0x2148, v107
	v_and_b32_e32 v144, 0xf0f0f0f, v137
	v_lshrrev_b32_e32 v31, 4, v31
	ds_read2_b32 v[28:29], v54 offset0:1 offset1:3
	v_dot4c_i32_i8 v151, v126, v16
	ds_read2_b32 v[142:143], v142 offset1:1
	v_dot4c_i32_i8 v129, v144, v12
	s_waitcnt lgkmcnt(5)
	v_and_b32_e32 v126, 0xf0f0f0f, v138
	v_and_b32_e32 v31, 0xf0f0f0f, v31
	v_dot4c_i32_i8 v151, v30, v5
	v_add_nc_u32_e32 v30, 0x2150, v107
	v_lshrrev_b32_e32 v136, 4, v136
	v_dot4c_i32_i8 v153, v126, v17
	v_and_b32_e32 v126, 0xf0f0f0f, v139
	v_dot4c_i32_i8 v151, v31, v6
	ds_read2_b32 v[144:145], v30 offset1:1
	v_add_nc_u32_e32 v30, 0x2158, v107
	ds_read2_b32 v[146:147], v30 offset1:1
	ds_read2_b32 v[148:149], v148 offset1:1
	v_dot4c_i32_i8 v153, v126, v18
	v_lshrrev_b32_e32 v126, 4, v138
	v_and_b32_e32 v31, 0xf0f0f0f, v136
	s_waitcnt lgkmcnt(3)
	v_and_b32_e32 v30, 0xf0f0f0f, v142
	v_lshrrev_b32_e32 v136, 4, v139
	v_add_nc_u32_e32 v139, 0x31c8, v107
	v_and_b32_e32 v126, 0xf0f0f0f, v126
	v_dot4c_i32_i8 v151, v31, v7
	v_dot4c_i32_i8 v153, v30, v19
	v_and_b32_e32 v30, 0xf0f0f0f, v143
	v_lshrrev_b32_e32 v31, 4, v137
	v_dot4c_i32_i8 v155, v126, v13
	v_and_b32_e32 v126, 0xf0f0f0f, v136
	v_lshrrev_b32_e32 v136, 4, v142
	v_dot4c_i32_i8 v153, v30, v20
	s_waitcnt lgkmcnt(2)
	v_and_b32_e32 v30, 0xf0f0f0f, v144
	v_lshrrev_b32_e32 v137, 4, v143
	v_dot4c_i32_i8 v155, v126, v14
	v_and_b32_e32 v136, 0xf0f0f0f, v136
	v_and_b32_e32 v138, 0xf0f0f0f, v145
	v_dot4c_i32_i8 v153, v30, v9
	v_lshrrev_b32_e32 v143, 4, v145
	v_and_b32_e32 v31, 0xf0f0f0f, v31
	v_dot4c_i32_i8 v155, v136, v15
	v_and_b32_e32 v136, 0xf0f0f0f, v137
	v_lshrrev_b32_e32 v137, 4, v144
	v_dot4c_i32_i8 v153, v138, v10
	s_waitcnt lgkmcnt(1)
	v_and_b32_e32 v138, 0xf0f0f0f, v146
	v_mov_b32_e32 v144, 0
	v_dot4c_i32_i8 v155, v136, v16
	v_and_b32_e32 v142, 0xf0f0f0f, v137
	ds_read2_b32 v[136:137], v139 offset1:1
	v_dot4c_i32_i8 v153, v138, v11
	v_and_b32_e32 v138, 0xf0f0f0f, v147
	v_and_b32_e32 v139, 0xf0f0f0f, v143
	v_dot4c_i32_i8 v155, v142, v5
	s_waitcnt lgkmcnt(1)
	v_and_b32_e32 v142, 0xf0f0f0f, v148
	v_lshrrev_b32_e32 v148, 4, v148
	v_dot4c_i32_i8 v153, v138, v12
	v_add_nc_u32_e32 v138, 0x31d0, v107
	v_dot4c_i32_i8 v155, v139, v6
	v_dot4c_i32_i8 v144, v142, v17
	v_and_b32_e32 v17, 0xf0f0f0f, v149
	v_add_nc_u32_e32 v142, 0x31d8, v107
	ds_read2_b32 v[138:139], v138 offset1:1
	v_add_nc_u32_e32 v143, 0x10e0, v107
	v_and_b32_e32 v148, 0xf0f0f0f, v148
	v_dot4c_i32_i8 v144, v17, v18
	v_mov_b32_e32 v158, 0
	v_lshrrev_b32_e32 v149, 4, v149
	v_dot4c_i32_i8 v151, v31, v8
	s_waitcnt lgkmcnt(1)
	v_and_b32_e32 v157, 0xf0f0f0f, v136
	ds_read2_b32 v[30:31], v56 offset0:1 offset1:3
	ds_read2_b32 v[17:18], v142 offset1:1
	ds_read2_b32 v[142:143], v143 offset1:1
	v_dot4c_i32_i8 v158, v148, v13
	v_and_b32_e32 v13, 0xf0f0f0f, v149
	v_dot4c_i32_i8 v144, v157, v19
	v_and_b32_e32 v19, 0xf0f0f0f, v137
	v_lshrrev_b32_e32 v136, 4, v136
	v_lshrrev_b32_e32 v146, 4, v146
	v_dot4c_i32_i8 v158, v13, v14
	v_lshrrev_b32_e32 v14, 4, v137
	v_dot4c_i32_i8 v144, v19, v20
	v_and_b32_e32 v13, 0xf0f0f0f, v136
	s_waitcnt lgkmcnt(3)
	v_and_b32_e32 v19, 0xf0f0f0f, v138
	v_cvt_f32_ubyte0_e32 v150, v27
	v_and_b32_e32 v146, 0xf0f0f0f, v146
	v_cvt_f32_ubyte1_e32 v152, v27
	v_dot4c_i32_i8 v158, v13, v15
	v_dot4c_i32_i8 v144, v19, v9
	v_and_b32_e32 v9, 0xf0f0f0f, v139
	v_and_b32_e32 v13, 0xf0f0f0f, v14
	v_lshrrev_b32_e32 v14, 4, v138
	v_dot4c_i32_i8 v155, v146, v7
	v_cvt_f32_f16_sdwa v125, v121 dst_sel:DWORD dst_unused:UNUSED_PAD src0_sel:WORD_1
	v_dot4c_i32_i8 v144, v9, v10
	v_dot4c_i32_i8 v158, v13, v16
	v_and_b32_e32 v10, 0xf0f0f0f, v14
	v_lshrrev_b32_e32 v13, 4, v139
	s_waitcnt lgkmcnt(1)
	v_and_b32_e32 v9, 0xf0f0f0f, v17
	v_lshrrev_b32_e32 v20, 4, v147
	ds_read2_b32 v[136:137], v58 offset0:1 offset1:3
	v_dot4c_i32_i8 v158, v10, v5
	v_and_b32_e32 v5, 0xff, v26
	v_and_b32_e32 v10, 0xf0f0f0f, v13
	v_bfe_u32 v13, v26, 8, 8
	v_dot4c_i32_i8 v144, v9, v11
	v_lshrrev_b32_e32 v11, 4, v17
	v_mul_lo_u32 v5, v127, v5
	v_dot4c_i32_i8 v158, v10, v6
	v_mul_lo_u32 v10, v128, v13
	v_and_b32_e32 v9, 0xf0f0f0f, v18
	v_and_b32_e32 v6, 0xf0f0f0f, v11
	;; [unrolled: 1-line block ×3, first 2 shown]
	v_cvt_f32_ubyte0_e32 v154, v29
	v_cvt_f32_ubyte1_e32 v156, v29
	v_cvt_f32_i32_e32 v5, v5
	v_dot4c_i32_i8 v158, v6, v7
	v_fma_mix_f32 v6, v1, v150, 0 op_sel:[1,0,0] op_sel_hi:[1,0,0]
	v_lshrrev_b32_e32 v7, 4, v18
	v_dot4c_i32_i8 v144, v9, v12
	v_cvt_f32_i32_e32 v9, v10
	v_and_b32_e32 v10, 0xff, v28
	v_fma_mix_f32 v5, v1, v5, 0 op_sel_hi:[1,0,0]
	v_fma_mix_f32 v6, v2, v152, v6 op_sel:[1,0,0] op_sel_hi:[1,0,0]
	v_and_b32_e32 v7, 0xf0f0f0f, v7
	v_bfe_u32 v12, v28, 8, 8
	v_mul_lo_u32 v10, v129, v10
	v_fma_mix_f32 v5, v2, v9, v5 op_sel_hi:[1,0,0]
	v_mul_f32_e32 v6, v6, v125
	v_dot4c_i32_i8 v158, v7, v8
	v_and_b32_e32 v7, 0xff, v30
	v_mul_lo_u32 v9, v151, v12
	v_dot4c_i32_i8 v155, v15, v8
	v_fma_mix_f32 v5, v5, v121, -v6 op_sel_hi:[0,1,0]
	v_cvt_f32_i32_e32 v6, v10
	v_bfe_u32 v10, v30, 8, 8
	v_mul_lo_u32 v7, v153, v7
	v_fma_mix_f32 v8, v1, v154, 0 op_sel:[1,0,0] op_sel_hi:[1,0,0]
	v_cvt_f32_ubyte0_e32 v145, v31
	v_cvt_f32_f16_sdwa v126, v122 dst_sel:DWORD dst_unused:UNUSED_PAD src0_sel:WORD_1
	v_mul_lo_u32 v10, v155, v10
	v_cvt_f32_i32_e32 v9, v9
	v_fma_mix_f32 v6, v1, v6, 0 op_sel_hi:[1,0,0]
	v_fma_mix_f32 v8, v2, v156, v8 op_sel:[1,0,0] op_sel_hi:[1,0,0]
	v_cvt_f32_ubyte1_e32 v11, v31
	v_cvt_f32_i32_e32 v12, v7
	v_fma_mix_f32 v13, v1, v145, 0 op_sel:[1,0,0] op_sel_hi:[1,0,0]
	v_add_f32_e32 v146, v118, v5
	v_fma_mix_f32 v9, v2, v9, v6 op_sel_hi:[1,0,0]
	v_mul_f32_e32 v14, v8, v126
	ds_read_b128 v[5:8], v47 offset:64
	v_cvt_f32_i32_e32 v10, v10
	v_fma_mix_f32 v12, v1, v12, 0 op_sel_hi:[1,0,0]
	v_fma_mix_f32 v11, v2, v11, v13 op_sel:[1,0,0] op_sel_hi:[1,0,0]
	s_waitcnt lgkmcnt(1)
	v_and_b32_e32 v13, 0xff, v136
	v_cvt_f32_f16_sdwa v138, v123 dst_sel:DWORD dst_unused:UNUSED_PAD src0_sel:WORD_1
	v_fma_mix_f32 v9, v9, v122, -v14 op_sel_hi:[0,1,0]
	v_fma_mix_f32 v10, v2, v10, v12 op_sel_hi:[1,0,0]
	v_and_b32_e32 v19, 0xf0f0f0f, v132
	v_mul_lo_u32 v12, v144, v13
	v_mul_f32_e32 v11, v11, v138
	v_add_f32_e32 v120, v120, v9
	v_bfe_u32 v9, v136, 8, 8
	v_mov_b32_e32 v147, 0
	v_cvt_f32_ubyte0_e32 v17, v137
	v_fma_mix_f32 v18, v10, v123, -v11 op_sel_hi:[0,1,0]
	v_and_b32_e32 v127, 0xf0f0f0f, v131
	v_mul_lo_u32 v20, v158, v9
	v_cvt_f32_i32_e32 v118, v12
	ds_read_b128 v[9:12], v47 offset:80
	ds_read_b128 v[13:16], v47 offset:96
	s_waitcnt lgkmcnt(2)
	v_dot4c_i32_i8 v147, v19, v5
	v_and_b32_e32 v19, 0xf0f0f0f, v133
	v_add_f32_e32 v148, v119, v18
	v_mov_b32_e32 v150, 0
	v_lshrrev_b32_e32 v129, 4, v133
	v_cvt_f32_i32_e32 v18, v20
	v_fma_mix_f32 v20, v1, v118, 0 op_sel_hi:[1,0,0]
	v_dot4c_i32_i8 v147, v19, v6
	v_and_b32_e32 v19, 0xf0f0f0f, v130
	v_fma_mix_f32 v1, v1, v17, 0 op_sel:[1,0,0] op_sel_hi:[1,0,0]
	v_lshrrev_b32_e32 v17, 4, v132
	v_cvt_f32_ubyte1_e32 v119, v137
	v_fma_mix_f32 v118, v2, v18, v20 op_sel_hi:[1,0,0]
	v_dot4c_i32_i8 v147, v19, v7
	v_cvt_f32_f16_sdwa v151, v124 dst_sel:DWORD dst_unused:UNUSED_PAD src0_sel:WORD_1
	v_and_b32_e32 v128, 0xf0f0f0f, v17
	ds_read_b128 v[17:20], v47 offset:112
	v_fma_mix_f32 v1, v2, v119, v1 op_sel:[1,0,0] op_sel_hi:[1,0,0]
	v_dot4c_i32_i8 v147, v127, v8
	v_and_b32_e32 v127, 0xf0f0f0f, v134
	s_waitcnt lgkmcnt(1)
	v_dot4c_i32_i8 v150, v128, v13
	v_and_b32_e32 v128, 0xf0f0f0f, v129
	v_lshrrev_b32_e32 v129, 4, v130
	v_and_b32_e32 v2, 0xf0f0f0f, v135
	v_dot4c_i32_i8 v147, v127, v9
	v_lshrrev_b32_e32 v127, 4, v131
	v_dot4c_i32_i8 v150, v128, v14
	v_and_b32_e32 v119, 0xf0f0f0f, v129
	v_mul_f32_e32 v1, v1, v151
	v_dot4c_i32_i8 v147, v2, v10
	v_and_b32_e32 v2, 0xf0f0f0f, v140
	v_lshrrev_b32_e32 v128, 4, v135
	v_dot4c_i32_i8 v150, v119, v15
	v_and_b32_e32 v119, 0xf0f0f0f, v127
	v_lshrrev_b32_e32 v127, 4, v134
	v_dot4c_i32_i8 v147, v2, v11
	v_and_b32_e32 v2, 0xf0f0f0f, v141
	v_fma_mix_f32 v135, v118, v124, -v1 op_sel_hi:[0,1,0]
	v_dot4c_i32_i8 v150, v119, v16
	v_add_nc_u32_e32 v119, 0x10e8, v107
	v_and_b32_e32 v127, 0xf0f0f0f, v127
	v_dot4c_i32_i8 v147, v2, v12
	v_and_b32_e32 v118, 0xf0f0f0f, v128
	v_add_nc_u32_e32 v128, 0x10f0, v107
	ds_read2_b32 v[1:2], v119 offset1:1
	s_waitcnt lgkmcnt(1)
	v_dot4c_i32_i8 v150, v127, v17
	v_lshrrev_b32_e32 v119, 4, v140
	v_and_b32_e32 v127, 0xf0f0f0f, v142
	v_mov_b32_e32 v140, 0
	v_lshrrev_b32_e32 v131, 4, v142
	v_dot4c_i32_i8 v150, v118, v18
	v_and_b32_e32 v129, 0xf0f0f0f, v119
	ds_read2_b32 v[118:119], v128 offset1:1
	v_dot4c_i32_i8 v140, v127, v5
	v_and_b32_e32 v127, 0xf0f0f0f, v143
	v_add_nc_u32_e32 v128, 0x10f8, v107
	v_lshrrev_b32_e32 v133, 4, v141
	v_and_b32_e32 v131, 0xf0f0f0f, v131
	v_mov_b32_e32 v141, 0
	v_dot4c_i32_i8 v140, v127, v6
	v_lshrrev_b32_e32 v134, 4, v143
	v_add_nc_u32_e32 v130, 0x2160, v107
	v_dot4c_i32_i8 v150, v129, v19
	ds_read2_b32 v[127:128], v128 offset1:1
	ds_read2_b32 v[129:130], v130 offset1:1
	s_waitcnt lgkmcnt(3)
	v_and_b32_e32 v132, 0xf0f0f0f, v1
	v_dot4c_i32_i8 v141, v131, v13
	v_and_b32_e32 v131, 0xf0f0f0f, v134
	v_lshrrev_b32_e32 v1, 4, v1
	v_and_b32_e32 v133, 0xf0f0f0f, v133
	v_dot4c_i32_i8 v140, v132, v7
	v_and_b32_e32 v132, 0xf0f0f0f, v2
	v_dot4c_i32_i8 v141, v131, v14
	v_and_b32_e32 v1, 0xf0f0f0f, v1
	v_lshrrev_b32_e32 v2, 4, v2
	v_dot4c_i32_i8 v150, v133, v20
	v_dot4c_i32_i8 v140, v132, v8
	s_waitcnt lgkmcnt(2)
	v_and_b32_e32 v132, 0xf0f0f0f, v118
	v_dot4c_i32_i8 v141, v1, v15
	v_and_b32_e32 v133, 0xf0f0f0f, v2
	v_lshrrev_b32_e32 v118, 4, v118
	v_and_b32_e32 v131, 0xf0f0f0f, v119
	v_dot4c_i32_i8 v140, v132, v9
	v_add_nc_u32_e32 v132, 0x2168, v107
	v_dot4c_i32_i8 v141, v133, v16
	v_and_b32_e32 v118, 0xf0f0f0f, v118
	v_mov_b32_e32 v142, 0
	v_dot4c_i32_i8 v140, v131, v10
	ds_read2_b32 v[1:2], v132 offset1:1
	v_add_nc_u32_e32 v132, 0x2170, v107
	s_waitcnt lgkmcnt(1)
	v_and_b32_e32 v131, 0xf0f0f0f, v129
	v_dot4c_i32_i8 v141, v118, v17
	v_lshrrev_b32_e32 v133, 4, v119
	v_add_nc_u32_e32 v134, 0x31e0, v107
	ds_read2_b32 v[118:119], v132 offset1:1
	v_dot4c_i32_i8 v142, v131, v5
	v_and_b32_e32 v131, 0xf0f0f0f, v130
	v_add_nc_u32_e32 v132, 0x2178, v107
	v_and_b32_e32 v143, 0xf0f0f0f, v127
	v_and_b32_e32 v153, 0xf0f0f0f, v133
	v_lshrrev_b32_e32 v127, 4, v127
	v_dot4c_i32_i8 v142, v131, v6
	ds_read2_b32 v[131:132], v132 offset1:1
	ds_read2_b32 v[133:134], v134 offset1:1
	v_lshrrev_b32_e32 v129, 4, v129
	v_dot4c_i32_i8 v141, v153, v18
	v_and_b32_e32 v127, 0xf0f0f0f, v127
	v_dot4c_i32_i8 v140, v143, v11
	v_and_b32_e32 v143, 0xf0f0f0f, v128
	s_waitcnt lgkmcnt(3)
	v_and_b32_e32 v154, 0xf0f0f0f, v1
	v_and_b32_e32 v153, 0xf0f0f0f, v2
	v_dot4c_i32_i8 v141, v127, v19
	v_lshrrev_b32_e32 v128, 4, v128
	v_and_b32_e32 v129, 0xf0f0f0f, v129
	v_dot4c_i32_i8 v142, v154, v7
	s_waitcnt lgkmcnt(2)
	v_and_b32_e32 v127, 0xf0f0f0f, v118
	v_lshrrev_b32_e32 v130, 4, v130
	v_and_b32_e32 v128, 0xf0f0f0f, v128
	v_lshrrev_b32_e32 v1, 4, v1
	v_dot4c_i32_i8 v142, v153, v8
	v_mov_b32_e32 v153, 0
	v_lshrrev_b32_e32 v2, 4, v2
	v_dot4c_i32_i8 v141, v128, v20
	v_and_b32_e32 v1, 0xf0f0f0f, v1
	v_dot4c_i32_i8 v142, v127, v9
	v_and_b32_e32 v127, 0xf0f0f0f, v119
	;; [unrolled: 2-line block ×3, first 2 shown]
	v_add_nc_u32_e32 v128, 0x31e8, v107
	v_lshrrev_b32_e32 v118, 4, v118
	v_dot4c_i32_i8 v142, v127, v10
	s_waitcnt lgkmcnt(1)
	v_and_b32_e32 v127, 0xf0f0f0f, v131
	v_dot4c_i32_i8 v153, v129, v14
	v_and_b32_e32 v129, 0xf0f0f0f, v2
	v_and_b32_e32 v118, 0xf0f0f0f, v118
	v_lshrrev_b32_e32 v119, 4, v119
	v_dot4c_i32_i8 v142, v127, v11
	v_and_b32_e32 v127, 0xf0f0f0f, v132
	v_dot4c_i32_i8 v153, v1, v15
	ds_read2_b32 v[1:2], v128 offset1:1
	v_mov_b32_e32 v128, 0
	v_and_b32_e32 v130, 0xf0f0f0f, v119
	v_dot4c_i32_i8 v142, v127, v12
	v_dot4c_i32_i8 v153, v129, v16
	s_waitcnt lgkmcnt(1)
	v_and_b32_e32 v127, 0xf0f0f0f, v133
	v_add_nc_u32_e32 v129, 0x31f0, v107
	v_lshrrev_b32_e32 v131, 4, v131
	v_lshrrev_b32_e32 v139, 24, v26
	v_dot4c_i32_i8 v153, v118, v17
	v_dot4c_i32_i8 v128, v127, v5
	ds_read2_b32 v[118:119], v129 offset1:1
	v_and_b32_e32 v5, 0xf0f0f0f, v134
	v_add_nc_u32_e32 v127, 0x31f8, v107
	v_dot4c_i32_i8 v153, v130, v18
	v_and_b32_e32 v130, 0xf0f0f0f, v131
	v_mov_b32_e32 v131, 0
	v_dot4c_i32_i8 v128, v5, v6
	ds_read2_b32 v[5:6], v127 offset1:1
	v_lshrrev_b32_e32 v129, 4, v133
	s_waitcnt lgkmcnt(2)
	v_and_b32_e32 v127, 0xf0f0f0f, v1
	v_lshrrev_b32_e32 v133, 4, v134
	v_lshrrev_b32_e32 v1, 4, v1
	v_dot4c_i32_i8 v140, v143, v12
	v_and_b32_e32 v129, 0xf0f0f0f, v129
	v_dot4c_i32_i8 v128, v127, v7
	v_and_b32_e32 v7, 0xf0f0f0f, v2
	v_and_b32_e32 v1, 0xf0f0f0f, v1
	v_lshrrev_b32_e32 v2, 4, v2
	v_dot4c_i32_i8 v131, v129, v13
	v_and_b32_e32 v13, 0xf0f0f0f, v133
	v_dot4c_i32_i8 v128, v7, v8
	s_waitcnt lgkmcnt(1)
	v_and_b32_e32 v7, 0xf0f0f0f, v118
	v_lshrrev_b32_e32 v145, 24, v28
	v_lshrrev_b32_e32 v127, 4, v132
	v_dot4c_i32_i8 v131, v13, v14
	v_dot4c_i32_i8 v153, v130, v19
	;; [unrolled: 1-line block ×3, first 2 shown]
	v_and_b32_e32 v7, 0xf0f0f0f, v119
	v_and_b32_e32 v8, 0xf0f0f0f, v127
	v_dot4c_i32_i8 v131, v1, v15
	v_and_b32_e32 v1, 0xf0f0f0f, v2
	v_lshrrev_b32_e32 v2, 4, v118
	v_dot4c_i32_i8 v128, v7, v10
	s_waitcnt lgkmcnt(0)
	v_and_b32_e32 v7, 0xf0f0f0f, v5
	v_bfe_u32 v10, v26, 16, 8
	v_dot4c_i32_i8 v131, v1, v16
	v_and_b32_e32 v1, 0xf0f0f0f, v2
	v_lshrrev_b32_e32 v2, 4, v119
	v_dot4c_i32_i8 v128, v7, v11
	v_and_b32_e32 v7, 0xf0f0f0f, v6
	v_lshrrev_b32_e32 v6, 4, v6
	;; [unrolled: 3-line block ×3, first 2 shown]
	v_mul_lo_u32 v5, v147, v10
	v_dot4c_i32_i8 v128, v7, v12
	v_bfe_u32 v7, v28, 16, 8
	v_dot4c_i32_i8 v131, v1, v18
	v_mul_lo_u32 v1, v150, v139
	v_and_b32_e32 v2, 0xf0f0f0f, v2
	v_mul_lo_u32 v11, v141, v145
	v_bfe_u32 v12, v136, 16, 8
	v_cvt_f32_i32_e32 v5, v5
	v_cvt_f32_ubyte2_e32 v152, v27
	v_dot4c_i32_i8 v131, v2, v19
	v_and_b32_e32 v2, 0xf0f0f0f, v6
	v_mul_lo_u32 v6, v140, v7
	v_cvt_f32_i32_e32 v1, v1
	v_fma_mix_f32 v5, v3, v5, 0 op_sel_hi:[1,0,0]
	v_lshrrev_b32_e32 v144, 24, v30
	v_lshrrev_b32_e32 v149, 24, v136
	v_dot4c_i32_i8 v153, v8, v20
	v_dot4c_i32_i8 v131, v2, v20
	v_fma_mix_f32 v1, v4, v1, v5 op_sel_hi:[1,0,0]
	v_cvt_f32_i32_e32 v5, v6
	v_bfe_u32 v6, v30, 16, 8
	v_cvt_f32_i32_e32 v11, v11
	v_mul_lo_u32 v12, v128, v12
	v_cvt_f32_ubyte3_e32 v27, v27
	v_fma_mix_f32 v5, v3, v5, 0 op_sel_hi:[1,0,0]
	v_mul_lo_u32 v6, v142, v6
	v_cvt_f32_ubyte2_e32 v143, v29
	v_cvt_f32_ubyte2_e32 v9, v31
	v_fma_mix_f32 v7, v3, v152, 0 op_sel:[1,0,0] op_sel_hi:[1,0,0]
	v_cvt_f32_ubyte2_e32 v10, v137
	v_mul_lo_u32 v13, v153, v144
	v_fma_mix_f32 v5, v4, v11, v5 op_sel_hi:[1,0,0]
	v_mul_lo_u32 v11, v131, v149
	v_cvt_f32_ubyte3_e32 v29, v29
	v_cvt_f32_ubyte3_e32 v8, v31
	v_fma_mix_f32 v2, v4, v27, v7 op_sel:[1,0,0] op_sel_hi:[1,0,0]
	v_fma_mix_f32 v7, v3, v143, 0 op_sel:[1,0,0] op_sel_hi:[1,0,0]
	;; [unrolled: 1-line block ×3, first 2 shown]
	v_cvt_f32_i32_e32 v6, v6
	v_cvt_f32_i32_e32 v12, v12
	v_fma_mix_f32 v10, v3, v10, 0 op_sel:[1,0,0] op_sel_hi:[1,0,0]
	v_cvt_f32_ubyte3_e32 v14, v137
	v_fma_mix_f32 v7, v4, v29, v7 op_sel:[1,0,0] op_sel_hi:[1,0,0]
	v_cvt_f32_i32_e32 v13, v13
	v_fma_mix_f32 v6, v3, v6, 0 op_sel_hi:[1,0,0]
	v_fma_mix_f32 v8, v4, v8, v9 op_sel:[1,0,0] op_sel_hi:[1,0,0]
	v_cvt_f32_i32_e32 v9, v11
	v_fma_mix_f32 v3, v3, v12, 0 op_sel_hi:[1,0,0]
	v_fma_mix_f32 v10, v4, v14, v10 op_sel:[1,0,0] op_sel_hi:[1,0,0]
	v_mul_f32_e32 v2, v2, v125
	v_mul_f32_e32 v7, v7, v126
	v_fma_mix_f32 v6, v4, v13, v6 op_sel_hi:[1,0,0]
	v_mul_f32_e32 v8, v8, v138
	v_fma_mix_f32 v3, v4, v9, v3 op_sel_hi:[1,0,0]
	v_mul_f32_e32 v4, v10, v151
	v_add_f32_e32 v9, v23, v135
	v_fma_mix_f32 v1, v1, v121, -v2 op_sel_hi:[0,1,0]
	v_fma_mix_f32 v2, v5, v122, -v7 op_sel_hi:[0,1,0]
	;; [unrolled: 1-line block ×4, first 2 shown]
	v_add_f32_e32 v118, v146, v1
	v_add_f32_e32 v120, v120, v2
	;; [unrolled: 1-line block ×4, first 2 shown]
	s_barrier
	buffer_gl0_inv
.LBB191_5:                              ;   in Loop: Header=BB191_6 Depth=1
	v_add_co_u32 v61, s1, 0x90, v61
	v_add_co_ci_u32_e64 v62, null, 0, v62, s1
	v_add_co_u32 v63, s1, 0x90, v63
	v_add_co_ci_u32_e64 v64, null, 0, v64, s1
	;; [unrolled: 2-line block ×20, first 2 shown]
	v_add_co_u32 v99, s1, 0x90, v99
	v_add_nc_u32_e32 v50, 8, v50
	v_add_nc_u32_e32 v48, 8, v48
	;; [unrolled: 1-line block ×3, first 2 shown]
	v_add_co_ci_u32_e64 v100, null, 0, v100, s1
	s_add_i32 s17, s17, -1
	s_addk_i32 s2, 0x100
	s_cmp_eq_u32 s17, 0
	s_cbranch_scc1 .LBB191_17
.LBB191_6:                              ; =>This Inner Loop Header: Depth=1
	v_add_co_u32 v1, s1, v61, s18
	v_add_co_ci_u32_e64 v2, null, s19, v62, s1
	v_add_co_u32 v3, s1, v63, s18
	v_add_co_ci_u32_e64 v4, null, s19, v64, s1
	;; [unrolled: 2-line block ×4, first 2 shown]
	global_load_dword v11, v[1:2], off
	global_load_dword v12, v[3:4], off
	global_load_dword v13, v[5:6], off
	global_load_dword v14, v[7:8], off
	v_add_co_u32 v1, s1, v69, s18
	v_add_co_ci_u32_e64 v2, null, s19, v70, s1
	v_add_co_u32 v3, s1, v71, s18
	v_add_co_ci_u32_e64 v4, null, s19, v72, s1
	;; [unrolled: 2-line block ×5, first 2 shown]
	global_load_dword v15, v[1:2], off
	global_load_dword v16, v[3:4], off
	;; [unrolled: 1-line block ×5, first 2 shown]
	v_add_co_u32 v1, s1, v79, s18
	v_add_co_ci_u32_e64 v2, null, s19, v80, s1
	v_add_co_u32 v3, s1, v81, s18
	v_add_co_ci_u32_e64 v4, null, s19, v82, s1
	;; [unrolled: 2-line block ×5, first 2 shown]
	global_load_dword v20, v[1:2], off
	global_load_dword v26, v[3:4], off
	;; [unrolled: 1-line block ×5, first 2 shown]
	v_add_co_u32 v1, s1, v95, s18
	v_add_co_ci_u32_e64 v2, null, s19, v96, s1
	v_add_co_u32 v3, s1, v93, s18
	v_add_co_ci_u32_e64 v4, null, s19, v94, s1
	;; [unrolled: 2-line block ×4, first 2 shown]
	global_load_dword v30, v[1:2], off
	global_load_dword v31, v[3:4], off
	;; [unrolled: 1-line block ×4, first 2 shown]
	v_add_co_u32 v9, s1, v89, s18
	v_add_co_ci_u32_e64 v10, null, s19, v90, s1
	v_add_co_u32 v1, s1, v91, s18
	v_add_co_ci_u32_e64 v2, null, s19, v92, s1
	;; [unrolled: 2-line block ×3, first 2 shown]
	global_load_dword v7, v[9:10], off
	global_load_dword v1, v[1:2], off
	global_load_dword v2, v[3:4], off
	v_add_nc_u32_e32 v3, 0x420, v33
	s_add_i32 s1, s2, 0xffffff80
	s_waitcnt vmcnt(20)
	ds_write_b32 v33, v11
	s_waitcnt vmcnt(19)
	ds_write_b32 v3, v12
	;; [unrolled: 2-line block ×10, first 2 shown]
	s_cmp_lt_i32 s1, s3
	s_waitcnt vmcnt(10)
	ds_write_b32 v102, v26
	s_waitcnt vmcnt(9)
	ds_write_b32 v103, v27
	;; [unrolled: 2-line block ×4, first 2 shown]
	s_waitcnt vmcnt(6)
	v_ashrrev_i32_e32 v3, v42, v30
	s_waitcnt vmcnt(4)
	v_ashrrev_i32_e32 v4, v42, v5
	v_ashrrev_i32_e32 v5, v44, v31
	s_waitcnt vmcnt(3)
	v_ashrrev_i32_e32 v6, v44, v6
	v_and_b32_e32 v3, 0xf0f0f0f, v3
	v_and_b32_e32 v4, 0xf0f0f0f, v4
	v_and_or_b32 v3, 0x30303030, v5, v3
	v_and_or_b32 v4, 0x30303030, v6, v4
	s_waitcnt vmcnt(2)
	ds_write_b32 v106, v7
	s_waitcnt vmcnt(1)
	ds_write_b32 v108, v1
	;; [unrolled: 2-line block ×3, first 2 shown]
	ds_write_b32 v45, v3
	ds_write_b32 v46, v4
	s_cbranch_scc0 .LBB191_5
; %bb.7:                                ;   in Loop: Header=BB191_6 Depth=1
	v_cmp_gt_i32_e64 s1, s9, v48
	s_and_b32 s4, s0, s1
	s_and_saveexec_b32 s1, s4
	s_cbranch_execz .LBB191_9
; %bb.8:                                ;   in Loop: Header=BB191_6 Depth=1
	v_add_nc_u32_e32 v1, v60, v48
	v_mad_i64_i32 v[1:2], null, v1, 36, v[21:22]
	global_load_dword v1, v[1:2], off offset:4
	s_waitcnt vmcnt(0)
	ds_write_b32 v49, v1
.LBB191_9:                              ;   in Loop: Header=BB191_6 Depth=1
	s_or_b32 exec_lo, exec_lo, s1
	v_cmp_gt_i32_e64 s1, s9, v117
	s_and_b32 s4, s20, s1
	s_and_saveexec_b32 s1, s4
	s_cbranch_execz .LBB191_11
; %bb.10:                               ;   in Loop: Header=BB191_6 Depth=1
	v_add_nc_u32_e32 v1, v60, v117
	v_mad_i64_i32 v[1:2], null, v1, 36, s[6:7]
	global_load_dword v1, v[1:2], off
	s_waitcnt vmcnt(0)
	ds_write_b32 v101, v1
.LBB191_11:                             ;   in Loop: Header=BB191_6 Depth=1
	s_or_b32 exec_lo, exec_lo, s1
	s_waitcnt lgkmcnt(0)
	s_barrier
	buffer_gl0_inv
	ds_read2_b32 v[28:29], v107 offset1:1
	ds_read_b128 v[17:20], v47
	ds_read_b128 v[9:12], v47 offset:16
	ds_read_b128 v[13:16], v47 offset:32
	;; [unrolled: 1-line block ×3, first 2 shown]
	ds_read2_b32 v[30:31], v107 offset0:2 offset1:3
	ds_read_b32 v121, v53
	v_mov_b32_e32 v127, 0
	ds_read2_b32 v[125:126], v107 offset0:4 offset1:5
	ds_read2_b32 v[130:131], v107 offset0:6 offset1:7
	ds_read2_b32 v[26:27], v52 offset1:2
	ds_read2_b32 v[132:133], v111 offset1:1
	;; [unrolled: 1-line block ×3, first 2 shown]
	ds_read_b128 v[1:4], v51 offset:20560
	ds_read_b32 v122, v55 offset:128
	ds_read2_b32 v[136:137], v110 offset1:1
	ds_read_b32 v123, v57 offset:256
	ds_read_b32 v124, v59 offset:384
	v_mov_b32_e32 v128, 0
	v_mov_b32_e32 v129, 0
	;; [unrolled: 1-line block ×4, first 2 shown]
	v_add_nc_u32_e32 v145, 0x2118, v107
	v_add_nc_u32_e32 v146, 0x3180, v107
	v_mov_b32_e32 v153, 0
	v_mov_b32_e32 v155, 0
	v_mov_b32_e32 v158, 0
	s_waitcnt lgkmcnt(16)
	v_and_b32_e32 v138, 0xf0f0f0f, v28
	v_and_b32_e32 v140, 0xf0f0f0f, v29
	v_lshrrev_b32_e32 v28, 4, v28
	v_lshrrev_b32_e32 v29, 4, v29
	s_cmp_ge_i32 s2, s3
	s_waitcnt lgkmcnt(15)
	v_dot4c_i32_i8 v127, v138, v17
	s_waitcnt lgkmcnt(11)
	v_and_b32_e32 v141, 0xf0f0f0f, v30
	v_and_b32_e32 v28, 0xf0f0f0f, v28
	;; [unrolled: 1-line block ×3, first 2 shown]
	v_lshrrev_b32_e32 v30, 4, v30
	v_dot4c_i32_i8 v127, v140, v18
	v_and_b32_e32 v29, 0xf0f0f0f, v29
	v_dot4c_i32_i8 v128, v28, v13
	s_waitcnt lgkmcnt(9)
	v_and_b32_e32 v140, 0xf0f0f0f, v125
	v_lshrrev_b32_e32 v31, 4, v31
	v_dot4c_i32_i8 v127, v141, v19
	v_and_b32_e32 v30, 0xf0f0f0f, v30
	v_dot4c_i32_i8 v128, v29, v14
	v_and_b32_e32 v28, 0xf0f0f0f, v126
	v_lshrrev_b32_e32 v125, 4, v125
	v_dot4c_i32_i8 v127, v142, v20
	v_and_b32_e32 v31, 0xf0f0f0f, v31
	v_dot4c_i32_i8 v128, v30, v15
	v_lshrrev_b32_e32 v30, 4, v126
	s_waitcnt lgkmcnt(2)
	v_and_b32_e32 v126, 0xf0f0f0f, v136
	v_dot4c_i32_i8 v127, v140, v9
	v_and_b32_e32 v29, 0xf0f0f0f, v130
	v_dot4c_i32_i8 v128, v31, v16
	;; [unrolled: 2-line block ×3, first 2 shown]
	v_dot4c_i32_i8 v127, v28, v10
	v_and_b32_e32 v28, 0xf0f0f0f, v125
	v_lshrrev_b32_e32 v125, 4, v130
	v_and_b32_e32 v126, 0xf0f0f0f, v132
	v_dot4c_i32_i8 v129, v31, v18
	v_dot4c_i32_i8 v127, v29, v11
	v_and_b32_e32 v29, 0xf0f0f0f, v131
	v_dot4c_i32_i8 v128, v28, v5
	v_and_b32_e32 v28, 0xf0f0f0f, v30
	ds_read2_b32 v[138:139], v107 offset0:8 offset1:9
	ds_read2_b32 v[30:31], v113 offset1:1
	ds_read2_b32 v[140:141], v114 offset1:1
	v_dot4c_i32_i8 v127, v29, v12
	v_lshrrev_b32_e32 v29, 4, v131
	v_dot4c_i32_i8 v128, v28, v6
	v_and_b32_e32 v28, 0xf0f0f0f, v125
	v_dot4c_i32_i8 v129, v126, v19
	v_and_b32_e32 v125, 0xf0f0f0f, v133
	v_lshrrev_b32_e32 v126, 4, v136
	v_cvt_f32_ubyte0_e32 v148, v27
	v_dot4c_i32_i8 v128, v28, v7
	v_and_b32_e32 v28, 0xf0f0f0f, v29
	v_dot4c_i32_i8 v129, v125, v20
	v_and_b32_e32 v29, 0xf0f0f0f, v134
	v_and_b32_e32 v125, 0xf0f0f0f, v126
	v_lshrrev_b32_e32 v126, 4, v137
	v_dot4c_i32_i8 v128, v28, v8
	v_and_b32_e32 v28, 0xf0f0f0f, v135
	v_dot4c_i32_i8 v129, v29, v9
	v_dot4c_i32_i8 v149, v125, v13
	v_and_b32_e32 v29, 0xf0f0f0f, v126
	v_lshrrev_b32_e32 v125, 4, v132
	v_lshrrev_b32_e32 v126, 4, v133
	v_dot4c_i32_i8 v129, v28, v10
	s_waitcnt lgkmcnt(1)
	v_and_b32_e32 v28, 0xf0f0f0f, v30
	v_dot4c_i32_i8 v149, v29, v14
	v_and_b32_e32 v29, 0xf0f0f0f, v125
	ds_read2_b32 v[130:131], v107 offset0:10 offset1:11
	ds_read2_b32 v[132:133], v107 offset0:12 offset1:13
	;; [unrolled: 1-line block ×3, first 2 shown]
	v_and_b32_e32 v126, 0xf0f0f0f, v126
	v_dot4c_i32_i8 v129, v28, v11
	v_lshrrev_b32_e32 v134, 4, v134
	v_dot4c_i32_i8 v149, v29, v15
	ds_read2_b32 v[28:29], v54 offset1:2
	ds_read2_b32 v[142:143], v115 offset1:1
	v_and_b32_e32 v144, 0xf0f0f0f, v31
	v_lshrrev_b32_e32 v30, 4, v30
	v_cvt_f32_ubyte1_e32 v150, v27
	v_dot4c_i32_i8 v149, v126, v16
	v_and_b32_e32 v126, 0xf0f0f0f, v134
	v_lshrrev_b32_e32 v134, 4, v135
	s_waitcnt lgkmcnt(5)
	v_and_b32_e32 v135, 0xf0f0f0f, v140
	v_dot4c_i32_i8 v129, v144, v12
	v_and_b32_e32 v144, 0xf0f0f0f, v141
	v_dot4c_i32_i8 v149, v126, v5
	;; [unrolled: 2-line block ×3, first 2 shown]
	ds_read2_b32 v[134:135], v116 offset1:1
	v_and_b32_e32 v30, 0xf0f0f0f, v30
	v_lshrrev_b32_e32 v140, 4, v140
	v_dot4c_i32_i8 v149, v126, v6
	v_dot4c_i32_i8 v151, v144, v18
	ds_read2_b32 v[144:145], v145 offset1:1
	ds_read2_b32 v[146:147], v146 offset1:1
	v_cvt_f32_f16_sdwa v125, v121 dst_sel:DWORD dst_unused:UNUSED_PAD src0_sel:WORD_1
	s_waitcnt lgkmcnt(3)
	v_and_b32_e32 v126, 0xf0f0f0f, v142
	v_dot4c_i32_i8 v149, v30, v7
	v_lshrrev_b32_e32 v30, 4, v31
	v_and_b32_e32 v31, 0xf0f0f0f, v143
	v_cvt_f32_ubyte0_e32 v152, v29
	v_dot4c_i32_i8 v151, v126, v19
	v_and_b32_e32 v126, 0xf0f0f0f, v140
	v_lshrrev_b32_e32 v140, 4, v141
	v_lshrrev_b32_e32 v141, 4, v143
	v_and_b32_e32 v30, 0xf0f0f0f, v30
	v_dot4c_i32_i8 v151, v31, v20
	v_dot4c_i32_i8 v153, v126, v13
	v_and_b32_e32 v126, 0xf0f0f0f, v140
	s_waitcnt lgkmcnt(2)
	v_and_b32_e32 v31, 0xf0f0f0f, v134
	v_lshrrev_b32_e32 v140, 4, v142
	v_and_b32_e32 v142, 0xf0f0f0f, v135
	v_lshrrev_b32_e32 v134, 4, v134
	v_dot4c_i32_i8 v153, v126, v14
	v_dot4c_i32_i8 v151, v31, v9
	v_and_b32_e32 v140, 0xf0f0f0f, v140
	v_lshrrev_b32_e32 v143, 4, v135
	v_dot4c_i32_i8 v149, v30, v8
	ds_read2_b32 v[30:31], v56 offset1:2
	v_dot4c_i32_i8 v151, v142, v10
	v_dot4c_i32_i8 v153, v140, v15
	v_and_b32_e32 v140, 0xf0f0f0f, v141
	s_waitcnt lgkmcnt(2)
	v_and_b32_e32 v141, 0xf0f0f0f, v144
	v_add_nc_u32_e32 v142, 0x3188, v107
	v_lshrrev_b32_e32 v144, 4, v144
	v_cvt_f32_ubyte1_e32 v154, v29
	v_dot4c_i32_i8 v153, v140, v16
	v_and_b32_e32 v140, 0xf0f0f0f, v134
	v_dot4c_i32_i8 v151, v141, v11
	ds_read2_b32 v[134:135], v142 offset1:1
	v_and_b32_e32 v141, 0xf0f0f0f, v145
	v_and_b32_e32 v144, 0xf0f0f0f, v144
	v_dot4c_i32_i8 v153, v140, v5
	v_and_b32_e32 v140, 0xf0f0f0f, v143
	v_add_nc_u32_e32 v143, 0x10a0, v107
	v_dot4c_i32_i8 v151, v141, v12
	v_add_nc_u32_e32 v141, 0x3190, v107
	v_cvt_f32_f16_sdwa v126, v122 dst_sel:DWORD dst_unused:UNUSED_PAD src0_sel:WORD_1
	v_dot4c_i32_i8 v153, v140, v6
	s_waitcnt lgkmcnt(1)
	v_cvt_f32_ubyte0_e32 v156, v31
	ds_read2_b32 v[140:141], v141 offset1:1
	v_and_b32_e32 v142, 0xf0f0f0f, v146
	v_lshrrev_b32_e32 v146, 4, v146
	v_dot4c_i32_i8 v153, v144, v7
	v_dot4c_i32_i8 v155, v142, v17
	v_and_b32_e32 v17, 0xf0f0f0f, v147
	v_add_nc_u32_e32 v142, 0x3198, v107
	s_waitcnt lgkmcnt(1)
	v_and_b32_e32 v157, 0xf0f0f0f, v134
	v_and_b32_e32 v146, 0xf0f0f0f, v146
	v_lshrrev_b32_e32 v147, 4, v147
	v_dot4c_i32_i8 v155, v17, v18
	ds_read2_b32 v[17:18], v142 offset1:1
	ds_read2_b32 v[142:143], v143 offset1:1
	v_lshrrev_b32_e32 v134, 4, v134
	v_dot4c_i32_i8 v158, v146, v13
	v_and_b32_e32 v13, 0xf0f0f0f, v147
	v_dot4c_i32_i8 v155, v157, v19
	v_and_b32_e32 v19, 0xf0f0f0f, v135
	v_mov_b32_e32 v147, 0
	v_lshrrev_b32_e32 v146, 24, v30
	v_dot4c_i32_i8 v158, v13, v14
	v_and_b32_e32 v13, 0xf0f0f0f, v134
	v_dot4c_i32_i8 v155, v19, v20
	s_waitcnt lgkmcnt(2)
	v_and_b32_e32 v19, 0xf0f0f0f, v140
	v_lshrrev_b32_e32 v14, 4, v135
	v_lshrrev_b32_e32 v20, 4, v145
	v_dot4c_i32_i8 v158, v13, v15
	ds_read2_b32 v[134:135], v58 offset1:2
	v_dot4c_i32_i8 v155, v19, v9
	v_and_b32_e32 v9, 0xf0f0f0f, v141
	v_and_b32_e32 v13, 0xf0f0f0f, v14
	v_lshrrev_b32_e32 v14, 4, v140
	v_and_b32_e32 v15, 0xf0f0f0f, v20
	v_cvt_f32_f16_sdwa v140, v123 dst_sel:DWORD dst_unused:UNUSED_PAD src0_sel:WORD_1
	v_dot4c_i32_i8 v155, v9, v10
	v_dot4c_i32_i8 v158, v13, v16
	v_and_b32_e32 v10, 0xf0f0f0f, v14
	v_lshrrev_b32_e32 v13, 4, v141
	s_waitcnt lgkmcnt(2)
	v_and_b32_e32 v9, 0xf0f0f0f, v17
	v_dot4c_i32_i8 v153, v15, v8
	v_and_b32_e32 v19, 0xf0f0f0f, v138
	v_dot4c_i32_i8 v158, v10, v5
	v_and_b32_e32 v5, 0xff, v26
	v_and_b32_e32 v10, 0xf0f0f0f, v13
	v_bfe_u32 v13, v26, 8, 8
	v_dot4c_i32_i8 v155, v9, v11
	v_lshrrev_b32_e32 v11, 4, v17
	v_mul_lo_u32 v5, v127, v5
	v_dot4c_i32_i8 v158, v10, v6
	v_mul_lo_u32 v10, v128, v13
	v_and_b32_e32 v9, 0xf0f0f0f, v18
	v_and_b32_e32 v6, 0xf0f0f0f, v11
	v_cvt_f32_ubyte1_e32 v11, v31
	v_fma_mix_f32 v13, v1, v156, 0 op_sel:[1,0,0] op_sel_hi:[1,0,0]
	s_waitcnt lgkmcnt(0)
	v_cvt_f32_ubyte0_e32 v17, v135
	v_cvt_f32_i32_e32 v5, v5
	v_dot4c_i32_i8 v158, v6, v7
	v_fma_mix_f32 v6, v1, v148, 0 op_sel:[1,0,0] op_sel_hi:[1,0,0]
	v_lshrrev_b32_e32 v7, 4, v18
	v_dot4c_i32_i8 v155, v9, v12
	v_cvt_f32_i32_e32 v9, v10
	v_and_b32_e32 v10, 0xff, v28
	v_fma_mix_f32 v5, v1, v5, 0 op_sel_hi:[1,0,0]
	v_fma_mix_f32 v6, v2, v150, v6 op_sel:[1,0,0] op_sel_hi:[1,0,0]
	v_and_b32_e32 v7, 0xf0f0f0f, v7
	v_bfe_u32 v12, v28, 8, 8
	v_mul_lo_u32 v10, v129, v10
	v_fma_mix_f32 v5, v2, v9, v5 op_sel_hi:[1,0,0]
	v_mul_f32_e32 v6, v6, v125
	v_dot4c_i32_i8 v158, v7, v8
	v_and_b32_e32 v7, 0xff, v30
	v_mul_lo_u32 v9, v149, v12
	v_fma_mix_f32 v8, v1, v152, 0 op_sel:[1,0,0] op_sel_hi:[1,0,0]
	v_fma_mix_f32 v5, v5, v121, -v6 op_sel_hi:[0,1,0]
	v_cvt_f32_i32_e32 v6, v10
	v_bfe_u32 v10, v30, 8, 8
	v_mul_lo_u32 v7, v151, v7
	v_fma_mix_f32 v8, v2, v154, v8 op_sel:[1,0,0] op_sel_hi:[1,0,0]
	v_add_f32_e32 v144, v118, v5
	v_cvt_f32_i32_e32 v9, v9
	v_mul_lo_u32 v10, v153, v10
	v_fma_mix_f32 v6, v1, v6, 0 op_sel_hi:[1,0,0]
	v_mul_f32_e32 v14, v8, v126
	v_fma_mix_f32 v11, v2, v11, v13 op_sel:[1,0,0] op_sel_hi:[1,0,0]
	v_cvt_f32_i32_e32 v12, v7
	v_and_b32_e32 v13, 0xff, v134
	v_fma_mix_f32 v9, v2, v9, v6 op_sel_hi:[1,0,0]
	ds_read_b128 v[5:8], v47 offset:64
	v_cvt_f32_i32_e32 v10, v10
	v_fma_mix_f32 v12, v1, v12, 0 op_sel_hi:[1,0,0]
	v_mul_f32_e32 v11, v11, v140
	v_fma_mix_f32 v9, v9, v122, -v14 op_sel_hi:[0,1,0]
	v_and_b32_e32 v127, 0xf0f0f0f, v131
	v_lshrrev_b32_e32 v129, 4, v139
	v_fma_mix_f32 v10, v2, v10, v12 op_sel_hi:[1,0,0]
	v_mul_lo_u32 v12, v155, v13
	v_add_f32_e32 v120, v120, v9
	v_bfe_u32 v9, v134, 8, 8
	v_mov_b32_e32 v150, 0
	v_fma_mix_f32 v18, v10, v123, -v11 op_sel_hi:[0,1,0]
	v_lshrrev_b32_e32 v141, 24, v26
	v_lshrrev_b32_e32 v145, 24, v28
	v_mul_lo_u32 v20, v158, v9
	v_cvt_f32_i32_e32 v118, v12
	ds_read_b128 v[9:12], v47 offset:80
	ds_read_b128 v[13:16], v47 offset:96
	v_add_f32_e32 v148, v119, v18
	v_cvt_f32_ubyte1_e32 v119, v135
	s_waitcnt lgkmcnt(2)
	v_dot4c_i32_i8 v147, v19, v5
	v_and_b32_e32 v19, 0xf0f0f0f, v139
	v_cvt_f32_f16_sdwa v139, v124 dst_sel:DWORD dst_unused:UNUSED_PAD src0_sel:WORD_1
	v_cvt_f32_i32_e32 v18, v20
	v_fma_mix_f32 v20, v1, v118, 0 op_sel_hi:[1,0,0]
	v_fma_mix_f32 v1, v1, v17, 0 op_sel:[1,0,0] op_sel_hi:[1,0,0]
	v_dot4c_i32_i8 v147, v19, v6
	v_and_b32_e32 v19, 0xf0f0f0f, v130
	v_lshrrev_b32_e32 v17, 4, v138
	v_mov_b32_e32 v138, 0
	v_fma_mix_f32 v118, v2, v18, v20 op_sel_hi:[1,0,0]
	v_fma_mix_f32 v1, v2, v119, v1 op_sel:[1,0,0] op_sel_hi:[1,0,0]
	v_dot4c_i32_i8 v147, v19, v7
	v_and_b32_e32 v128, 0xf0f0f0f, v17
	ds_read_b128 v[17:20], v47 offset:112
	v_and_b32_e32 v2, 0xf0f0f0f, v133
	v_mul_f32_e32 v1, v1, v139
	v_dot4c_i32_i8 v147, v127, v8
	v_and_b32_e32 v127, 0xf0f0f0f, v132
	s_waitcnt lgkmcnt(1)
	v_dot4c_i32_i8 v138, v128, v13
	v_and_b32_e32 v128, 0xf0f0f0f, v129
	v_lshrrev_b32_e32 v129, 4, v130
	v_add_nc_u32_e32 v130, 0x2120, v107
	v_dot4c_i32_i8 v147, v127, v9
	v_lshrrev_b32_e32 v127, 4, v131
	v_dot4c_i32_i8 v138, v128, v14
	v_and_b32_e32 v119, 0xf0f0f0f, v129
	v_lshrrev_b32_e32 v128, 4, v133
	v_dot4c_i32_i8 v147, v2, v10
	v_and_b32_e32 v2, 0xf0f0f0f, v136
	v_fma_mix_f32 v133, v118, v124, -v1 op_sel_hi:[0,1,0]
	v_dot4c_i32_i8 v138, v119, v15
	v_and_b32_e32 v119, 0xf0f0f0f, v127
	v_lshrrev_b32_e32 v127, 4, v132
	v_dot4c_i32_i8 v147, v2, v11
	v_and_b32_e32 v2, 0xf0f0f0f, v137
	v_and_b32_e32 v118, 0xf0f0f0f, v128
	v_dot4c_i32_i8 v138, v119, v16
	v_add_nc_u32_e32 v119, 0x10a8, v107
	v_and_b32_e32 v127, 0xf0f0f0f, v127
	v_dot4c_i32_i8 v147, v2, v12
	v_add_nc_u32_e32 v128, 0x10b0, v107
	v_lshrrev_b32_e32 v131, 4, v142
	ds_read2_b32 v[1:2], v119 offset1:1
	s_waitcnt lgkmcnt(1)
	v_dot4c_i32_i8 v138, v127, v17
	v_lshrrev_b32_e32 v119, 4, v136
	v_and_b32_e32 v127, 0xf0f0f0f, v142
	v_lshrrev_b32_e32 v136, 4, v137
	v_and_b32_e32 v131, 0xf0f0f0f, v131
	v_dot4c_i32_i8 v138, v118, v18
	v_and_b32_e32 v129, 0xf0f0f0f, v119
	ds_read2_b32 v[118:119], v128 offset1:1
	v_dot4c_i32_i8 v150, v127, v5
	v_and_b32_e32 v127, 0xf0f0f0f, v143
	v_add_nc_u32_e32 v128, 0x10b8, v107
	v_mov_b32_e32 v142, 0
	v_lshrrev_b32_e32 v137, 4, v143
	v_dot4c_i32_i8 v138, v129, v19
	v_dot4c_i32_i8 v150, v127, v6
	ds_read2_b32 v[127:128], v128 offset1:1
	ds_read2_b32 v[129:130], v130 offset1:1
	v_dot4c_i32_i8 v142, v131, v13
	v_and_b32_e32 v131, 0xf0f0f0f, v137
	v_and_b32_e32 v136, 0xf0f0f0f, v136
	s_waitcnt lgkmcnt(3)
	v_and_b32_e32 v132, 0xf0f0f0f, v1
	v_lshrrev_b32_e32 v1, 4, v1
	v_mov_b32_e32 v143, 0
	v_dot4c_i32_i8 v142, v131, v14
	v_dot4c_i32_i8 v138, v136, v20
	;; [unrolled: 1-line block ×3, first 2 shown]
	v_and_b32_e32 v132, 0xf0f0f0f, v2
	v_and_b32_e32 v1, 0xf0f0f0f, v1
	v_lshrrev_b32_e32 v2, 4, v2
	s_waitcnt lgkmcnt(2)
	v_and_b32_e32 v131, 0xf0f0f0f, v119
	v_add_nc_u32_e32 v137, 0x31a0, v107
	v_dot4c_i32_i8 v150, v132, v8
	v_and_b32_e32 v132, 0xf0f0f0f, v118
	v_dot4c_i32_i8 v142, v1, v15
	v_and_b32_e32 v136, 0xf0f0f0f, v2
	v_lshrrev_b32_e32 v118, 4, v118
	s_waitcnt lgkmcnt(1)
	v_and_b32_e32 v152, 0xf0f0f0f, v127
	v_dot4c_i32_i8 v150, v132, v9
	v_add_nc_u32_e32 v132, 0x2128, v107
	v_dot4c_i32_i8 v142, v136, v16
	v_and_b32_e32 v118, 0xf0f0f0f, v118
	v_lshrrev_b32_e32 v136, 4, v119
	v_dot4c_i32_i8 v150, v131, v10
	ds_read2_b32 v[1:2], v132 offset1:1
	v_add_nc_u32_e32 v132, 0x2130, v107
	s_waitcnt lgkmcnt(1)
	v_and_b32_e32 v131, 0xf0f0f0f, v129
	v_dot4c_i32_i8 v142, v118, v17
	v_and_b32_e32 v153, 0xf0f0f0f, v136
	v_lshrrev_b32_e32 v127, 4, v127
	ds_read2_b32 v[118:119], v132 offset1:1
	v_dot4c_i32_i8 v143, v131, v5
	v_and_b32_e32 v131, 0xf0f0f0f, v130
	v_add_nc_u32_e32 v132, 0x2138, v107
	v_dot4c_i32_i8 v142, v153, v18
	v_and_b32_e32 v127, 0xf0f0f0f, v127
	v_lshrrev_b32_e32 v129, 4, v129
	v_dot4c_i32_i8 v143, v131, v6
	ds_read2_b32 v[131:132], v132 offset1:1
	ds_read2_b32 v[136:137], v137 offset1:1
	v_dot4c_i32_i8 v150, v152, v11
	v_and_b32_e32 v152, 0xf0f0f0f, v128
	v_dot4c_i32_i8 v142, v127, v19
	v_lshrrev_b32_e32 v128, 4, v128
	v_and_b32_e32 v129, 0xf0f0f0f, v129
	s_waitcnt lgkmcnt(3)
	v_and_b32_e32 v154, 0xf0f0f0f, v1
	v_and_b32_e32 v153, 0xf0f0f0f, v2
	v_lshrrev_b32_e32 v130, 4, v130
	v_and_b32_e32 v128, 0xf0f0f0f, v128
	v_lshrrev_b32_e32 v1, 4, v1
	v_dot4c_i32_i8 v143, v154, v7
	s_waitcnt lgkmcnt(2)
	v_and_b32_e32 v127, 0xf0f0f0f, v118
	v_lshrrev_b32_e32 v2, 4, v2
	v_dot4c_i32_i8 v142, v128, v20
	v_and_b32_e32 v1, 0xf0f0f0f, v1
	v_dot4c_i32_i8 v143, v153, v8
	v_mov_b32_e32 v153, 0
	v_add_nc_u32_e32 v128, 0x31a8, v107
	v_lshrrev_b32_e32 v118, 4, v118
	v_dot4c_i32_i8 v150, v152, v12
	v_dot4c_i32_i8 v143, v127, v9
	v_and_b32_e32 v127, 0xf0f0f0f, v119
	v_dot4c_i32_i8 v153, v129, v13
	v_and_b32_e32 v129, 0xf0f0f0f, v130
	v_and_b32_e32 v118, 0xf0f0f0f, v118
	v_lshrrev_b32_e32 v119, 4, v119
	v_dot4c_i32_i8 v143, v127, v10
	s_waitcnt lgkmcnt(1)
	v_and_b32_e32 v127, 0xf0f0f0f, v131
	v_dot4c_i32_i8 v153, v129, v14
	v_and_b32_e32 v129, 0xf0f0f0f, v2
	v_and_b32_e32 v130, 0xf0f0f0f, v119
	v_lshrrev_b32_e32 v131, 4, v131
	v_dot4c_i32_i8 v143, v127, v11
	v_and_b32_e32 v127, 0xf0f0f0f, v132
	v_dot4c_i32_i8 v153, v1, v15
	ds_read2_b32 v[1:2], v128 offset1:1
	v_mov_b32_e32 v128, 0
	v_cvt_f32_ubyte2_e32 v151, v27
	v_dot4c_i32_i8 v143, v127, v12
	v_dot4c_i32_i8 v153, v129, v16
	s_waitcnt lgkmcnt(1)
	v_and_b32_e32 v127, 0xf0f0f0f, v136
	v_add_nc_u32_e32 v129, 0x31b0, v107
	v_lshrrev_b32_e32 v149, 24, v134
	v_cvt_f32_ubyte3_e32 v27, v27
	v_dot4c_i32_i8 v153, v118, v17
	v_dot4c_i32_i8 v128, v127, v5
	ds_read2_b32 v[118:119], v129 offset1:1
	v_and_b32_e32 v5, 0xf0f0f0f, v137
	v_add_nc_u32_e32 v127, 0x31b8, v107
	v_dot4c_i32_i8 v153, v130, v18
	v_and_b32_e32 v130, 0xf0f0f0f, v131
	v_mov_b32_e32 v131, 0
	v_dot4c_i32_i8 v128, v5, v6
	ds_read2_b32 v[5:6], v127 offset1:1
	v_lshrrev_b32_e32 v129, 4, v136
	s_waitcnt lgkmcnt(2)
	v_and_b32_e32 v127, 0xf0f0f0f, v1
	v_lshrrev_b32_e32 v136, 4, v137
	v_lshrrev_b32_e32 v1, 4, v1
	v_dot4c_i32_i8 v153, v130, v19
	v_and_b32_e32 v129, 0xf0f0f0f, v129
	v_dot4c_i32_i8 v128, v127, v7
	v_and_b32_e32 v7, 0xf0f0f0f, v2
	v_and_b32_e32 v1, 0xf0f0f0f, v1
	v_lshrrev_b32_e32 v2, 4, v2
	v_dot4c_i32_i8 v131, v129, v13
	v_and_b32_e32 v13, 0xf0f0f0f, v136
	v_dot4c_i32_i8 v128, v7, v8
	s_waitcnt lgkmcnt(1)
	v_and_b32_e32 v7, 0xf0f0f0f, v118
	v_lshrrev_b32_e32 v127, 4, v132
	v_cvt_f32_ubyte2_e32 v152, v29
	v_dot4c_i32_i8 v131, v13, v14
	v_cvt_f32_ubyte3_e32 v29, v29
	v_dot4c_i32_i8 v128, v7, v9
	v_and_b32_e32 v7, 0xf0f0f0f, v119
	v_and_b32_e32 v8, 0xf0f0f0f, v127
	v_dot4c_i32_i8 v131, v1, v15
	v_and_b32_e32 v1, 0xf0f0f0f, v2
	v_lshrrev_b32_e32 v2, 4, v118
	v_dot4c_i32_i8 v128, v7, v10
	s_waitcnt lgkmcnt(0)
	v_and_b32_e32 v7, 0xf0f0f0f, v5
	v_bfe_u32 v10, v26, 16, 8
	v_dot4c_i32_i8 v131, v1, v16
	v_and_b32_e32 v1, 0xf0f0f0f, v2
	v_lshrrev_b32_e32 v2, 4, v119
	v_dot4c_i32_i8 v128, v7, v11
	v_and_b32_e32 v7, 0xf0f0f0f, v6
	v_lshrrev_b32_e32 v6, 4, v6
	v_dot4c_i32_i8 v131, v1, v17
	v_and_b32_e32 v1, 0xf0f0f0f, v2
	v_lshrrev_b32_e32 v2, 4, v5
	v_mul_lo_u32 v5, v147, v10
	v_dot4c_i32_i8 v128, v7, v12
	v_bfe_u32 v7, v28, 16, 8
	v_dot4c_i32_i8 v131, v1, v18
	v_mul_lo_u32 v1, v138, v141
	v_and_b32_e32 v2, 0xf0f0f0f, v2
	v_mul_lo_u32 v11, v142, v145
	v_bfe_u32 v12, v134, 16, 8
	v_cvt_f32_i32_e32 v5, v5
	v_dot4c_i32_i8 v153, v8, v20
	v_dot4c_i32_i8 v131, v2, v19
	v_and_b32_e32 v2, 0xf0f0f0f, v6
	v_mul_lo_u32 v6, v150, v7
	v_cvt_f32_i32_e32 v1, v1
	v_fma_mix_f32 v5, v3, v5, 0 op_sel_hi:[1,0,0]
	v_cvt_f32_i32_e32 v11, v11
	v_dot4c_i32_i8 v131, v2, v20
	v_mul_lo_u32 v12, v128, v12
	v_cvt_f32_ubyte2_e32 v9, v31
	v_fma_mix_f32 v1, v4, v1, v5 op_sel_hi:[1,0,0]
	v_cvt_f32_i32_e32 v5, v6
	v_bfe_u32 v6, v30, 16, 8
	v_fma_mix_f32 v7, v3, v151, 0 op_sel:[1,0,0] op_sel_hi:[1,0,0]
	v_cvt_f32_ubyte2_e32 v10, v135
	v_mul_lo_u32 v13, v153, v146
	v_fma_mix_f32 v5, v3, v5, 0 op_sel_hi:[1,0,0]
	v_mul_lo_u32 v6, v143, v6
	v_cvt_f32_ubyte3_e32 v8, v31
	v_fma_mix_f32 v2, v4, v27, v7 op_sel:[1,0,0] op_sel_hi:[1,0,0]
	v_fma_mix_f32 v7, v3, v152, 0 op_sel:[1,0,0] op_sel_hi:[1,0,0]
	v_fma_mix_f32 v5, v4, v11, v5 op_sel_hi:[1,0,0]
	v_mul_lo_u32 v11, v131, v149
	v_fma_mix_f32 v9, v3, v9, 0 op_sel:[1,0,0] op_sel_hi:[1,0,0]
	v_cvt_f32_i32_e32 v12, v12
	v_cvt_f32_i32_e32 v6, v6
	v_fma_mix_f32 v10, v3, v10, 0 op_sel:[1,0,0] op_sel_hi:[1,0,0]
	v_cvt_f32_ubyte3_e32 v14, v135
	v_fma_mix_f32 v7, v4, v29, v7 op_sel:[1,0,0] op_sel_hi:[1,0,0]
	v_cvt_f32_i32_e32 v13, v13
	v_fma_mix_f32 v6, v3, v6, 0 op_sel_hi:[1,0,0]
	v_fma_mix_f32 v8, v4, v8, v9 op_sel:[1,0,0] op_sel_hi:[1,0,0]
	v_cvt_f32_i32_e32 v9, v11
	v_fma_mix_f32 v3, v3, v12, 0 op_sel_hi:[1,0,0]
	v_fma_mix_f32 v10, v4, v14, v10 op_sel:[1,0,0] op_sel_hi:[1,0,0]
	v_mul_f32_e32 v2, v2, v125
	v_mul_f32_e32 v7, v7, v126
	v_fma_mix_f32 v6, v4, v13, v6 op_sel_hi:[1,0,0]
	v_mul_f32_e32 v8, v8, v140
	v_fma_mix_f32 v3, v4, v9, v3 op_sel_hi:[1,0,0]
	v_mul_f32_e32 v4, v10, v139
	v_add_f32_e32 v9, v23, v133
	v_fma_mix_f32 v1, v1, v121, -v2 op_sel_hi:[0,1,0]
	v_fma_mix_f32 v2, v5, v122, -v7 op_sel_hi:[0,1,0]
	;; [unrolled: 1-line block ×4, first 2 shown]
	v_add_f32_e32 v118, v144, v1
	v_add_f32_e32 v120, v120, v2
	;; [unrolled: 1-line block ×4, first 2 shown]
	s_barrier
	buffer_gl0_inv
	s_cbranch_scc1 .LBB191_5
; %bb.12:                               ;   in Loop: Header=BB191_6 Depth=1
	v_cmp_gt_i32_e64 s1, s9, v50
	s_and_b32 s4, s0, s1
	s_and_saveexec_b32 s1, s4
	s_cbranch_execz .LBB191_14
; %bb.13:                               ;   in Loop: Header=BB191_6 Depth=1
	v_add_nc_u32_e32 v1, v60, v50
	v_mad_i64_i32 v[1:2], null, v1, 36, v[21:22]
	global_load_dword v1, v[1:2], off offset:4
	s_waitcnt vmcnt(0)
	ds_write_b32 v49, v1
.LBB191_14:                             ;   in Loop: Header=BB191_6 Depth=1
	s_or_b32 exec_lo, exec_lo, s1
	s_and_saveexec_b32 s4, vcc_lo
	s_cbranch_execz .LBB191_4
; %bb.15:                               ;   in Loop: Header=BB191_6 Depth=1
	v_add_nc_u32_e32 v1, 4, v117
	v_cmp_gt_i32_e64 s1, s9, v1
	s_and_b32 s1, s0, s1
	s_and_b32 exec_lo, exec_lo, s1
	s_cbranch_execz .LBB191_4
; %bb.16:                               ;   in Loop: Header=BB191_6 Depth=1
	v_ashrrev_i32_e32 v1, 31, v117
	v_add_co_u32 v2, s1, v60, v117
	v_add_co_ci_u32_e64 v3, null, v109, v1, s1
	v_mad_u64_u32 v[1:2], null, v2, 36, s[6:7]
	v_mad_i32_i24 v2, v3, 36, v2
	global_load_dword v1, v[1:2], off offset:144
	s_waitcnt vmcnt(0)
	ds_write_b32 v101, v1
	s_branch .LBB191_4
.LBB191_17:
	s_mul_i32 s0, s11, s8
	s_waitcnt vmcnt(0)
	v_cmp_gt_i32_e32 vcc_lo, s0, v32
	s_and_saveexec_b32 s0, vcc_lo
	s_cbranch_execz .LBB191_26
; %bb.18:
	v_add_nc_u32_e32 v1, s16, v0
	v_mul_lo_u32 v0, v32, s10
	s_mov_b32 s0, exec_lo
	v_cmpx_gt_u32_e64 s10, v1
	s_cbranch_execz .LBB191_20
; %bb.19:
	v_add_nc_u32_e32 v2, v0, v1
	v_mov_b32_e32 v3, 0
	v_lshlrev_b64 v[2:3], 2, v[2:3]
	v_add_co_u32 v2, vcc_lo, s12, v2
	v_add_co_ci_u32_e64 v3, null, s13, v3, vcc_lo
	global_store_dword v[2:3], v118, off
.LBB191_20:
	s_or_b32 exec_lo, exec_lo, s0
	v_add_nc_u32_e32 v2, 32, v1
	s_mov_b32 s0, exec_lo
	v_cmpx_gt_u32_e64 s10, v2
	s_cbranch_execz .LBB191_22
; %bb.21:
	v_add_nc_u32_e32 v2, v0, v2
	v_mov_b32_e32 v3, 0
	v_lshlrev_b64 v[2:3], 2, v[2:3]
	v_add_co_u32 v2, vcc_lo, s12, v2
	v_add_co_ci_u32_e64 v3, null, s13, v3, vcc_lo
	global_store_dword v[2:3], v120, off
.LBB191_22:
	s_or_b32 exec_lo, exec_lo, s0
	v_add_nc_u32_e32 v2, 64, v1
	;; [unrolled: 13-line block ×3, first 2 shown]
	v_cmp_gt_u32_e32 vcc_lo, s10, v1
	s_and_b32 exec_lo, exec_lo, vcc_lo
	s_cbranch_execz .LBB191_26
; %bb.25:
	v_add_nc_u32_e32 v0, v0, v1
	v_mov_b32_e32 v1, 0
	v_lshlrev_b64 v[0:1], 2, v[0:1]
	v_add_co_u32 v0, vcc_lo, s12, v0
	v_add_co_ci_u32_e64 v1, null, s13, v1, vcc_lo
	global_store_dword v[0:1], v23, off
.LBB191_26:
	s_endpgm
	.section	.rodata,"a",@progbits
	.p2align	6, 0x0
	.amdhsa_kernel _ZL8moe_q4_KIfLb0EEvPKvS1_PT_PKiS5_S5_iiiiiii
		.amdhsa_group_segment_fixed_size 20688
		.amdhsa_private_segment_fixed_size 0
		.amdhsa_kernarg_size 76
		.amdhsa_user_sgpr_count 6
		.amdhsa_user_sgpr_private_segment_buffer 1
		.amdhsa_user_sgpr_dispatch_ptr 0
		.amdhsa_user_sgpr_queue_ptr 0
		.amdhsa_user_sgpr_kernarg_segment_ptr 1
		.amdhsa_user_sgpr_dispatch_id 0
		.amdhsa_user_sgpr_flat_scratch_init 0
		.amdhsa_user_sgpr_private_segment_size 0
		.amdhsa_wavefront_size32 1
		.amdhsa_uses_dynamic_stack 0
		.amdhsa_system_sgpr_private_segment_wavefront_offset 0
		.amdhsa_system_sgpr_workgroup_id_x 1
		.amdhsa_system_sgpr_workgroup_id_y 1
		.amdhsa_system_sgpr_workgroup_id_z 0
		.amdhsa_system_sgpr_workgroup_info 0
		.amdhsa_system_vgpr_workitem_id 1
		.amdhsa_next_free_vgpr 159
		.amdhsa_next_free_sgpr 24
		.amdhsa_reserve_vcc 1
		.amdhsa_reserve_flat_scratch 0
		.amdhsa_float_round_mode_32 0
		.amdhsa_float_round_mode_16_64 0
		.amdhsa_float_denorm_mode_32 3
		.amdhsa_float_denorm_mode_16_64 3
		.amdhsa_dx10_clamp 1
		.amdhsa_ieee_mode 1
		.amdhsa_fp16_overflow 0
		.amdhsa_workgroup_processor_mode 1
		.amdhsa_memory_ordered 1
		.amdhsa_forward_progress 1
		.amdhsa_shared_vgpr_count 0
		.amdhsa_exception_fp_ieee_invalid_op 0
		.amdhsa_exception_fp_denorm_src 0
		.amdhsa_exception_fp_ieee_div_zero 0
		.amdhsa_exception_fp_ieee_overflow 0
		.amdhsa_exception_fp_ieee_underflow 0
		.amdhsa_exception_fp_ieee_inexact 0
		.amdhsa_exception_int_div_zero 0
	.end_amdhsa_kernel
	.section	.text._ZL8moe_q4_KIfLb0EEvPKvS1_PT_PKiS5_S5_iiiiiii,"axG",@progbits,_ZL8moe_q4_KIfLb0EEvPKvS1_PT_PKiS5_S5_iiiiiii,comdat
.Lfunc_end191:
	.size	_ZL8moe_q4_KIfLb0EEvPKvS1_PT_PKiS5_S5_iiiiiii, .Lfunc_end191-_ZL8moe_q4_KIfLb0EEvPKvS1_PT_PKiS5_S5_iiiiiii
                                        ; -- End function
	.set _ZL8moe_q4_KIfLb0EEvPKvS1_PT_PKiS5_S5_iiiiiii.num_vgpr, 159
	.set _ZL8moe_q4_KIfLb0EEvPKvS1_PT_PKiS5_S5_iiiiiii.num_agpr, 0
	.set _ZL8moe_q4_KIfLb0EEvPKvS1_PT_PKiS5_S5_iiiiiii.numbered_sgpr, 24
	.set _ZL8moe_q4_KIfLb0EEvPKvS1_PT_PKiS5_S5_iiiiiii.num_named_barrier, 0
	.set _ZL8moe_q4_KIfLb0EEvPKvS1_PT_PKiS5_S5_iiiiiii.private_seg_size, 0
	.set _ZL8moe_q4_KIfLb0EEvPKvS1_PT_PKiS5_S5_iiiiiii.uses_vcc, 1
	.set _ZL8moe_q4_KIfLb0EEvPKvS1_PT_PKiS5_S5_iiiiiii.uses_flat_scratch, 0
	.set _ZL8moe_q4_KIfLb0EEvPKvS1_PT_PKiS5_S5_iiiiiii.has_dyn_sized_stack, 0
	.set _ZL8moe_q4_KIfLb0EEvPKvS1_PT_PKiS5_S5_iiiiiii.has_recursion, 0
	.set _ZL8moe_q4_KIfLb0EEvPKvS1_PT_PKiS5_S5_iiiiiii.has_indirect_call, 0
	.section	.AMDGPU.csdata,"",@progbits
; Kernel info:
; codeLenInByte = 10936
; TotalNumSgprs: 26
; NumVgprs: 159
; ScratchSize: 0
; MemoryBound: 0
; FloatMode: 240
; IeeeMode: 1
; LDSByteSize: 20688 bytes/workgroup (compile time only)
; SGPRBlocks: 0
; VGPRBlocks: 19
; NumSGPRsForWavesPerEU: 26
; NumVGPRsForWavesPerEU: 159
; Occupancy: 6
; WaveLimiterHint : 1
; COMPUTE_PGM_RSRC2:SCRATCH_EN: 0
; COMPUTE_PGM_RSRC2:USER_SGPR: 6
; COMPUTE_PGM_RSRC2:TRAP_HANDLER: 0
; COMPUTE_PGM_RSRC2:TGID_X_EN: 1
; COMPUTE_PGM_RSRC2:TGID_Y_EN: 1
; COMPUTE_PGM_RSRC2:TGID_Z_EN: 0
; COMPUTE_PGM_RSRC2:TIDIG_COMP_CNT: 1
	.section	.text._ZL8moe_q4_KIfLb1EEvPKvS1_PT_PKiS5_S5_iiiiiii,"axG",@progbits,_ZL8moe_q4_KIfLb1EEvPKvS1_PT_PKiS5_S5_iiiiiii,comdat
	.globl	_ZL8moe_q4_KIfLb1EEvPKvS1_PT_PKiS5_S5_iiiiiii ; -- Begin function _ZL8moe_q4_KIfLb1EEvPKvS1_PT_PKiS5_S5_iiiiiii
	.p2align	8
	.type	_ZL8moe_q4_KIfLb1EEvPKvS1_PT_PKiS5_S5_iiiiiii,@function
_ZL8moe_q4_KIfLb1EEvPKvS1_PT_PKiS5_S5_iiiiiii: ; @_ZL8moe_q4_KIfLb1EEvPKvS1_PT_PKiS5_S5_iiiiiii
; %bb.0:
	s_load_dwordx4 s[0:3], s[4:5], 0x18
	s_mov_b32 s8, s7
	s_mov_b32 s9, 0
	s_lshl_b64 s[10:11], s[8:9], 2
	s_waitcnt lgkmcnt(0)
	s_add_u32 s2, s2, s10
	s_addc_u32 s3, s3, s11
	s_load_dword s19, s[2:3], 0x0
	s_waitcnt lgkmcnt(0)
	s_cmpk_gt_u32 s19, 0xff
	s_cbranch_scc1 .LBB192_26
; %bb.1:
	s_load_dwordx2 s[2:3], s[4:5], 0x28
	s_waitcnt lgkmcnt(0)
	s_load_dword s3, s[2:3], 0x0
	s_lshl_b32 s2, s8, 3
	s_waitcnt lgkmcnt(0)
	s_cmp_gt_u32 s2, s3
	s_cbranch_scc1 .LBB192_26
; %bb.2:
	v_add_nc_u32_e32 v38, s2, v1
	v_mov_b32_e32 v39, 0
	v_lshlrev_b64 v[2:3], 2, v[38:39]
	v_mov_b32_e32 v116, v39
	v_mov_b32_e32 v117, v39
	;; [unrolled: 1-line block ×3, first 2 shown]
	v_add_co_u32 v2, vcc_lo, s0, v2
	v_add_co_ci_u32_e64 v3, null, s1, v3, vcc_lo
	global_load_dword v48, v[2:3], off
	s_clause 0x1
	s_load_dwordx8 s[8:15], s[4:5], 0x30
	s_load_dwordx2 s[2:3], s[4:5], 0x10
	s_waitcnt lgkmcnt(0)
	s_lshl_b32 s15, s6, 7
	s_cmpk_lt_i32 s9, 0x100
	s_cbranch_scc1 .LBB192_17
; %bb.3:
	v_add_nc_u32_e32 v3, 8, v1
	s_not_b32 s1, s15
	s_ashr_i32 s0, s9, 31
	s_add_i32 s1, s10, s1
	s_lshr_b32 s0, s0, 24
	v_lshlrev_b32_e32 v2, 2, v0
	v_min_i32_e32 v4, s1, v1
	v_min_i32_e32 v3, s1, v3
	v_add_nc_u32_e32 v6, 16, v1
	s_add_i32 s0, s9, s0
	s_abs_i32 s7, s14
	s_ashr_i32 s18, s0, 8
	v_mad_u64_u32 v[21:22], null, 0x84, v4, v[2:3]
	v_mul_lo_u32 v7, v4, s18
	v_mul_lo_u32 v8, v3, s18
	v_min_i32_e32 v4, s1, v6
	v_add_nc_u32_e32 v6, 24, v1
	v_mad_u64_u32 v[22:23], null, 0x84, v3, v[2:3]
	v_add_nc_u32_e32 v3, 32, v1
	v_mul_lo_u32 v9, v4, s18
	v_min_i32_e32 v6, s1, v6
	v_lshl_add_u32 v18, v1, 5, v0
	s_sub_i32 s0, 0, s7
	v_mad_u64_u32 v[23:24], null, 0x84, v4, v[2:3]
	v_min_i32_e32 v3, s1, v3
	v_add_nc_u32_e32 v4, 40, v1
	v_mul_lo_u32 v10, v6, s18
	v_and_b32_e32 v18, 0x7f, v18
	s_waitcnt vmcnt(0)
	v_sub_nc_u32_e32 v39, 0, v48
	v_mad_u64_u32 v[24:25], null, 0x84, v6, v[2:3]
	v_mul_lo_u32 v12, v3, s18
	v_min_i32_e32 v4, s1, v4
	v_add_nc_u32_e32 v6, 48, v1
	v_mad_u64_u32 v[25:26], null, 0x84, v3, v[2:3]
	v_add_nc_u32_e32 v3, 56, v1
	v_mul_lo_u32 v13, v4, s18
	v_min_i32_e32 v6, s1, v6
	v_min_i32_e32 v18, s1, v18
	v_xor_b32_e32 v46, s14, v48
	v_mad_u64_u32 v[26:27], null, 0x84, v4, v[2:3]
	v_min_i32_e32 v3, s1, v3
	v_mul_lo_u32 v14, v6, s18
	v_add_nc_u32_e32 v4, 64, v1
	v_ashrrev_i32_e32 v33, 31, v18
	v_lshlrev_b32_e32 v43, 2, v18
	v_mad_u64_u32 v[27:28], null, 0x84, v6, v[2:3]
	v_mul_lo_u32 v15, v3, s18
	v_mad_u64_u32 v[28:29], null, 0x84, v3, v[2:3]
	v_add_nc_u32_e32 v3, 0x48, v1
	v_cvt_f32_u32_e32 v6, s7
	v_min_i32_e32 v4, s1, v4
	v_lshrrev_b32_e32 v5, 5, v0
	s_mul_i32 s6, s18, s15
	v_min_i32_e32 v19, s1, v3
	v_rcp_iflag_f32_e32 v3, v6
	v_add_nc_u32_e32 v6, 0x58, v1
	v_mul_lo_u32 v17, v4, s18
	s_mul_hi_i32 s17, s6, 0x90
	s_mul_i32 s16, s6, 0x90
	v_and_b32_e32 v11, 0x7c, v2
	v_min_i32_e32 v20, s1, v6
	v_lshrrev_b32_e32 v6, 2, v0
	v_add_nc_u32_e32 v16, 0x50, v1
	v_add_nc_u32_e32 v51, 0x60, v0
	v_mad_u64_u32 v[29:30], null, 0x84, v4, v[2:3]
	v_mul_f32_e32 v3, 0x4f7ffffe, v3
	v_add_nc_u32_e32 v4, 0x60, v1
	v_mul_lo_u32 v30, v19, s18
	v_min_i32_e32 v16, s1, v16
	v_mul_lo_u32 v32, v20, s18
	v_cvt_u32_f32_e32 v3, v3
	v_min_i32_e32 v34, s1, v4
	v_lshl_add_u32 v4, v1, 3, v6
	v_lshrrev_b32_e32 v6, 27, v33
	v_mul_lo_u32 v31, v16, s18
	v_mul_lo_u32 v33, s0, v3
	v_add_nc_u32_e32 v35, 0x68, v1
	v_and_b32_e32 v4, 0x7f, v4
	v_add_nc_u32_e32 v6, v18, v6
	v_add_nc_u32_e32 v36, 0x70, v1
	;; [unrolled: 1-line block ×3, first 2 shown]
	v_lshrrev_b32_e32 v54, 3, v51
	v_min_i32_e32 v38, s1, v4
	v_mul_hi_u32 v33, v3, v33
	v_xor_b32_e32 v4, 64, v4
	v_ashrrev_i32_e32 v6, 5, v6
	v_min_i32_e32 v35, s1, v35
	v_ashrrev_i32_e32 v40, 31, v38
	v_min_i32_e32 v36, s1, v36
	v_min_i32_e32 v41, s1, v4
	v_max_i32_e32 v4, v48, v39
	v_add_nc_u32_e32 v3, v3, v33
	v_lshrrev_b32_e32 v33, 29, v40
	v_lshlrev_b32_e32 v6, 2, v6
	v_ashrrev_i32_e32 v40, 31, v41
	v_and_b32_e32 v39, 3, v0
	v_mul_hi_u32 v3, v4, v3
	v_add_nc_u32_e32 v33, v38, v33
	v_add3_u32 v49, v6, v43, 0x4e40
	v_lshrrev_b32_e32 v40, 29, v40
	v_mul_lo_u32 v37, v34, s18
	v_lshl_add_u32 v66, v51, 2, v54
	v_ashrrev_i32_e32 v33, 3, v33
	v_lshrrev_b32_e32 v55, 3, v0
	v_mul_lo_u32 v6, v3, s7
	v_add_nc_u32_e32 v40, v41, v40
	v_add_nc_u32_e32 v45, 1, v3
	v_lshlrev_b32_e32 v33, 2, v33
	v_and_b32_e32 v43, 4, v2
	v_add_nc_u32_e32 v42, 0xfe, v39
	v_ashrrev_i32_e32 v40, 3, v40
	v_cmp_gt_u32_e32 vcc_lo, 2, v39
	v_sub_nc_u32_e32 v4, v4, v6
	v_lshlrev_b32_e32 v6, 2, v39
	v_and_b32_e32 v42, 0xff, v42
	v_lshlrev_b32_e32 v40, 2, v40
	v_lshl_add_u32 v59, v1, 7, 0x4a40
	v_subrev_nc_u32_e32 v47, s7, v4
	v_cmp_le_u32_e64 s0, s7, v4
	v_add3_u32 v57, v33, v6, 0x4200
	v_add3_u32 v40, v40, v6, 0x4200
	v_ashrrev_i32_e32 v33, 31, v46
	v_cndmask_b32_e32 v42, v42, v39, vcc_lo
	v_cndmask_b32_e64 v45, v3, v45, s0
	v_cndmask_b32_e64 v6, v4, v47, s0
	v_mad_u64_u32 v[3:4], null, 0x90, v5, s[16:17]
	v_add_nc_u32_e32 v47, 64, v0
	v_add_nc_u32_e32 v46, 1, v45
	v_cmp_le_u32_e64 s0, s7, v6
	v_cmp_lt_u32_e32 vcc_lo, 1, v39
	s_load_dwordx4 s[4:7], s[4:5], 0x0
	v_lshrrev_b32_e32 v53, 3, v47
	v_lshlrev_b32_e32 v62, 4, v1
	v_cndmask_b32_e64 v6, v45, v46, s0
	v_lshlrev_b32_e32 v45, 2, v5
	v_add_nc_u32_e32 v46, 32, v0
	v_lshl_add_u32 v47, v47, 2, v53
	v_cndmask_b32_e32 v56, 0, v43, vcc_lo
	v_xor_b32_e32 v52, v6, v33
	v_mad_i64_i32 v[5:6], null, 0x90, v7, v[3:4]
	v_mad_i64_i32 v[7:8], null, 0x90, v8, v[3:4]
	v_lshrrev_b32_e32 v50, 3, v46
	v_sub_nc_u32_e32 v67, v52, v33
	v_add3_u32 v51, v2, v45, 0x4e40
	v_mul_lo_u32 v18, v18, s18
	v_add_co_u32 v68, s0, v5, v11
	v_add_co_ci_u32_e64 v69, null, 0, v6, s0
	v_mad_i64_i32 v[5:6], null, 0x90, v9, v[3:4]
	v_add_co_u32 v70, s0, v7, v11
	v_add_co_ci_u32_e64 v71, null, 0, v8, s0
	v_mad_i64_i32 v[7:8], null, 0x90, v10, v[3:4]
	;; [unrolled: 3-line block ×10, first 2 shown]
	v_add_co_u32 v88, s0, v5, v11
	v_add_co_ci_u32_e64 v89, null, 0, v6, s0
	v_and_b32_e32 v5, 60, v50
	v_mad_u64_u32 v[30:31], null, 0x84, v19, v[2:3]
	v_add_co_u32 v90, s0, v7, v11
	v_add_co_ci_u32_e64 v91, null, 0, v8, s0
	v_and_b32_e32 v7, 60, v54
	v_min_i32_e32 v8, s1, v44
	v_add3_u32 v52, v2, v5, 0x4e40
	v_mul_lo_u32 v5, v35, s18
	v_and_b32_e32 v6, 60, v53
	v_add3_u32 v54, v2, v7, 0x4e40
	v_mul_lo_u32 v7, v36, s18
	v_mul_lo_u32 v44, v8, s18
	v_mad_u64_u32 v[31:32], null, 0x84, v16, v[2:3]
	v_mad_u64_u32 v[32:33], null, 0x84, v20, v[2:3]
	;; [unrolled: 1-line block ×3, first 2 shown]
	v_mad_i64_i32 v[9:10], null, 0x90, v37, v[3:4]
	v_mad_u64_u32 v[34:35], null, 0x84, v35, v[2:3]
	v_mad_u64_u32 v[35:36], null, 0x84, v36, v[2:3]
	v_add3_u32 v53, v2, v6, 0x4e40
	v_add_nc_u32_e32 v16, 0x5050, v2
	v_and_b32_e32 v19, 28, v2
	v_add_nc_u32_e32 v20, v55, v2
	v_mad_i64_i32 v[5:6], null, 0x90, v5, v[3:4]
	v_mad_u64_u32 v[36:37], null, 0x84, v8, v[2:3]
	v_mad_i64_i32 v[7:8], null, 0x90, v7, v[3:4]
	v_mad_i64_i32 v[2:3], null, 0x90, v44, v[3:4]
	v_mul_lo_u32 v4, v38, s18
	v_add_co_u32 v9, s0, v9, v11
	v_mul_lo_u32 v37, v41, s18
	v_add_co_ci_u32_e64 v10, null, 0, v10, s0
	v_add_co_u32 v44, s0, v5, v11
	v_mad_i64_i32 v[4:5], null, 0x90, v4, 0
	v_add_co_ci_u32_e64 v6, null, 0, v6, s0
	v_add_co_u32 v7, s0, v7, v11
	v_add_co_ci_u32_e64 v8, null, 0, v8, s0
	v_add_co_u32 v11, s0, v2, v11
	v_add_co_ci_u32_e64 v45, null, 0, v3, s0
	v_mad_i64_i32 v[2:3], null, 0x90, v37, 0
	v_cndmask_b32_e64 v37, 0, 1, vcc_lo
	v_add_co_u32 v4, vcc_lo, s16, v4
	v_add_co_ci_u32_e64 v5, null, s17, v5, vcc_lo
	v_cmp_ne_u32_e32 vcc_lo, 0, v39
	v_lshlrev_b32_e32 v37, 2, v37
	v_lshlrev_b32_e32 v38, 4, v38
	v_lshl_add_u32 v63, v20, 2, 0x4200
	s_ashr_i32 s0, s12, 31
	v_add_co_ci_u32_e64 v39, null, 0, v42, vcc_lo
	v_add_co_u32 v2, vcc_lo, s16, v2
	v_or_b32_e32 v43, v4, v37
	v_add_nc_u32_e32 v57, v57, v38
	v_lshl_add_u32 v38, v46, 2, v50
	v_or_b32_e32 v104, v2, v37
	v_lshlrev_b32_e32 v37, 4, v41
	v_lshlrev_b32_e32 v39, 2, v39
	s_lshr_b32 s0, s0, 27
	v_lshl_add_u32 v64, v38, 2, 0x4200
	v_add_co_ci_u32_e64 v3, null, s17, v3, vcc_lo
	v_add_nc_u32_e32 v58, v40, v37
	v_and_b32_e32 v37, 31, v0
	s_add_i32 s0, s12, s0
	v_cmp_gt_u32_e32 vcc_lo, 4, v0
	s_ashr_i32 s10, s0, 5
	v_cmp_gt_i32_e64 s0, s11, v67
	v_lshl_add_u32 v61, v37, 2, v59
	s_waitcnt lgkmcnt(0)
	v_add_co_u32 v37, s1, s6, v19
	v_add_co_ci_u32_e64 v38, null, s7, 0, s1
	v_add_co_u32 v1, s1, s4, v68
	v_add_co_ci_u32_e64 v19, null, s5, v69, s1
	;; [unrolled: 2-line block ×39, first 2 shown]
	s_mul_i32 s8, s19, s8
	v_add_co_u32 v4, s1, s4, v104
	v_mul_lo_u32 v67, v67, s10
	s_ashr_i32 s12, s8, 31
	s_and_b32 s19, vcc_lo, s0
	v_add_co_ci_u32_e64 v3, null, s5, v3, s1
	v_add_co_u32 v1, s1, s4, v1
	s_add_u32 s16, s4, s16
	s_addc_u32 s17, s5, s17
	v_add_co_ci_u32_e64 v2, null, s5, v2, s1
	v_mul_u32_u24_e32 v109, 0x84, v0
	v_add_co_u32 v104, s1, v4, 4
	v_mad_i64_i32 v[40:41], null, 0x90, v18, s[16:17]
	v_add_co_ci_u32_e64 v105, null, 0, v3, s1
	v_add_co_u32 v106, s1, v1, 4
	v_lshlrev_b32_e32 v60, 1, v42
	v_lshl_add_u32 v65, v47, 2, 0x4200
	v_lshl_add_u32 v66, v66, 2, 0x4200
	v_add_co_ci_u32_e64 v107, null, 0, v2, s1
	v_add_nc_u32_e32 v108, v16, v62
	v_mov_b32_e32 v118, 0
	v_ashrrev_i32_e32 v110, 31, v67
	v_add_nc_u32_e32 v111, 0x1080, v109
	v_add_nc_u32_e32 v112, 0x1088, v109
	;; [unrolled: 1-line block ×4, first 2 shown]
	v_mov_b32_e32 v115, v0
	v_mov_b32_e32 v117, 0
	;; [unrolled: 1-line block ×4, first 2 shown]
	s_movk_i32 s4, 0x80
	s_branch .LBB192_6
.LBB192_4:                              ;   in Loop: Header=BB192_6 Depth=1
	s_or_b32 exec_lo, exec_lo, s5
	s_waitcnt lgkmcnt(0)
	s_barrier
	buffer_gl0_inv
	ds_read2_b32 v[44:45], v109 offset0:16 offset1:17
	ds_read_b128 v[17:20], v59
	ds_read_b128 v[9:12], v59 offset:16
	ds_read2_b32 v[46:47], v109 offset0:18 offset1:19
	ds_read_b128 v[13:16], v59 offset:32
	ds_read_b128 v[5:8], v59 offset:48
	ds_read_b32 v119, v51
	v_mov_b32_e32 v125, 0
	ds_read2_b32 v[122:123], v109 offset0:20 offset1:21
	ds_read2_b32 v[42:43], v63 offset0:1 offset1:3
	v_add_nc_u32_e32 v120, 0x10c0, v109
	v_mov_b32_e32 v126, 0
	ds_read_b128 v[1:4], v62 offset:20560
	ds_read2_b32 v[128:129], v109 offset0:22 offset1:23
	ds_read2_b32 v[130:131], v109 offset0:24 offset1:25
	v_add_nc_u32_e32 v121, 0x10c8, v109
	v_mov_b32_e32 v127, 0
	v_add_nc_u32_e32 v124, 0x10d0, v109
	v_add_nc_u32_e32 v136, 0x2140, v109
	v_mov_b32_e32 v149, 0
	v_mov_b32_e32 v151, 0
	v_add_nc_u32_e32 v146, 0x31c0, v109
	s_waitcnt lgkmcnt(11)
	v_and_b32_e32 v132, 0xf0f0f0f, v44
	v_and_b32_e32 v134, 0xf0f0f0f, v45
	v_lshrrev_b32_e32 v44, 4, v44
	v_lshrrev_b32_e32 v45, 4, v45
	v_mov_b32_e32 v153, 0
	s_waitcnt lgkmcnt(10)
	v_dot4c_i32_i8 v125, v132, v17
	ds_read2_b32 v[132:133], v120 offset1:1
	s_waitcnt lgkmcnt(9)
	v_and_b32_e32 v120, 0xf0f0f0f, v46
	v_and_b32_e32 v44, 0xf0f0f0f, v44
	v_lshrrev_b32_e32 v46, 4, v46
	v_dot4c_i32_i8 v125, v134, v18
	v_and_b32_e32 v134, 0xf0f0f0f, v47
	v_and_b32_e32 v45, 0xf0f0f0f, v45
	s_waitcnt lgkmcnt(8)
	v_dot4c_i32_i8 v126, v44, v13
	s_waitcnt lgkmcnt(5)
	v_and_b32_e32 v44, 0xf0f0f0f, v122
	v_dot4c_i32_i8 v125, v120, v19
	v_lshrrev_b32_e32 v47, 4, v47
	v_and_b32_e32 v46, 0xf0f0f0f, v46
	v_dot4c_i32_i8 v126, v45, v14
	v_and_b32_e32 v120, 0xf0f0f0f, v123
	v_dot4c_i32_i8 v125, v134, v20
	v_and_b32_e32 v47, 0xf0f0f0f, v47
	v_lshrrev_b32_e32 v122, 4, v122
	v_dot4c_i32_i8 v126, v46, v15
	s_waitcnt lgkmcnt(2)
	v_and_b32_e32 v46, 0xf0f0f0f, v128
	v_dot4c_i32_i8 v125, v44, v9
	ds_read2_b32 v[44:45], v121 offset1:1
	v_and_b32_e32 v134, 0xf0f0f0f, v122
	v_dot4c_i32_i8 v126, v47, v16
	s_waitcnt lgkmcnt(1)
	v_and_b32_e32 v47, 0xf0f0f0f, v132
	v_dot4c_i32_i8 v125, v120, v10
	ds_read_b32 v120, v52 offset:128
	ds_read_b32 v121, v53 offset:256
	;; [unrolled: 1-line block ×3, first 2 shown]
	v_lshrrev_b32_e32 v123, 4, v123
	v_dot4c_i32_i8 v126, v134, v5
	v_dot4c_i32_i8 v127, v47, v17
	;; [unrolled: 1-line block ×3, first 2 shown]
	ds_read2_b32 v[46:47], v124 offset1:1
	v_and_b32_e32 v134, 0xf0f0f0f, v133
	v_add_nc_u32_e32 v124, 0x10d8, v109
	v_and_b32_e32 v123, 0xf0f0f0f, v123
	v_lshrrev_b32_e32 v128, 4, v128
	v_and_b32_e32 v138, 0xf0f0f0f, v129
	v_dot4c_i32_i8 v127, v134, v18
	ds_read2_b32 v[134:135], v124 offset1:1
	ds_read2_b32 v[136:137], v136 offset1:1
	v_dot4c_i32_i8 v126, v123, v6
	v_and_b32_e32 v123, 0xf0f0f0f, v128
	s_waitcnt lgkmcnt(6)
	v_and_b32_e32 v124, 0xf0f0f0f, v44
	v_lshrrev_b32_e32 v128, 4, v129
	v_lshrrev_b32_e32 v129, 4, v132
	;; [unrolled: 1-line block ×3, first 2 shown]
	v_dot4c_i32_i8 v126, v123, v7
	v_dot4c_i32_i8 v127, v124, v19
	v_and_b32_e32 v124, 0xf0f0f0f, v45
	v_and_b32_e32 v123, 0xf0f0f0f, v128
	;; [unrolled: 1-line block ×3, first 2 shown]
	v_lshrrev_b32_e32 v129, 4, v133
	v_and_b32_e32 v44, 0xf0f0f0f, v44
	v_dot4c_i32_i8 v127, v124, v20
	s_waitcnt lgkmcnt(2)
	v_and_b32_e32 v124, 0xf0f0f0f, v46
	v_dot4c_i32_i8 v126, v123, v8
	v_and_b32_e32 v123, 0xf0f0f0f, v47
	v_dot4c_i32_i8 v149, v128, v13
	s_waitcnt lgkmcnt(1)
	v_and_b32_e32 v140, 0xf0f0f0f, v134
	v_dot4c_i32_i8 v127, v124, v9
	v_and_b32_e32 v124, 0xf0f0f0f, v129
	v_lshrrev_b32_e32 v45, 4, v45
	v_lshrrev_b32_e32 v46, 4, v46
	v_dot4c_i32_i8 v125, v138, v12
	v_dot4c_i32_i8 v127, v123, v10
	v_dot4c_i32_i8 v149, v124, v14
	v_and_b32_e32 v124, 0xf0f0f0f, v45
	ds_read2_b32 v[128:129], v109 offset0:26 offset1:27
	ds_read2_b32 v[132:133], v109 offset0:28 offset1:29
	;; [unrolled: 1-line block ×3, first 2 shown]
	v_and_b32_e32 v46, 0xf0f0f0f, v46
	v_dot4c_i32_i8 v127, v140, v11
	v_dot4c_i32_i8 v149, v44, v15
	v_add_nc_u32_e32 v140, 0x2148, v109
	v_and_b32_e32 v142, 0xf0f0f0f, v135
	v_lshrrev_b32_e32 v47, 4, v47
	ds_read2_b32 v[44:45], v64 offset0:1 offset1:3
	v_dot4c_i32_i8 v149, v124, v16
	ds_read2_b32 v[140:141], v140 offset1:1
	v_dot4c_i32_i8 v127, v142, v12
	s_waitcnt lgkmcnt(5)
	v_and_b32_e32 v124, 0xf0f0f0f, v136
	v_and_b32_e32 v47, 0xf0f0f0f, v47
	v_dot4c_i32_i8 v149, v46, v5
	v_add_nc_u32_e32 v46, 0x2150, v109
	v_lshrrev_b32_e32 v134, 4, v134
	v_dot4c_i32_i8 v151, v124, v17
	v_and_b32_e32 v124, 0xf0f0f0f, v137
	v_dot4c_i32_i8 v149, v47, v6
	ds_read2_b32 v[142:143], v46 offset1:1
	v_add_nc_u32_e32 v46, 0x2158, v109
	ds_read2_b32 v[144:145], v46 offset1:1
	ds_read2_b32 v[146:147], v146 offset1:1
	v_dot4c_i32_i8 v151, v124, v18
	v_lshrrev_b32_e32 v124, 4, v136
	v_and_b32_e32 v47, 0xf0f0f0f, v134
	s_waitcnt lgkmcnt(3)
	v_and_b32_e32 v46, 0xf0f0f0f, v140
	v_lshrrev_b32_e32 v134, 4, v137
	v_add_nc_u32_e32 v137, 0x31c8, v109
	v_and_b32_e32 v124, 0xf0f0f0f, v124
	v_dot4c_i32_i8 v149, v47, v7
	v_dot4c_i32_i8 v151, v46, v19
	v_and_b32_e32 v46, 0xf0f0f0f, v141
	v_lshrrev_b32_e32 v47, 4, v135
	v_dot4c_i32_i8 v153, v124, v13
	v_and_b32_e32 v124, 0xf0f0f0f, v134
	v_lshrrev_b32_e32 v134, 4, v140
	v_dot4c_i32_i8 v151, v46, v20
	s_waitcnt lgkmcnt(2)
	v_and_b32_e32 v46, 0xf0f0f0f, v142
	v_lshrrev_b32_e32 v135, 4, v141
	v_dot4c_i32_i8 v153, v124, v14
	v_and_b32_e32 v134, 0xf0f0f0f, v134
	v_and_b32_e32 v136, 0xf0f0f0f, v143
	v_dot4c_i32_i8 v151, v46, v9
	v_lshrrev_b32_e32 v141, 4, v143
	v_and_b32_e32 v47, 0xf0f0f0f, v47
	v_dot4c_i32_i8 v153, v134, v15
	v_and_b32_e32 v134, 0xf0f0f0f, v135
	v_lshrrev_b32_e32 v135, 4, v142
	v_dot4c_i32_i8 v151, v136, v10
	s_waitcnt lgkmcnt(1)
	v_and_b32_e32 v136, 0xf0f0f0f, v144
	v_mov_b32_e32 v142, 0
	v_dot4c_i32_i8 v153, v134, v16
	v_and_b32_e32 v140, 0xf0f0f0f, v135
	ds_read2_b32 v[134:135], v137 offset1:1
	v_dot4c_i32_i8 v151, v136, v11
	v_and_b32_e32 v136, 0xf0f0f0f, v145
	v_and_b32_e32 v137, 0xf0f0f0f, v141
	v_dot4c_i32_i8 v153, v140, v5
	s_waitcnt lgkmcnt(1)
	v_and_b32_e32 v140, 0xf0f0f0f, v146
	v_lshrrev_b32_e32 v146, 4, v146
	v_dot4c_i32_i8 v151, v136, v12
	v_add_nc_u32_e32 v136, 0x31d0, v109
	v_dot4c_i32_i8 v153, v137, v6
	v_dot4c_i32_i8 v142, v140, v17
	v_and_b32_e32 v17, 0xf0f0f0f, v147
	v_add_nc_u32_e32 v140, 0x31d8, v109
	ds_read2_b32 v[136:137], v136 offset1:1
	v_add_nc_u32_e32 v141, 0x10e0, v109
	v_and_b32_e32 v146, 0xf0f0f0f, v146
	v_dot4c_i32_i8 v142, v17, v18
	v_mov_b32_e32 v156, 0
	v_lshrrev_b32_e32 v147, 4, v147
	v_dot4c_i32_i8 v149, v47, v8
	s_waitcnt lgkmcnt(1)
	v_and_b32_e32 v155, 0xf0f0f0f, v134
	ds_read2_b32 v[46:47], v65 offset0:1 offset1:3
	ds_read2_b32 v[17:18], v140 offset1:1
	ds_read2_b32 v[140:141], v141 offset1:1
	v_dot4c_i32_i8 v156, v146, v13
	v_and_b32_e32 v13, 0xf0f0f0f, v147
	v_dot4c_i32_i8 v142, v155, v19
	v_and_b32_e32 v19, 0xf0f0f0f, v135
	v_lshrrev_b32_e32 v134, 4, v134
	v_lshrrev_b32_e32 v144, 4, v144
	v_dot4c_i32_i8 v156, v13, v14
	v_lshrrev_b32_e32 v14, 4, v135
	v_dot4c_i32_i8 v142, v19, v20
	v_and_b32_e32 v13, 0xf0f0f0f, v134
	s_waitcnt lgkmcnt(3)
	v_and_b32_e32 v19, 0xf0f0f0f, v136
	v_cvt_f32_ubyte0_e32 v148, v43
	v_and_b32_e32 v144, 0xf0f0f0f, v144
	v_cvt_f32_ubyte1_e32 v150, v43
	v_dot4c_i32_i8 v156, v13, v15
	v_dot4c_i32_i8 v142, v19, v9
	v_and_b32_e32 v9, 0xf0f0f0f, v137
	v_and_b32_e32 v13, 0xf0f0f0f, v14
	v_lshrrev_b32_e32 v14, 4, v136
	v_dot4c_i32_i8 v153, v144, v7
	v_cvt_f32_f16_sdwa v123, v119 dst_sel:DWORD dst_unused:UNUSED_PAD src0_sel:WORD_1
	v_dot4c_i32_i8 v142, v9, v10
	v_dot4c_i32_i8 v156, v13, v16
	v_and_b32_e32 v10, 0xf0f0f0f, v14
	v_lshrrev_b32_e32 v13, 4, v137
	s_waitcnt lgkmcnt(1)
	v_and_b32_e32 v9, 0xf0f0f0f, v17
	v_lshrrev_b32_e32 v20, 4, v145
	ds_read2_b32 v[134:135], v66 offset0:1 offset1:3
	v_dot4c_i32_i8 v156, v10, v5
	v_and_b32_e32 v5, 0xff, v42
	v_and_b32_e32 v10, 0xf0f0f0f, v13
	v_bfe_u32 v13, v42, 8, 8
	v_dot4c_i32_i8 v142, v9, v11
	v_lshrrev_b32_e32 v11, 4, v17
	v_mul_lo_u32 v5, v125, v5
	v_dot4c_i32_i8 v156, v10, v6
	v_mul_lo_u32 v10, v126, v13
	v_and_b32_e32 v9, 0xf0f0f0f, v18
	v_and_b32_e32 v6, 0xf0f0f0f, v11
	;; [unrolled: 1-line block ×3, first 2 shown]
	v_cvt_f32_ubyte0_e32 v152, v45
	v_cvt_f32_ubyte1_e32 v154, v45
	v_cvt_f32_i32_e32 v5, v5
	v_dot4c_i32_i8 v156, v6, v7
	v_fma_mix_f32 v6, v1, v148, 0 op_sel:[1,0,0] op_sel_hi:[1,0,0]
	v_lshrrev_b32_e32 v7, 4, v18
	v_dot4c_i32_i8 v142, v9, v12
	v_cvt_f32_i32_e32 v9, v10
	v_and_b32_e32 v10, 0xff, v44
	v_fma_mix_f32 v5, v1, v5, 0 op_sel_hi:[1,0,0]
	v_fma_mix_f32 v6, v2, v150, v6 op_sel:[1,0,0] op_sel_hi:[1,0,0]
	v_and_b32_e32 v7, 0xf0f0f0f, v7
	v_bfe_u32 v12, v44, 8, 8
	v_mul_lo_u32 v10, v127, v10
	v_fma_mix_f32 v5, v2, v9, v5 op_sel_hi:[1,0,0]
	v_mul_f32_e32 v6, v6, v123
	v_dot4c_i32_i8 v156, v7, v8
	v_and_b32_e32 v7, 0xff, v46
	v_mul_lo_u32 v9, v149, v12
	v_dot4c_i32_i8 v153, v15, v8
	v_fma_mix_f32 v5, v5, v119, -v6 op_sel_hi:[0,1,0]
	v_cvt_f32_i32_e32 v6, v10
	v_bfe_u32 v10, v46, 8, 8
	v_mul_lo_u32 v7, v151, v7
	v_fma_mix_f32 v8, v1, v152, 0 op_sel:[1,0,0] op_sel_hi:[1,0,0]
	v_cvt_f32_ubyte0_e32 v143, v47
	v_cvt_f32_f16_sdwa v124, v120 dst_sel:DWORD dst_unused:UNUSED_PAD src0_sel:WORD_1
	v_mul_lo_u32 v10, v153, v10
	v_cvt_f32_i32_e32 v9, v9
	v_fma_mix_f32 v6, v1, v6, 0 op_sel_hi:[1,0,0]
	v_fma_mix_f32 v8, v2, v154, v8 op_sel:[1,0,0] op_sel_hi:[1,0,0]
	v_cvt_f32_ubyte1_e32 v11, v47
	v_cvt_f32_i32_e32 v12, v7
	v_fma_mix_f32 v13, v1, v143, 0 op_sel:[1,0,0] op_sel_hi:[1,0,0]
	v_add_f32_e32 v118, v118, v5
	v_fma_mix_f32 v9, v2, v9, v6 op_sel_hi:[1,0,0]
	v_mul_f32_e32 v14, v8, v124
	ds_read_b128 v[5:8], v59 offset:64
	v_cvt_f32_i32_e32 v10, v10
	v_fma_mix_f32 v12, v1, v12, 0 op_sel_hi:[1,0,0]
	v_fma_mix_f32 v11, v2, v11, v13 op_sel:[1,0,0] op_sel_hi:[1,0,0]
	s_waitcnt lgkmcnt(1)
	v_and_b32_e32 v13, 0xff, v134
	v_cvt_f32_f16_sdwa v136, v121 dst_sel:DWORD dst_unused:UNUSED_PAD src0_sel:WORD_1
	v_fma_mix_f32 v9, v9, v120, -v14 op_sel_hi:[0,1,0]
	v_fma_mix_f32 v10, v2, v10, v12 op_sel_hi:[1,0,0]
	v_and_b32_e32 v19, 0xf0f0f0f, v130
	v_mul_lo_u32 v12, v142, v13
	v_mul_f32_e32 v11, v11, v136
	v_add_f32_e32 v142, v117, v9
	v_bfe_u32 v9, v134, 8, 8
	v_mov_b32_e32 v145, 0
	v_cvt_f32_ubyte0_e32 v17, v135
	v_fma_mix_f32 v18, v10, v121, -v11 op_sel_hi:[0,1,0]
	v_and_b32_e32 v125, 0xf0f0f0f, v129
	v_mul_lo_u32 v20, v156, v9
	v_cvt_f32_i32_e32 v117, v12
	ds_read_b128 v[9:12], v59 offset:80
	ds_read_b128 v[13:16], v59 offset:96
	s_waitcnt lgkmcnt(2)
	v_dot4c_i32_i8 v145, v19, v5
	v_and_b32_e32 v19, 0xf0f0f0f, v131
	v_add_f32_e32 v146, v116, v18
	v_mov_b32_e32 v148, 0
	v_lshrrev_b32_e32 v127, 4, v131
	v_cvt_f32_i32_e32 v18, v20
	v_fma_mix_f32 v20, v1, v117, 0 op_sel_hi:[1,0,0]
	v_dot4c_i32_i8 v145, v19, v6
	v_and_b32_e32 v19, 0xf0f0f0f, v128
	v_fma_mix_f32 v1, v1, v17, 0 op_sel:[1,0,0] op_sel_hi:[1,0,0]
	v_lshrrev_b32_e32 v17, 4, v130
	v_cvt_f32_ubyte1_e32 v117, v135
	v_fma_mix_f32 v116, v2, v18, v20 op_sel_hi:[1,0,0]
	v_dot4c_i32_i8 v145, v19, v7
	v_cvt_f32_f16_sdwa v149, v122 dst_sel:DWORD dst_unused:UNUSED_PAD src0_sel:WORD_1
	v_and_b32_e32 v126, 0xf0f0f0f, v17
	ds_read_b128 v[17:20], v59 offset:112
	v_fma_mix_f32 v1, v2, v117, v1 op_sel:[1,0,0] op_sel_hi:[1,0,0]
	v_dot4c_i32_i8 v145, v125, v8
	v_and_b32_e32 v125, 0xf0f0f0f, v132
	s_waitcnt lgkmcnt(1)
	v_dot4c_i32_i8 v148, v126, v13
	v_and_b32_e32 v126, 0xf0f0f0f, v127
	v_lshrrev_b32_e32 v127, 4, v128
	v_and_b32_e32 v2, 0xf0f0f0f, v133
	v_dot4c_i32_i8 v145, v125, v9
	v_lshrrev_b32_e32 v125, 4, v129
	v_dot4c_i32_i8 v148, v126, v14
	v_and_b32_e32 v117, 0xf0f0f0f, v127
	v_mul_f32_e32 v1, v1, v149
	v_dot4c_i32_i8 v145, v2, v10
	v_and_b32_e32 v2, 0xf0f0f0f, v138
	v_lshrrev_b32_e32 v126, 4, v133
	v_dot4c_i32_i8 v148, v117, v15
	v_and_b32_e32 v117, 0xf0f0f0f, v125
	v_lshrrev_b32_e32 v125, 4, v132
	v_dot4c_i32_i8 v145, v2, v11
	v_and_b32_e32 v2, 0xf0f0f0f, v139
	v_fma_mix_f32 v133, v116, v122, -v1 op_sel_hi:[0,1,0]
	v_dot4c_i32_i8 v148, v117, v16
	v_add_nc_u32_e32 v117, 0x10e8, v109
	v_and_b32_e32 v125, 0xf0f0f0f, v125
	v_dot4c_i32_i8 v145, v2, v12
	v_and_b32_e32 v116, 0xf0f0f0f, v126
	v_add_nc_u32_e32 v126, 0x10f0, v109
	ds_read2_b32 v[1:2], v117 offset1:1
	s_waitcnt lgkmcnt(1)
	v_dot4c_i32_i8 v148, v125, v17
	v_lshrrev_b32_e32 v117, 4, v138
	v_and_b32_e32 v125, 0xf0f0f0f, v140
	v_mov_b32_e32 v138, 0
	v_lshrrev_b32_e32 v129, 4, v140
	v_dot4c_i32_i8 v148, v116, v18
	v_and_b32_e32 v127, 0xf0f0f0f, v117
	ds_read2_b32 v[116:117], v126 offset1:1
	v_dot4c_i32_i8 v138, v125, v5
	v_and_b32_e32 v125, 0xf0f0f0f, v141
	v_add_nc_u32_e32 v126, 0x10f8, v109
	v_lshrrev_b32_e32 v131, 4, v139
	v_and_b32_e32 v129, 0xf0f0f0f, v129
	v_mov_b32_e32 v139, 0
	v_dot4c_i32_i8 v138, v125, v6
	v_lshrrev_b32_e32 v132, 4, v141
	v_add_nc_u32_e32 v128, 0x2160, v109
	v_dot4c_i32_i8 v148, v127, v19
	ds_read2_b32 v[125:126], v126 offset1:1
	ds_read2_b32 v[127:128], v128 offset1:1
	s_waitcnt lgkmcnt(3)
	v_and_b32_e32 v130, 0xf0f0f0f, v1
	v_dot4c_i32_i8 v139, v129, v13
	v_and_b32_e32 v129, 0xf0f0f0f, v132
	v_lshrrev_b32_e32 v1, 4, v1
	v_and_b32_e32 v131, 0xf0f0f0f, v131
	v_dot4c_i32_i8 v138, v130, v7
	v_and_b32_e32 v130, 0xf0f0f0f, v2
	v_dot4c_i32_i8 v139, v129, v14
	v_and_b32_e32 v1, 0xf0f0f0f, v1
	v_lshrrev_b32_e32 v2, 4, v2
	v_dot4c_i32_i8 v148, v131, v20
	v_dot4c_i32_i8 v138, v130, v8
	s_waitcnt lgkmcnt(2)
	v_and_b32_e32 v130, 0xf0f0f0f, v116
	v_dot4c_i32_i8 v139, v1, v15
	v_and_b32_e32 v131, 0xf0f0f0f, v2
	v_lshrrev_b32_e32 v116, 4, v116
	v_and_b32_e32 v129, 0xf0f0f0f, v117
	v_dot4c_i32_i8 v138, v130, v9
	v_add_nc_u32_e32 v130, 0x2168, v109
	v_dot4c_i32_i8 v139, v131, v16
	v_and_b32_e32 v116, 0xf0f0f0f, v116
	v_mov_b32_e32 v140, 0
	v_dot4c_i32_i8 v138, v129, v10
	ds_read2_b32 v[1:2], v130 offset1:1
	v_add_nc_u32_e32 v130, 0x2170, v109
	s_waitcnt lgkmcnt(1)
	v_and_b32_e32 v129, 0xf0f0f0f, v127
	v_dot4c_i32_i8 v139, v116, v17
	v_lshrrev_b32_e32 v131, 4, v117
	v_add_nc_u32_e32 v132, 0x31e0, v109
	ds_read2_b32 v[116:117], v130 offset1:1
	v_dot4c_i32_i8 v140, v129, v5
	v_and_b32_e32 v129, 0xf0f0f0f, v128
	v_add_nc_u32_e32 v130, 0x2178, v109
	v_and_b32_e32 v141, 0xf0f0f0f, v125
	v_and_b32_e32 v151, 0xf0f0f0f, v131
	v_lshrrev_b32_e32 v125, 4, v125
	v_dot4c_i32_i8 v140, v129, v6
	ds_read2_b32 v[129:130], v130 offset1:1
	ds_read2_b32 v[131:132], v132 offset1:1
	v_lshrrev_b32_e32 v127, 4, v127
	v_dot4c_i32_i8 v139, v151, v18
	v_and_b32_e32 v125, 0xf0f0f0f, v125
	v_dot4c_i32_i8 v138, v141, v11
	v_and_b32_e32 v141, 0xf0f0f0f, v126
	s_waitcnt lgkmcnt(3)
	v_and_b32_e32 v152, 0xf0f0f0f, v1
	v_and_b32_e32 v151, 0xf0f0f0f, v2
	v_dot4c_i32_i8 v139, v125, v19
	v_lshrrev_b32_e32 v126, 4, v126
	v_and_b32_e32 v127, 0xf0f0f0f, v127
	v_dot4c_i32_i8 v140, v152, v7
	s_waitcnt lgkmcnt(2)
	v_and_b32_e32 v125, 0xf0f0f0f, v116
	v_lshrrev_b32_e32 v128, 4, v128
	v_and_b32_e32 v126, 0xf0f0f0f, v126
	v_lshrrev_b32_e32 v1, 4, v1
	v_dot4c_i32_i8 v140, v151, v8
	v_mov_b32_e32 v151, 0
	v_lshrrev_b32_e32 v2, 4, v2
	v_dot4c_i32_i8 v139, v126, v20
	v_and_b32_e32 v1, 0xf0f0f0f, v1
	v_dot4c_i32_i8 v140, v125, v9
	v_and_b32_e32 v125, 0xf0f0f0f, v117
	;; [unrolled: 2-line block ×3, first 2 shown]
	v_add_nc_u32_e32 v126, 0x31e8, v109
	v_lshrrev_b32_e32 v116, 4, v116
	v_dot4c_i32_i8 v140, v125, v10
	s_waitcnt lgkmcnt(1)
	v_and_b32_e32 v125, 0xf0f0f0f, v129
	v_dot4c_i32_i8 v151, v127, v14
	v_and_b32_e32 v127, 0xf0f0f0f, v2
	v_and_b32_e32 v116, 0xf0f0f0f, v116
	v_lshrrev_b32_e32 v117, 4, v117
	v_dot4c_i32_i8 v140, v125, v11
	v_and_b32_e32 v125, 0xf0f0f0f, v130
	v_dot4c_i32_i8 v151, v1, v15
	ds_read2_b32 v[1:2], v126 offset1:1
	v_mov_b32_e32 v126, 0
	v_and_b32_e32 v128, 0xf0f0f0f, v117
	v_dot4c_i32_i8 v140, v125, v12
	v_dot4c_i32_i8 v151, v127, v16
	s_waitcnt lgkmcnt(1)
	v_and_b32_e32 v125, 0xf0f0f0f, v131
	v_add_nc_u32_e32 v127, 0x31f0, v109
	v_lshrrev_b32_e32 v129, 4, v129
	v_lshrrev_b32_e32 v137, 24, v42
	v_dot4c_i32_i8 v151, v116, v17
	v_dot4c_i32_i8 v126, v125, v5
	ds_read2_b32 v[116:117], v127 offset1:1
	v_and_b32_e32 v5, 0xf0f0f0f, v132
	v_add_nc_u32_e32 v125, 0x31f8, v109
	v_dot4c_i32_i8 v151, v128, v18
	v_and_b32_e32 v128, 0xf0f0f0f, v129
	v_mov_b32_e32 v129, 0
	v_dot4c_i32_i8 v126, v5, v6
	ds_read2_b32 v[5:6], v125 offset1:1
	v_lshrrev_b32_e32 v127, 4, v131
	s_waitcnt lgkmcnt(2)
	v_and_b32_e32 v125, 0xf0f0f0f, v1
	v_lshrrev_b32_e32 v131, 4, v132
	v_lshrrev_b32_e32 v1, 4, v1
	v_dot4c_i32_i8 v138, v141, v12
	v_and_b32_e32 v127, 0xf0f0f0f, v127
	v_dot4c_i32_i8 v126, v125, v7
	v_and_b32_e32 v7, 0xf0f0f0f, v2
	v_and_b32_e32 v1, 0xf0f0f0f, v1
	v_lshrrev_b32_e32 v2, 4, v2
	v_dot4c_i32_i8 v129, v127, v13
	v_and_b32_e32 v13, 0xf0f0f0f, v131
	v_dot4c_i32_i8 v126, v7, v8
	s_waitcnt lgkmcnt(1)
	v_and_b32_e32 v7, 0xf0f0f0f, v116
	v_lshrrev_b32_e32 v143, 24, v44
	v_lshrrev_b32_e32 v125, 4, v130
	v_dot4c_i32_i8 v129, v13, v14
	v_dot4c_i32_i8 v151, v128, v19
	;; [unrolled: 1-line block ×3, first 2 shown]
	v_and_b32_e32 v7, 0xf0f0f0f, v117
	v_and_b32_e32 v8, 0xf0f0f0f, v125
	v_dot4c_i32_i8 v129, v1, v15
	v_and_b32_e32 v1, 0xf0f0f0f, v2
	v_lshrrev_b32_e32 v2, 4, v116
	v_dot4c_i32_i8 v126, v7, v10
	s_waitcnt lgkmcnt(0)
	v_and_b32_e32 v7, 0xf0f0f0f, v5
	v_bfe_u32 v10, v42, 16, 8
	v_dot4c_i32_i8 v129, v1, v16
	v_and_b32_e32 v1, 0xf0f0f0f, v2
	v_lshrrev_b32_e32 v2, 4, v117
	v_dot4c_i32_i8 v126, v7, v11
	v_and_b32_e32 v7, 0xf0f0f0f, v6
	v_lshrrev_b32_e32 v6, 4, v6
	v_dot4c_i32_i8 v129, v1, v17
	v_and_b32_e32 v1, 0xf0f0f0f, v2
	v_lshrrev_b32_e32 v2, 4, v5
	v_mul_lo_u32 v5, v145, v10
	v_dot4c_i32_i8 v126, v7, v12
	v_bfe_u32 v7, v44, 16, 8
	v_dot4c_i32_i8 v129, v1, v18
	v_mul_lo_u32 v1, v148, v137
	v_and_b32_e32 v2, 0xf0f0f0f, v2
	v_mul_lo_u32 v11, v139, v143
	v_bfe_u32 v12, v134, 16, 8
	v_cvt_f32_i32_e32 v5, v5
	v_cvt_f32_ubyte2_e32 v150, v43
	v_dot4c_i32_i8 v129, v2, v19
	v_and_b32_e32 v2, 0xf0f0f0f, v6
	v_mul_lo_u32 v6, v138, v7
	v_cvt_f32_i32_e32 v1, v1
	v_fma_mix_f32 v5, v3, v5, 0 op_sel_hi:[1,0,0]
	v_lshrrev_b32_e32 v144, 24, v46
	v_lshrrev_b32_e32 v147, 24, v134
	v_dot4c_i32_i8 v151, v8, v20
	v_dot4c_i32_i8 v129, v2, v20
	v_fma_mix_f32 v1, v4, v1, v5 op_sel_hi:[1,0,0]
	v_cvt_f32_i32_e32 v5, v6
	v_bfe_u32 v6, v46, 16, 8
	v_cvt_f32_i32_e32 v11, v11
	v_mul_lo_u32 v12, v126, v12
	v_cvt_f32_ubyte3_e32 v43, v43
	v_fma_mix_f32 v5, v3, v5, 0 op_sel_hi:[1,0,0]
	v_mul_lo_u32 v6, v140, v6
	v_cvt_f32_ubyte2_e32 v141, v45
	v_cvt_f32_ubyte2_e32 v9, v47
	v_fma_mix_f32 v7, v3, v150, 0 op_sel:[1,0,0] op_sel_hi:[1,0,0]
	v_cvt_f32_ubyte2_e32 v10, v135
	v_mul_lo_u32 v13, v151, v144
	v_fma_mix_f32 v5, v4, v11, v5 op_sel_hi:[1,0,0]
	v_mul_lo_u32 v11, v129, v147
	v_cvt_f32_ubyte3_e32 v45, v45
	v_cvt_f32_ubyte3_e32 v8, v47
	v_fma_mix_f32 v2, v4, v43, v7 op_sel:[1,0,0] op_sel_hi:[1,0,0]
	v_fma_mix_f32 v7, v3, v141, 0 op_sel:[1,0,0] op_sel_hi:[1,0,0]
	v_fma_mix_f32 v9, v3, v9, 0 op_sel:[1,0,0] op_sel_hi:[1,0,0]
	v_cvt_f32_i32_e32 v6, v6
	v_cvt_f32_i32_e32 v12, v12
	v_fma_mix_f32 v10, v3, v10, 0 op_sel:[1,0,0] op_sel_hi:[1,0,0]
	v_cvt_f32_ubyte3_e32 v14, v135
	v_fma_mix_f32 v7, v4, v45, v7 op_sel:[1,0,0] op_sel_hi:[1,0,0]
	v_cvt_f32_i32_e32 v13, v13
	v_fma_mix_f32 v6, v3, v6, 0 op_sel_hi:[1,0,0]
	v_fma_mix_f32 v8, v4, v8, v9 op_sel:[1,0,0] op_sel_hi:[1,0,0]
	v_cvt_f32_i32_e32 v9, v11
	v_fma_mix_f32 v3, v3, v12, 0 op_sel_hi:[1,0,0]
	v_fma_mix_f32 v10, v4, v14, v10 op_sel:[1,0,0] op_sel_hi:[1,0,0]
	v_mul_f32_e32 v2, v2, v123
	v_mul_f32_e32 v7, v7, v124
	v_fma_mix_f32 v6, v4, v13, v6 op_sel_hi:[1,0,0]
	v_mul_f32_e32 v8, v8, v136
	v_fma_mix_f32 v3, v4, v9, v3 op_sel_hi:[1,0,0]
	v_mul_f32_e32 v4, v10, v149
	v_add_f32_e32 v9, v39, v133
	v_fma_mix_f32 v1, v1, v119, -v2 op_sel_hi:[0,1,0]
	v_fma_mix_f32 v2, v5, v120, -v7 op_sel_hi:[0,1,0]
	;; [unrolled: 1-line block ×4, first 2 shown]
	v_add_f32_e32 v118, v118, v1
	v_add_f32_e32 v117, v142, v2
	;; [unrolled: 1-line block ×4, first 2 shown]
	s_barrier
	buffer_gl0_inv
.LBB192_5:                              ;   in Loop: Header=BB192_6 Depth=1
	v_add_co_u32 v68, s1, 0x90, v68
	v_add_co_ci_u32_e64 v69, null, 0, v69, s1
	v_add_co_u32 v70, s1, 0x90, v70
	v_add_co_ci_u32_e64 v71, null, 0, v71, s1
	;; [unrolled: 2-line block ×20, first 2 shown]
	v_add_co_u32 v106, s1, 0x90, v106
	v_add_nc_u32_e32 v50, 8, v50
	v_add_nc_u32_e32 v55, 8, v55
	;; [unrolled: 1-line block ×3, first 2 shown]
	v_add_co_ci_u32_e64 v107, null, 0, v107, s1
	s_add_i32 s18, s18, -1
	s_addk_i32 s4, 0x100
	s_cmp_eq_u32 s18, 0
	s_cbranch_scc1 .LBB192_17
.LBB192_6:                              ; =>This Inner Loop Header: Depth=1
	v_add_co_u32 v1, s1, v68, s8
	v_add_co_ci_u32_e64 v2, null, s12, v69, s1
	v_add_co_u32 v3, s1, v70, s8
	v_add_co_ci_u32_e64 v4, null, s12, v71, s1
	;; [unrolled: 2-line block ×5, first 2 shown]
	global_load_dword v11, v[1:2], off
	global_load_dword v12, v[3:4], off
	global_load_dword v13, v[5:6], off
	global_load_dword v14, v[7:8], off
	v_add_co_u32 v1, s1, v78, s8
	v_add_co_ci_u32_e64 v2, null, s12, v79, s1
	v_add_co_u32 v3, s1, v80, s8
	v_add_co_ci_u32_e64 v4, null, s12, v81, s1
	;; [unrolled: 2-line block ×4, first 2 shown]
	global_load_dword v15, v[9:10], off
	global_load_dword v16, v[1:2], off
	;; [unrolled: 1-line block ×5, first 2 shown]
	v_add_co_u32 v1, s1, v86, s8
	v_add_co_ci_u32_e64 v2, null, s12, v87, s1
	v_add_co_u32 v3, s1, v88, s8
	v_add_co_ci_u32_e64 v4, null, s12, v89, s1
	;; [unrolled: 2-line block ×5, first 2 shown]
	global_load_dword v20, v[1:2], off
	global_load_dword v42, v[3:4], off
	;; [unrolled: 1-line block ×5, first 2 shown]
	v_add_co_u32 v1, s1, v102, s8
	v_add_co_ci_u32_e64 v2, null, s12, v103, s1
	v_add_co_u32 v3, s1, v100, s8
	v_add_co_ci_u32_e64 v4, null, s12, v101, s1
	;; [unrolled: 2-line block ×4, first 2 shown]
	global_load_dword v46, v[1:2], off
	global_load_dword v47, v[3:4], off
	;; [unrolled: 1-line block ×4, first 2 shown]
	v_add_co_u32 v9, s1, v96, s8
	v_add_co_ci_u32_e64 v10, null, s12, v97, s1
	v_add_co_u32 v1, s1, v98, s8
	v_add_co_ci_u32_e64 v2, null, s12, v99, s1
	;; [unrolled: 2-line block ×3, first 2 shown]
	global_load_dword v7, v[9:10], off
	global_load_dword v1, v[1:2], off
	global_load_dword v2, v[3:4], off
	s_add_i32 s1, s4, 0xffffff80
	s_waitcnt vmcnt(20)
	ds_write_b32 v21, v11
	s_waitcnt vmcnt(19)
	ds_write_b32 v22, v12
	;; [unrolled: 2-line block ×10, first 2 shown]
	s_cmp_lt_i32 s1, s9
	s_waitcnt vmcnt(10)
	ds_write_b32 v31, v42
	s_waitcnt vmcnt(9)
	ds_write_b32 v32, v43
	;; [unrolled: 2-line block ×4, first 2 shown]
	s_waitcnt vmcnt(6)
	v_ashrrev_i32_e32 v3, v56, v46
	s_waitcnt vmcnt(4)
	v_ashrrev_i32_e32 v4, v56, v5
	v_ashrrev_i32_e32 v5, v60, v47
	s_waitcnt vmcnt(3)
	v_ashrrev_i32_e32 v6, v60, v6
	v_and_b32_e32 v3, 0xf0f0f0f, v3
	v_and_b32_e32 v4, 0xf0f0f0f, v4
	v_and_or_b32 v3, 0x30303030, v5, v3
	v_and_or_b32 v4, 0x30303030, v6, v4
	s_waitcnt vmcnt(2)
	ds_write_b32 v35, v7
	s_waitcnt vmcnt(1)
	ds_write_b32 v36, v1
	;; [unrolled: 2-line block ×3, first 2 shown]
	ds_write_b32 v57, v3
	ds_write_b32 v58, v4
	s_cbranch_scc0 .LBB192_5
; %bb.7:                                ;   in Loop: Header=BB192_6 Depth=1
	v_cmp_gt_i32_e64 s1, s10, v55
	s_and_b32 s5, s0, s1
	s_and_saveexec_b32 s1, s5
	s_cbranch_execz .LBB192_9
; %bb.8:                                ;   in Loop: Header=BB192_6 Depth=1
	v_add_nc_u32_e32 v1, v67, v55
	v_mad_i64_i32 v[1:2], null, v1, 36, v[37:38]
	global_load_dword v1, v[1:2], off offset:4
	s_waitcnt vmcnt(0)
	ds_write_b32 v61, v1
.LBB192_9:                              ;   in Loop: Header=BB192_6 Depth=1
	s_or_b32 exec_lo, exec_lo, s1
	v_cmp_gt_i32_e64 s1, s10, v115
	s_and_b32 s5, s19, s1
	s_and_saveexec_b32 s1, s5
	s_cbranch_execz .LBB192_11
; %bb.10:                               ;   in Loop: Header=BB192_6 Depth=1
	v_add_nc_u32_e32 v1, v67, v115
	v_mad_i64_i32 v[1:2], null, v1, 36, s[6:7]
	global_load_dword v1, v[1:2], off
	s_waitcnt vmcnt(0)
	ds_write_b32 v108, v1
.LBB192_11:                             ;   in Loop: Header=BB192_6 Depth=1
	s_or_b32 exec_lo, exec_lo, s1
	s_waitcnt lgkmcnt(0)
	s_barrier
	buffer_gl0_inv
	ds_read2_b32 v[44:45], v109 offset1:1
	ds_read_b128 v[17:20], v59
	ds_read_b128 v[9:12], v59 offset:16
	ds_read2_b32 v[46:47], v109 offset0:2 offset1:3
	ds_read_b128 v[13:16], v59 offset:32
	ds_read_b128 v[5:8], v59 offset:48
	ds_read2_b32 v[123:124], v109 offset0:4 offset1:5
	ds_read_b32 v119, v51
	v_mov_b32_e32 v125, 0
	ds_read2_b32 v[128:129], v109 offset0:6 offset1:7
	ds_read2_b32 v[42:43], v63 offset1:2
	v_mov_b32_e32 v126, 0
	ds_read2_b32 v[130:131], v112 offset1:1
	ds_read_b128 v[1:4], v62 offset:20560
	ds_read_b32 v120, v52 offset:128
	ds_read2_b32 v[132:133], v111 offset1:1
	v_mov_b32_e32 v127, 0
	ds_read_b32 v121, v53 offset:256
	ds_read_b32 v122, v54 offset:384
	ds_read2_b32 v[134:135], v109 offset0:8 offset1:9
	v_mov_b32_e32 v149, 0
	v_mov_b32_e32 v151, 0
	v_add_nc_u32_e32 v146, 0x3180, v109
	v_mov_b32_e32 v153, 0
	v_mov_b32_e32 v156, 0
	s_cmp_ge_i32 s4, s9
	s_waitcnt lgkmcnt(16)
	v_and_b32_e32 v136, 0xf0f0f0f, v44
	v_lshrrev_b32_e32 v44, 4, v44
	v_and_b32_e32 v137, 0xf0f0f0f, v45
	v_lshrrev_b32_e32 v45, 4, v45
	s_waitcnt lgkmcnt(13)
	v_and_b32_e32 v138, 0xf0f0f0f, v47
	v_dot4c_i32_i8 v125, v136, v17
	v_and_b32_e32 v44, 0xf0f0f0f, v44
	v_and_b32_e32 v136, 0xf0f0f0f, v46
	v_lshrrev_b32_e32 v46, 4, v46
	v_and_b32_e32 v45, 0xf0f0f0f, v45
	v_dot4c_i32_i8 v125, v137, v18
	s_waitcnt lgkmcnt(12)
	v_dot4c_i32_i8 v126, v44, v13
	v_lshrrev_b32_e32 v47, 4, v47
	v_and_b32_e32 v46, 0xf0f0f0f, v46
	s_waitcnt lgkmcnt(10)
	v_and_b32_e32 v139, 0xf0f0f0f, v123
	v_dot4c_i32_i8 v125, v136, v19
	v_dot4c_i32_i8 v126, v45, v14
	v_lshrrev_b32_e32 v45, 4, v123
	v_and_b32_e32 v47, 0xf0f0f0f, v47
	v_and_b32_e32 v137, 0xf0f0f0f, v124
	v_dot4c_i32_i8 v125, v138, v20
	v_dot4c_i32_i8 v126, v46, v15
	v_lshrrev_b32_e32 v123, 4, v124
	s_waitcnt lgkmcnt(3)
	v_and_b32_e32 v46, 0xf0f0f0f, v132
	v_and_b32_e32 v124, 0xf0f0f0f, v45
	v_dot4c_i32_i8 v125, v139, v9
	v_dot4c_i32_i8 v126, v47, v16
	v_and_b32_e32 v47, 0xf0f0f0f, v133
	v_dot4c_i32_i8 v127, v46, v17
	ds_read2_b32 v[45:46], v113 offset1:1
	v_and_b32_e32 v123, 0xf0f0f0f, v123
	v_dot4c_i32_i8 v126, v124, v5
	v_lshrrev_b32_e32 v124, 4, v128
	v_and_b32_e32 v44, 0xf0f0f0f, v128
	v_dot4c_i32_i8 v125, v137, v10
	v_dot4c_i32_i8 v127, v47, v18
	;; [unrolled: 1-line block ×3, first 2 shown]
	v_and_b32_e32 v47, 0xf0f0f0f, v124
	v_lshrrev_b32_e32 v123, 4, v129
	v_lshrrev_b32_e32 v124, 4, v132
	v_dot4c_i32_i8 v125, v44, v11
	v_add_nc_u32_e32 v44, 0x2100, v109
	ds_read2_b32 v[136:137], v114 offset1:1
	ds_read2_b32 v[138:139], v44 offset1:1
	v_and_b32_e32 v44, 0xf0f0f0f, v130
	v_dot4c_i32_i8 v126, v47, v7
	v_and_b32_e32 v47, 0xf0f0f0f, v123
	v_and_b32_e32 v123, 0xf0f0f0f, v124
	v_lshrrev_b32_e32 v124, 4, v133
	v_dot4c_i32_i8 v127, v44, v19
	v_and_b32_e32 v44, 0xf0f0f0f, v131
	v_dot4c_i32_i8 v126, v47, v8
	v_dot4c_i32_i8 v149, v123, v13
	v_and_b32_e32 v47, 0xf0f0f0f, v124
	v_lshrrev_b32_e32 v123, 4, v130
	v_dot4c_i32_i8 v127, v44, v20
	s_waitcnt lgkmcnt(2)
	v_and_b32_e32 v44, 0xf0f0f0f, v45
	v_lshrrev_b32_e32 v124, 4, v131
	v_dot4c_i32_i8 v149, v47, v14
	v_and_b32_e32 v47, 0xf0f0f0f, v123
	v_and_b32_e32 v140, 0xf0f0f0f, v129
	v_dot4c_i32_i8 v127, v44, v9
	v_and_b32_e32 v44, 0xf0f0f0f, v46
	v_lshrrev_b32_e32 v142, 4, v45
	v_dot4c_i32_i8 v149, v47, v15
	v_and_b32_e32 v47, 0xf0f0f0f, v124
	v_add_nc_u32_e32 v124, 0x2108, v109
	v_dot4c_i32_i8 v125, v140, v12
	v_dot4c_i32_i8 v127, v44, v10
	s_waitcnt lgkmcnt(1)
	v_and_b32_e32 v44, 0xf0f0f0f, v136
	ds_read2_b32 v[128:129], v109 offset0:10 offset1:11
	ds_read2_b32 v[130:131], v109 offset0:12 offset1:13
	;; [unrolled: 1-line block ×3, first 2 shown]
	v_dot4c_i32_i8 v149, v47, v16
	ds_read2_b32 v[140:141], v124 offset1:1
	v_and_b32_e32 v47, 0xf0f0f0f, v142
	v_dot4c_i32_i8 v127, v44, v11
	v_and_b32_e32 v143, 0xf0f0f0f, v137
	v_lshrrev_b32_e32 v46, 4, v46
	ds_read2_b32 v[44:45], v64 offset1:2
	v_dot4c_i32_i8 v149, v47, v5
	v_add_nc_u32_e32 v47, 0x2110, v109
	v_dot4c_i32_i8 v127, v143, v12
	v_and_b32_e32 v46, 0xf0f0f0f, v46
	v_lshrrev_b32_e32 v136, 4, v136
	v_cvt_f32_ubyte0_e32 v148, v43
	ds_read2_b32 v[142:143], v47 offset1:1
	s_waitcnt lgkmcnt(6)
	v_and_b32_e32 v124, 0xf0f0f0f, v138
	v_add_nc_u32_e32 v47, 0x2118, v109
	ds_read2_b32 v[144:145], v47 offset1:1
	ds_read2_b32 v[146:147], v146 offset1:1
	v_dot4c_i32_i8 v151, v124, v17
	v_and_b32_e32 v124, 0xf0f0f0f, v139
	s_waitcnt lgkmcnt(4)
	v_and_b32_e32 v47, 0xf0f0f0f, v140
	v_dot4c_i32_i8 v149, v46, v6
	v_and_b32_e32 v46, 0xf0f0f0f, v136
	v_lshrrev_b32_e32 v136, 4, v139
	v_dot4c_i32_i8 v151, v124, v18
	v_lshrrev_b32_e32 v124, 4, v138
	v_add_nc_u32_e32 v139, 0x3188, v109
	v_dot4c_i32_i8 v149, v46, v7
	v_lshrrev_b32_e32 v46, 4, v137
	v_dot4c_i32_i8 v151, v47, v19
	v_and_b32_e32 v47, 0xf0f0f0f, v141
	v_and_b32_e32 v124, 0xf0f0f0f, v124
	v_lshrrev_b32_e32 v137, 4, v141
	s_waitcnt lgkmcnt(2)
	v_and_b32_e32 v138, 0xf0f0f0f, v143
	v_lshrrev_b32_e32 v141, 4, v143
	v_dot4c_i32_i8 v151, v47, v20
	v_and_b32_e32 v47, 0xf0f0f0f, v142
	v_dot4c_i32_i8 v153, v124, v13
	v_and_b32_e32 v124, 0xf0f0f0f, v136
	v_lshrrev_b32_e32 v136, 4, v140
	v_and_b32_e32 v46, 0xf0f0f0f, v46
	v_dot4c_i32_i8 v151, v47, v9
	v_cvt_f32_ubyte1_e32 v150, v43
	v_dot4c_i32_i8 v153, v124, v14
	v_and_b32_e32 v136, 0xf0f0f0f, v136
	v_dot4c_i32_i8 v149, v46, v8
	v_dot4c_i32_i8 v151, v138, v10
	s_waitcnt lgkmcnt(1)
	v_and_b32_e32 v138, 0xf0f0f0f, v144
	ds_read2_b32 v[46:47], v65 offset1:2
	v_dot4c_i32_i8 v153, v136, v15
	v_and_b32_e32 v136, 0xf0f0f0f, v137
	v_lshrrev_b32_e32 v137, 4, v142
	v_dot4c_i32_i8 v151, v138, v11
	v_and_b32_e32 v138, 0xf0f0f0f, v145
	v_mov_b32_e32 v142, 0
	v_dot4c_i32_i8 v153, v136, v16
	v_and_b32_e32 v140, 0xf0f0f0f, v137
	ds_read2_b32 v[136:137], v139 offset1:1
	v_and_b32_e32 v139, 0xf0f0f0f, v141
	v_dot4c_i32_i8 v151, v138, v12
	v_add_nc_u32_e32 v138, 0x3190, v109
	v_dot4c_i32_i8 v153, v140, v5
	s_waitcnt lgkmcnt(2)
	v_and_b32_e32 v140, 0xf0f0f0f, v146
	v_lshrrev_b32_e32 v146, 4, v146
	v_add_nc_u32_e32 v141, 0x10a0, v109
	v_lshrrev_b32_e32 v144, 4, v144
	v_dot4c_i32_i8 v153, v139, v6
	ds_read2_b32 v[138:139], v138 offset1:1
	v_dot4c_i32_i8 v142, v140, v17
	v_and_b32_e32 v17, 0xf0f0f0f, v147
	v_add_nc_u32_e32 v140, 0x3198, v109
	v_and_b32_e32 v146, 0xf0f0f0f, v146
	v_lshrrev_b32_e32 v147, 4, v147
	v_and_b32_e32 v144, 0xf0f0f0f, v144
	v_dot4c_i32_i8 v142, v17, v18
	ds_read2_b32 v[17:18], v140 offset1:1
	ds_read2_b32 v[140:141], v141 offset1:1
	v_dot4c_i32_i8 v156, v146, v13
	s_waitcnt lgkmcnt(3)
	v_and_b32_e32 v155, 0xf0f0f0f, v136
	v_and_b32_e32 v13, 0xf0f0f0f, v147
	v_lshrrev_b32_e32 v136, 4, v136
	v_dot4c_i32_i8 v153, v144, v7
	v_cvt_f32_f16_sdwa v123, v119 dst_sel:DWORD dst_unused:UNUSED_PAD src0_sel:WORD_1
	v_dot4c_i32_i8 v142, v155, v19
	v_and_b32_e32 v19, 0xf0f0f0f, v137
	v_dot4c_i32_i8 v156, v13, v14
	v_and_b32_e32 v13, 0xf0f0f0f, v136
	v_lshrrev_b32_e32 v14, 4, v137
	ds_read2_b32 v[136:137], v66 offset1:2
	v_dot4c_i32_i8 v142, v19, v20
	s_waitcnt lgkmcnt(3)
	v_and_b32_e32 v19, 0xf0f0f0f, v138
	v_dot4c_i32_i8 v156, v13, v15
	v_and_b32_e32 v13, 0xf0f0f0f, v14
	v_lshrrev_b32_e32 v14, 4, v138
	v_lshrrev_b32_e32 v20, 4, v145
	v_dot4c_i32_i8 v142, v19, v9
	v_and_b32_e32 v9, 0xf0f0f0f, v139
	v_dot4c_i32_i8 v156, v13, v16
	v_lshrrev_b32_e32 v13, 4, v139
	v_and_b32_e32 v15, 0xf0f0f0f, v20
	v_cvt_f32_ubyte0_e32 v152, v45
	v_dot4c_i32_i8 v142, v9, v10
	v_and_b32_e32 v10, 0xf0f0f0f, v14
	s_waitcnt lgkmcnt(2)
	v_and_b32_e32 v9, 0xf0f0f0f, v17
	v_dot4c_i32_i8 v153, v15, v8
	v_cvt_f32_ubyte1_e32 v154, v45
	v_cvt_f32_ubyte0_e32 v143, v47
	v_dot4c_i32_i8 v156, v10, v5
	v_and_b32_e32 v5, 0xff, v42
	v_and_b32_e32 v10, 0xf0f0f0f, v13
	v_bfe_u32 v13, v42, 8, 8
	v_dot4c_i32_i8 v142, v9, v11
	v_lshrrev_b32_e32 v11, 4, v17
	v_mul_lo_u32 v5, v125, v5
	v_dot4c_i32_i8 v156, v10, v6
	v_mul_lo_u32 v10, v126, v13
	v_and_b32_e32 v9, 0xf0f0f0f, v18
	v_and_b32_e32 v6, 0xf0f0f0f, v11
	v_cvt_f32_f16_sdwa v124, v120 dst_sel:DWORD dst_unused:UNUSED_PAD src0_sel:WORD_1
	v_cvt_f32_ubyte1_e32 v11, v47
	v_fma_mix_f32 v13, v1, v143, 0 op_sel:[1,0,0] op_sel_hi:[1,0,0]
	v_cvt_f32_i32_e32 v5, v5
	v_dot4c_i32_i8 v156, v6, v7
	v_fma_mix_f32 v6, v1, v148, 0 op_sel:[1,0,0] op_sel_hi:[1,0,0]
	v_lshrrev_b32_e32 v7, 4, v18
	v_dot4c_i32_i8 v142, v9, v12
	v_cvt_f32_i32_e32 v9, v10
	v_and_b32_e32 v10, 0xff, v44
	v_fma_mix_f32 v5, v1, v5, 0 op_sel_hi:[1,0,0]
	v_fma_mix_f32 v6, v2, v150, v6 op_sel:[1,0,0] op_sel_hi:[1,0,0]
	v_and_b32_e32 v7, 0xf0f0f0f, v7
	v_bfe_u32 v12, v44, 8, 8
	v_mul_lo_u32 v10, v127, v10
	v_fma_mix_f32 v5, v2, v9, v5 op_sel_hi:[1,0,0]
	v_mul_f32_e32 v6, v6, v123
	v_dot4c_i32_i8 v156, v7, v8
	v_and_b32_e32 v7, 0xff, v46
	v_mul_lo_u32 v9, v149, v12
	v_fma_mix_f32 v8, v1, v152, 0 op_sel:[1,0,0] op_sel_hi:[1,0,0]
	v_fma_mix_f32 v5, v5, v119, -v6 op_sel_hi:[0,1,0]
	v_cvt_f32_i32_e32 v6, v10
	v_bfe_u32 v10, v46, 8, 8
	v_mul_lo_u32 v7, v151, v7
	v_fma_mix_f32 v8, v2, v154, v8 op_sel:[1,0,0] op_sel_hi:[1,0,0]
	v_add_f32_e32 v118, v118, v5
	v_cvt_f32_i32_e32 v9, v9
	v_mul_lo_u32 v10, v153, v10
	v_fma_mix_f32 v6, v1, v6, 0 op_sel_hi:[1,0,0]
	v_mul_f32_e32 v14, v8, v124
	v_fma_mix_f32 v11, v2, v11, v13 op_sel:[1,0,0] op_sel_hi:[1,0,0]
	v_cvt_f32_i32_e32 v12, v7
	s_waitcnt lgkmcnt(0)
	v_and_b32_e32 v13, 0xff, v136
	v_fma_mix_f32 v9, v2, v9, v6 op_sel_hi:[1,0,0]
	ds_read_b128 v[5:8], v59 offset:64
	v_cvt_f32_i32_e32 v10, v10
	v_fma_mix_f32 v12, v1, v12, 0 op_sel_hi:[1,0,0]
	v_cvt_f32_f16_sdwa v138, v121 dst_sel:DWORD dst_unused:UNUSED_PAD src0_sel:WORD_1
	v_fma_mix_f32 v9, v9, v120, -v14 op_sel_hi:[0,1,0]
	v_and_b32_e32 v19, 0xf0f0f0f, v134
	v_mov_b32_e32 v145, 0
	v_fma_mix_f32 v10, v2, v10, v12 op_sel_hi:[1,0,0]
	v_mul_lo_u32 v12, v142, v13
	v_mul_f32_e32 v11, v11, v138
	v_add_f32_e32 v142, v117, v9
	v_bfe_u32 v9, v136, 8, 8
	v_cvt_f32_ubyte0_e32 v17, v137
	v_and_b32_e32 v125, 0xf0f0f0f, v129
	v_fma_mix_f32 v18, v10, v121, -v11 op_sel_hi:[0,1,0]
	v_lshrrev_b32_e32 v127, 4, v135
	v_mul_lo_u32 v20, v156, v9
	v_cvt_f32_i32_e32 v117, v12
	ds_read_b128 v[9:12], v59 offset:80
	ds_read_b128 v[13:16], v59 offset:96
	v_add_f32_e32 v146, v116, v18
	s_waitcnt lgkmcnt(2)
	v_dot4c_i32_i8 v145, v19, v5
	v_and_b32_e32 v19, 0xf0f0f0f, v135
	v_cvt_f32_f16_sdwa v135, v122 dst_sel:DWORD dst_unused:UNUSED_PAD src0_sel:WORD_1
	v_mov_b32_e32 v149, 0
	v_cvt_f32_i32_e32 v18, v20
	v_fma_mix_f32 v20, v1, v117, 0 op_sel_hi:[1,0,0]
	v_dot4c_i32_i8 v145, v19, v6
	v_and_b32_e32 v19, 0xf0f0f0f, v128
	v_fma_mix_f32 v1, v1, v17, 0 op_sel:[1,0,0] op_sel_hi:[1,0,0]
	v_lshrrev_b32_e32 v17, 4, v134
	v_mov_b32_e32 v134, 0
	v_cvt_f32_ubyte1_e32 v117, v137
	v_dot4c_i32_i8 v145, v19, v7
	v_fma_mix_f32 v116, v2, v18, v20 op_sel_hi:[1,0,0]
	v_and_b32_e32 v126, 0xf0f0f0f, v17
	ds_read_b128 v[17:20], v59 offset:112
	v_fma_mix_f32 v1, v2, v117, v1 op_sel:[1,0,0] op_sel_hi:[1,0,0]
	v_dot4c_i32_i8 v145, v125, v8
	v_and_b32_e32 v125, 0xf0f0f0f, v130
	s_waitcnt lgkmcnt(1)
	v_dot4c_i32_i8 v134, v126, v13
	v_and_b32_e32 v126, 0xf0f0f0f, v127
	v_lshrrev_b32_e32 v127, 4, v128
	v_and_b32_e32 v2, 0xf0f0f0f, v131
	v_dot4c_i32_i8 v145, v125, v9
	v_lshrrev_b32_e32 v125, 4, v129
	v_dot4c_i32_i8 v134, v126, v14
	v_and_b32_e32 v117, 0xf0f0f0f, v127
	v_mul_f32_e32 v1, v1, v135
	v_dot4c_i32_i8 v145, v2, v10
	v_and_b32_e32 v2, 0xf0f0f0f, v132
	v_lshrrev_b32_e32 v126, 4, v131
	v_dot4c_i32_i8 v134, v117, v15
	v_and_b32_e32 v117, 0xf0f0f0f, v125
	v_lshrrev_b32_e32 v125, 4, v130
	v_dot4c_i32_i8 v145, v2, v11
	v_and_b32_e32 v2, 0xf0f0f0f, v133
	v_fma_mix_f32 v148, v116, v122, -v1 op_sel_hi:[0,1,0]
	v_dot4c_i32_i8 v134, v117, v16
	v_add_nc_u32_e32 v117, 0x10a8, v109
	v_and_b32_e32 v125, 0xf0f0f0f, v125
	v_dot4c_i32_i8 v145, v2, v12
	v_and_b32_e32 v116, 0xf0f0f0f, v126
	v_add_nc_u32_e32 v126, 0x10b0, v109
	ds_read2_b32 v[1:2], v117 offset1:1
	s_waitcnt lgkmcnt(1)
	v_dot4c_i32_i8 v134, v125, v17
	v_lshrrev_b32_e32 v117, 4, v132
	v_and_b32_e32 v125, 0xf0f0f0f, v140
	v_lshrrev_b32_e32 v129, 4, v140
	v_lshrrev_b32_e32 v131, 4, v133
	v_dot4c_i32_i8 v134, v116, v18
	v_and_b32_e32 v127, 0xf0f0f0f, v117
	ds_read2_b32 v[116:117], v126 offset1:1
	v_dot4c_i32_i8 v149, v125, v5
	v_and_b32_e32 v125, 0xf0f0f0f, v141
	v_add_nc_u32_e32 v126, 0x10b8, v109
	v_and_b32_e32 v129, 0xf0f0f0f, v129
	v_mov_b32_e32 v133, 0
	v_lshrrev_b32_e32 v132, 4, v141
	v_dot4c_i32_i8 v149, v125, v6
	v_add_nc_u32_e32 v128, 0x2120, v109
	v_dot4c_i32_i8 v134, v127, v19
	ds_read2_b32 v[125:126], v126 offset1:1
	ds_read2_b32 v[127:128], v128 offset1:1
	s_waitcnt lgkmcnt(3)
	v_and_b32_e32 v130, 0xf0f0f0f, v1
	v_dot4c_i32_i8 v133, v129, v13
	v_and_b32_e32 v129, 0xf0f0f0f, v132
	v_lshrrev_b32_e32 v1, 4, v1
	v_and_b32_e32 v131, 0xf0f0f0f, v131
	v_dot4c_i32_i8 v149, v130, v7
	v_and_b32_e32 v130, 0xf0f0f0f, v2
	v_dot4c_i32_i8 v133, v129, v14
	v_and_b32_e32 v1, 0xf0f0f0f, v1
	v_lshrrev_b32_e32 v2, 4, v2
	v_dot4c_i32_i8 v134, v131, v20
	v_dot4c_i32_i8 v149, v130, v8
	s_waitcnt lgkmcnt(2)
	v_and_b32_e32 v130, 0xf0f0f0f, v116
	v_dot4c_i32_i8 v133, v1, v15
	v_and_b32_e32 v131, 0xf0f0f0f, v2
	v_lshrrev_b32_e32 v116, 4, v116
	v_and_b32_e32 v129, 0xf0f0f0f, v117
	v_dot4c_i32_i8 v149, v130, v9
	v_add_nc_u32_e32 v130, 0x2128, v109
	v_dot4c_i32_i8 v133, v131, v16
	v_and_b32_e32 v116, 0xf0f0f0f, v116
	v_mov_b32_e32 v140, 0
	v_dot4c_i32_i8 v149, v129, v10
	ds_read2_b32 v[1:2], v130 offset1:1
	v_add_nc_u32_e32 v130, 0x2130, v109
	s_waitcnt lgkmcnt(1)
	v_and_b32_e32 v129, 0xf0f0f0f, v127
	v_dot4c_i32_i8 v133, v116, v17
	v_lshrrev_b32_e32 v131, 4, v117
	v_add_nc_u32_e32 v132, 0x31a0, v109
	ds_read2_b32 v[116:117], v130 offset1:1
	v_dot4c_i32_i8 v140, v129, v5
	v_and_b32_e32 v129, 0xf0f0f0f, v128
	v_add_nc_u32_e32 v130, 0x2138, v109
	v_and_b32_e32 v141, 0xf0f0f0f, v125
	v_and_b32_e32 v151, 0xf0f0f0f, v131
	v_lshrrev_b32_e32 v125, 4, v125
	v_dot4c_i32_i8 v140, v129, v6
	ds_read2_b32 v[129:130], v130 offset1:1
	ds_read2_b32 v[131:132], v132 offset1:1
	v_lshrrev_b32_e32 v127, 4, v127
	v_dot4c_i32_i8 v133, v151, v18
	v_and_b32_e32 v125, 0xf0f0f0f, v125
	v_dot4c_i32_i8 v149, v141, v11
	v_and_b32_e32 v141, 0xf0f0f0f, v126
	s_waitcnt lgkmcnt(3)
	v_and_b32_e32 v152, 0xf0f0f0f, v1
	v_and_b32_e32 v151, 0xf0f0f0f, v2
	v_dot4c_i32_i8 v133, v125, v19
	v_lshrrev_b32_e32 v126, 4, v126
	v_and_b32_e32 v127, 0xf0f0f0f, v127
	v_dot4c_i32_i8 v140, v152, v7
	s_waitcnt lgkmcnt(2)
	v_and_b32_e32 v125, 0xf0f0f0f, v116
	v_lshrrev_b32_e32 v128, 4, v128
	v_and_b32_e32 v126, 0xf0f0f0f, v126
	v_lshrrev_b32_e32 v1, 4, v1
	v_dot4c_i32_i8 v140, v151, v8
	v_mov_b32_e32 v151, 0
	v_lshrrev_b32_e32 v2, 4, v2
	v_dot4c_i32_i8 v133, v126, v20
	v_and_b32_e32 v1, 0xf0f0f0f, v1
	v_dot4c_i32_i8 v140, v125, v9
	v_and_b32_e32 v125, 0xf0f0f0f, v117
	;; [unrolled: 2-line block ×3, first 2 shown]
	v_add_nc_u32_e32 v126, 0x31a8, v109
	v_lshrrev_b32_e32 v116, 4, v116
	v_dot4c_i32_i8 v140, v125, v10
	s_waitcnt lgkmcnt(1)
	v_and_b32_e32 v125, 0xf0f0f0f, v129
	v_dot4c_i32_i8 v151, v127, v14
	v_and_b32_e32 v127, 0xf0f0f0f, v2
	v_and_b32_e32 v116, 0xf0f0f0f, v116
	v_lshrrev_b32_e32 v117, 4, v117
	v_dot4c_i32_i8 v140, v125, v11
	v_and_b32_e32 v125, 0xf0f0f0f, v130
	v_dot4c_i32_i8 v151, v1, v15
	ds_read2_b32 v[1:2], v126 offset1:1
	v_mov_b32_e32 v126, 0
	v_and_b32_e32 v128, 0xf0f0f0f, v117
	v_dot4c_i32_i8 v140, v125, v12
	v_dot4c_i32_i8 v151, v127, v16
	s_waitcnt lgkmcnt(1)
	v_and_b32_e32 v125, 0xf0f0f0f, v131
	v_add_nc_u32_e32 v127, 0x31b0, v109
	v_lshrrev_b32_e32 v129, 4, v129
	v_lshrrev_b32_e32 v139, 24, v42
	v_dot4c_i32_i8 v151, v116, v17
	v_dot4c_i32_i8 v126, v125, v5
	ds_read2_b32 v[116:117], v127 offset1:1
	v_and_b32_e32 v5, 0xf0f0f0f, v132
	v_add_nc_u32_e32 v125, 0x31b8, v109
	v_dot4c_i32_i8 v151, v128, v18
	v_and_b32_e32 v128, 0xf0f0f0f, v129
	v_mov_b32_e32 v129, 0
	v_dot4c_i32_i8 v126, v5, v6
	ds_read2_b32 v[5:6], v125 offset1:1
	v_lshrrev_b32_e32 v127, 4, v131
	s_waitcnt lgkmcnt(2)
	v_and_b32_e32 v125, 0xf0f0f0f, v1
	v_lshrrev_b32_e32 v131, 4, v132
	v_lshrrev_b32_e32 v1, 4, v1
	v_dot4c_i32_i8 v149, v141, v12
	v_and_b32_e32 v127, 0xf0f0f0f, v127
	v_dot4c_i32_i8 v126, v125, v7
	v_and_b32_e32 v7, 0xf0f0f0f, v2
	v_and_b32_e32 v1, 0xf0f0f0f, v1
	v_lshrrev_b32_e32 v2, 4, v2
	v_dot4c_i32_i8 v129, v127, v13
	v_and_b32_e32 v13, 0xf0f0f0f, v131
	v_dot4c_i32_i8 v126, v7, v8
	s_waitcnt lgkmcnt(1)
	v_and_b32_e32 v7, 0xf0f0f0f, v116
	v_lshrrev_b32_e32 v143, 24, v44
	v_lshrrev_b32_e32 v125, 4, v130
	v_dot4c_i32_i8 v129, v13, v14
	v_dot4c_i32_i8 v151, v128, v19
	;; [unrolled: 1-line block ×3, first 2 shown]
	v_and_b32_e32 v7, 0xf0f0f0f, v117
	v_and_b32_e32 v8, 0xf0f0f0f, v125
	v_dot4c_i32_i8 v129, v1, v15
	v_and_b32_e32 v1, 0xf0f0f0f, v2
	v_lshrrev_b32_e32 v2, 4, v116
	v_dot4c_i32_i8 v126, v7, v10
	s_waitcnt lgkmcnt(0)
	v_and_b32_e32 v7, 0xf0f0f0f, v5
	v_bfe_u32 v10, v42, 16, 8
	v_dot4c_i32_i8 v129, v1, v16
	v_and_b32_e32 v1, 0xf0f0f0f, v2
	v_lshrrev_b32_e32 v2, 4, v117
	v_dot4c_i32_i8 v126, v7, v11
	v_and_b32_e32 v7, 0xf0f0f0f, v6
	v_lshrrev_b32_e32 v6, 4, v6
	;; [unrolled: 3-line block ×3, first 2 shown]
	v_mul_lo_u32 v5, v145, v10
	v_dot4c_i32_i8 v126, v7, v12
	v_bfe_u32 v7, v44, 16, 8
	v_dot4c_i32_i8 v129, v1, v18
	v_mul_lo_u32 v1, v134, v139
	v_and_b32_e32 v2, 0xf0f0f0f, v2
	v_mul_lo_u32 v11, v133, v143
	v_bfe_u32 v12, v136, 16, 8
	v_cvt_f32_i32_e32 v5, v5
	v_cvt_f32_ubyte2_e32 v150, v43
	v_dot4c_i32_i8 v129, v2, v19
	v_and_b32_e32 v2, 0xf0f0f0f, v6
	v_mul_lo_u32 v6, v149, v7
	v_cvt_f32_i32_e32 v1, v1
	v_fma_mix_f32 v5, v3, v5, 0 op_sel_hi:[1,0,0]
	v_lshrrev_b32_e32 v144, 24, v46
	v_lshrrev_b32_e32 v147, 24, v136
	v_dot4c_i32_i8 v151, v8, v20
	v_dot4c_i32_i8 v129, v2, v20
	v_fma_mix_f32 v1, v4, v1, v5 op_sel_hi:[1,0,0]
	v_cvt_f32_i32_e32 v5, v6
	v_bfe_u32 v6, v46, 16, 8
	v_cvt_f32_i32_e32 v11, v11
	v_mul_lo_u32 v12, v126, v12
	v_cvt_f32_ubyte3_e32 v43, v43
	v_fma_mix_f32 v5, v3, v5, 0 op_sel_hi:[1,0,0]
	v_mul_lo_u32 v6, v140, v6
	v_cvt_f32_ubyte2_e32 v141, v45
	v_cvt_f32_ubyte2_e32 v9, v47
	v_fma_mix_f32 v7, v3, v150, 0 op_sel:[1,0,0] op_sel_hi:[1,0,0]
	v_cvt_f32_ubyte2_e32 v10, v137
	v_mul_lo_u32 v13, v151, v144
	v_fma_mix_f32 v5, v4, v11, v5 op_sel_hi:[1,0,0]
	v_mul_lo_u32 v11, v129, v147
	v_cvt_f32_ubyte3_e32 v45, v45
	v_cvt_f32_ubyte3_e32 v8, v47
	v_fma_mix_f32 v2, v4, v43, v7 op_sel:[1,0,0] op_sel_hi:[1,0,0]
	v_fma_mix_f32 v7, v3, v141, 0 op_sel:[1,0,0] op_sel_hi:[1,0,0]
	;; [unrolled: 1-line block ×3, first 2 shown]
	v_cvt_f32_i32_e32 v6, v6
	v_cvt_f32_i32_e32 v12, v12
	v_fma_mix_f32 v10, v3, v10, 0 op_sel:[1,0,0] op_sel_hi:[1,0,0]
	v_cvt_f32_ubyte3_e32 v14, v137
	v_fma_mix_f32 v7, v4, v45, v7 op_sel:[1,0,0] op_sel_hi:[1,0,0]
	v_cvt_f32_i32_e32 v13, v13
	v_fma_mix_f32 v6, v3, v6, 0 op_sel_hi:[1,0,0]
	v_fma_mix_f32 v8, v4, v8, v9 op_sel:[1,0,0] op_sel_hi:[1,0,0]
	v_cvt_f32_i32_e32 v9, v11
	v_fma_mix_f32 v3, v3, v12, 0 op_sel_hi:[1,0,0]
	v_fma_mix_f32 v10, v4, v14, v10 op_sel:[1,0,0] op_sel_hi:[1,0,0]
	v_mul_f32_e32 v2, v2, v123
	v_mul_f32_e32 v7, v7, v124
	v_fma_mix_f32 v6, v4, v13, v6 op_sel_hi:[1,0,0]
	v_mul_f32_e32 v8, v8, v138
	v_fma_mix_f32 v3, v4, v9, v3 op_sel_hi:[1,0,0]
	v_mul_f32_e32 v4, v10, v135
	v_add_f32_e32 v9, v39, v148
	v_fma_mix_f32 v1, v1, v119, -v2 op_sel_hi:[0,1,0]
	v_fma_mix_f32 v2, v5, v120, -v7 op_sel_hi:[0,1,0]
	;; [unrolled: 1-line block ×4, first 2 shown]
	v_add_f32_e32 v118, v118, v1
	v_add_f32_e32 v117, v142, v2
	;; [unrolled: 1-line block ×4, first 2 shown]
	s_barrier
	buffer_gl0_inv
	s_cbranch_scc1 .LBB192_5
; %bb.12:                               ;   in Loop: Header=BB192_6 Depth=1
	v_cmp_gt_i32_e64 s1, s10, v50
	s_and_b32 s5, s0, s1
	s_and_saveexec_b32 s1, s5
	s_cbranch_execz .LBB192_14
; %bb.13:                               ;   in Loop: Header=BB192_6 Depth=1
	v_add_nc_u32_e32 v1, v67, v50
	v_mad_i64_i32 v[1:2], null, v1, 36, v[37:38]
	global_load_dword v1, v[1:2], off offset:4
	s_waitcnt vmcnt(0)
	ds_write_b32 v61, v1
.LBB192_14:                             ;   in Loop: Header=BB192_6 Depth=1
	s_or_b32 exec_lo, exec_lo, s1
	s_and_saveexec_b32 s5, vcc_lo
	s_cbranch_execz .LBB192_4
; %bb.15:                               ;   in Loop: Header=BB192_6 Depth=1
	v_add_nc_u32_e32 v1, 4, v115
	v_cmp_gt_i32_e64 s1, s10, v1
	s_and_b32 s1, s0, s1
	s_and_b32 exec_lo, exec_lo, s1
	s_cbranch_execz .LBB192_4
; %bb.16:                               ;   in Loop: Header=BB192_6 Depth=1
	v_ashrrev_i32_e32 v1, 31, v115
	v_add_co_u32 v2, s1, v67, v115
	v_add_co_ci_u32_e64 v3, null, v110, v1, s1
	v_mad_u64_u32 v[1:2], null, v2, 36, s[6:7]
	v_mad_i32_i24 v2, v3, 36, v2
	global_load_dword v1, v[1:2], off offset:144
	s_waitcnt vmcnt(0)
	ds_write_b32 v108, v1
	s_branch .LBB192_4
.LBB192_17:
	s_mul_i32 s0, s14, s11
	s_waitcnt vmcnt(0)
	v_cmp_gt_i32_e32 vcc_lo, s0, v48
	s_and_saveexec_b32 s0, vcc_lo
	s_cbranch_execz .LBB192_26
; %bb.18:
	v_add_nc_u32_e32 v1, s15, v0
	v_mul_lo_u32 v0, v48, s13
	s_mov_b32 s0, exec_lo
	v_cmpx_gt_u32_e64 s13, v1
	s_cbranch_execz .LBB192_20
; %bb.19:
	v_add_nc_u32_e32 v2, v0, v1
	v_mov_b32_e32 v3, 0
	v_lshlrev_b64 v[2:3], 2, v[2:3]
	v_add_co_u32 v2, vcc_lo, s2, v2
	v_add_co_ci_u32_e64 v3, null, s3, v3, vcc_lo
	global_store_dword v[2:3], v118, off
.LBB192_20:
	s_or_b32 exec_lo, exec_lo, s0
	v_add_nc_u32_e32 v2, 32, v1
	s_mov_b32 s0, exec_lo
	v_cmpx_gt_u32_e64 s13, v2
	s_cbranch_execz .LBB192_22
; %bb.21:
	v_add_nc_u32_e32 v2, v0, v2
	v_mov_b32_e32 v3, 0
	v_lshlrev_b64 v[2:3], 2, v[2:3]
	v_add_co_u32 v2, vcc_lo, s2, v2
	v_add_co_ci_u32_e64 v3, null, s3, v3, vcc_lo
	global_store_dword v[2:3], v117, off
.LBB192_22:
	s_or_b32 exec_lo, exec_lo, s0
	v_add_nc_u32_e32 v2, 64, v1
	;; [unrolled: 13-line block ×3, first 2 shown]
	v_cmp_gt_u32_e32 vcc_lo, s13, v1
	s_and_b32 exec_lo, exec_lo, vcc_lo
	s_cbranch_execz .LBB192_26
; %bb.25:
	v_add_nc_u32_e32 v0, v0, v1
	v_mov_b32_e32 v1, 0
	v_lshlrev_b64 v[0:1], 2, v[0:1]
	v_add_co_u32 v0, vcc_lo, s2, v0
	v_add_co_ci_u32_e64 v1, null, s3, v1, vcc_lo
	global_store_dword v[0:1], v39, off
.LBB192_26:
	s_endpgm
	.section	.rodata,"a",@progbits
	.p2align	6, 0x0
	.amdhsa_kernel _ZL8moe_q4_KIfLb1EEvPKvS1_PT_PKiS5_S5_iiiiiii
		.amdhsa_group_segment_fixed_size 20688
		.amdhsa_private_segment_fixed_size 0
		.amdhsa_kernarg_size 76
		.amdhsa_user_sgpr_count 6
		.amdhsa_user_sgpr_private_segment_buffer 1
		.amdhsa_user_sgpr_dispatch_ptr 0
		.amdhsa_user_sgpr_queue_ptr 0
		.amdhsa_user_sgpr_kernarg_segment_ptr 1
		.amdhsa_user_sgpr_dispatch_id 0
		.amdhsa_user_sgpr_flat_scratch_init 0
		.amdhsa_user_sgpr_private_segment_size 0
		.amdhsa_wavefront_size32 1
		.amdhsa_uses_dynamic_stack 0
		.amdhsa_system_sgpr_private_segment_wavefront_offset 0
		.amdhsa_system_sgpr_workgroup_id_x 1
		.amdhsa_system_sgpr_workgroup_id_y 1
		.amdhsa_system_sgpr_workgroup_id_z 0
		.amdhsa_system_sgpr_workgroup_info 0
		.amdhsa_system_vgpr_workitem_id 1
		.amdhsa_next_free_vgpr 157
		.amdhsa_next_free_sgpr 20
		.amdhsa_reserve_vcc 1
		.amdhsa_reserve_flat_scratch 0
		.amdhsa_float_round_mode_32 0
		.amdhsa_float_round_mode_16_64 0
		.amdhsa_float_denorm_mode_32 3
		.amdhsa_float_denorm_mode_16_64 3
		.amdhsa_dx10_clamp 1
		.amdhsa_ieee_mode 1
		.amdhsa_fp16_overflow 0
		.amdhsa_workgroup_processor_mode 1
		.amdhsa_memory_ordered 1
		.amdhsa_forward_progress 1
		.amdhsa_shared_vgpr_count 0
		.amdhsa_exception_fp_ieee_invalid_op 0
		.amdhsa_exception_fp_denorm_src 0
		.amdhsa_exception_fp_ieee_div_zero 0
		.amdhsa_exception_fp_ieee_overflow 0
		.amdhsa_exception_fp_ieee_underflow 0
		.amdhsa_exception_fp_ieee_inexact 0
		.amdhsa_exception_int_div_zero 0
	.end_amdhsa_kernel
	.section	.text._ZL8moe_q4_KIfLb1EEvPKvS1_PT_PKiS5_S5_iiiiiii,"axG",@progbits,_ZL8moe_q4_KIfLb1EEvPKvS1_PT_PKiS5_S5_iiiiiii,comdat
.Lfunc_end192:
	.size	_ZL8moe_q4_KIfLb1EEvPKvS1_PT_PKiS5_S5_iiiiiii, .Lfunc_end192-_ZL8moe_q4_KIfLb1EEvPKvS1_PT_PKiS5_S5_iiiiiii
                                        ; -- End function
	.set _ZL8moe_q4_KIfLb1EEvPKvS1_PT_PKiS5_S5_iiiiiii.num_vgpr, 157
	.set _ZL8moe_q4_KIfLb1EEvPKvS1_PT_PKiS5_S5_iiiiiii.num_agpr, 0
	.set _ZL8moe_q4_KIfLb1EEvPKvS1_PT_PKiS5_S5_iiiiiii.numbered_sgpr, 20
	.set _ZL8moe_q4_KIfLb1EEvPKvS1_PT_PKiS5_S5_iiiiiii.num_named_barrier, 0
	.set _ZL8moe_q4_KIfLb1EEvPKvS1_PT_PKiS5_S5_iiiiiii.private_seg_size, 0
	.set _ZL8moe_q4_KIfLb1EEvPKvS1_PT_PKiS5_S5_iiiiiii.uses_vcc, 1
	.set _ZL8moe_q4_KIfLb1EEvPKvS1_PT_PKiS5_S5_iiiiiii.uses_flat_scratch, 0
	.set _ZL8moe_q4_KIfLb1EEvPKvS1_PT_PKiS5_S5_iiiiiii.has_dyn_sized_stack, 0
	.set _ZL8moe_q4_KIfLb1EEvPKvS1_PT_PKiS5_S5_iiiiiii.has_recursion, 0
	.set _ZL8moe_q4_KIfLb1EEvPKvS1_PT_PKiS5_S5_iiiiiii.has_indirect_call, 0
	.section	.AMDGPU.csdata,"",@progbits
; Kernel info:
; codeLenInByte = 11232
; TotalNumSgprs: 22
; NumVgprs: 157
; ScratchSize: 0
; MemoryBound: 0
; FloatMode: 240
; IeeeMode: 1
; LDSByteSize: 20688 bytes/workgroup (compile time only)
; SGPRBlocks: 0
; VGPRBlocks: 19
; NumSGPRsForWavesPerEU: 22
; NumVGPRsForWavesPerEU: 157
; Occupancy: 6
; WaveLimiterHint : 1
; COMPUTE_PGM_RSRC2:SCRATCH_EN: 0
; COMPUTE_PGM_RSRC2:USER_SGPR: 6
; COMPUTE_PGM_RSRC2:TRAP_HANDLER: 0
; COMPUTE_PGM_RSRC2:TGID_X_EN: 1
; COMPUTE_PGM_RSRC2:TGID_Y_EN: 1
; COMPUTE_PGM_RSRC2:TGID_Z_EN: 0
; COMPUTE_PGM_RSRC2:TIDIG_COMP_CNT: 1
	.section	.text._ZL8moe_q5_KIfLb0EEvPKvS1_PT_PKiS5_S5_iiiiiii,"axG",@progbits,_ZL8moe_q5_KIfLb0EEvPKvS1_PT_PKiS5_S5_iiiiiii,comdat
	.globl	_ZL8moe_q5_KIfLb0EEvPKvS1_PT_PKiS5_S5_iiiiiii ; -- Begin function _ZL8moe_q5_KIfLb0EEvPKvS1_PT_PKiS5_S5_iiiiiii
	.p2align	8
	.type	_ZL8moe_q5_KIfLb0EEvPKvS1_PT_PKiS5_S5_iiiiiii,@function
_ZL8moe_q5_KIfLb0EEvPKvS1_PT_PKiS5_S5_iiiiiii: ; @_ZL8moe_q5_KIfLb0EEvPKvS1_PT_PKiS5_S5_iiiiiii
; %bb.0:
	s_load_dwordx4 s[0:3], s[4:5], 0x18
	s_mov_b32 s8, s7
	s_mov_b32 s9, 0
	s_lshl_b64 s[10:11], s[8:9], 2
	s_waitcnt lgkmcnt(0)
	s_add_u32 s2, s2, s10
	s_addc_u32 s3, s3, s11
	s_load_dword s14, s[2:3], 0x0
	s_waitcnt lgkmcnt(0)
	s_cmpk_gt_u32 s14, 0xff
	s_cbranch_scc1 .LBB193_26
; %bb.1:
	s_load_dwordx2 s[2:3], s[4:5], 0x28
	s_waitcnt lgkmcnt(0)
	s_load_dword s3, s[2:3], 0x0
	s_lshl_b32 s2, s8, 3
	s_waitcnt lgkmcnt(0)
	s_cmp_gt_u32 s2, s3
	s_cbranch_scc1 .LBB193_26
; %bb.2:
	v_add_nc_u32_e32 v6, s2, v1
	v_mov_b32_e32 v7, 0
	s_lshl_b32 s16, s6, 7
	v_lshlrev_b64 v[2:3], 2, v[6:7]
	v_mov_b32_e32 v121, v7
	v_mov_b32_e32 v122, v7
	;; [unrolled: 1-line block ×3, first 2 shown]
	v_add_co_u32 v2, vcc_lo, s0, v2
	v_add_co_ci_u32_e64 v3, null, s1, v3, vcc_lo
	global_load_dword v12, v[2:3], off
	s_clause 0x2
	s_load_dwordx2 s[2:3], s[4:5], 0x30
	s_load_dwordx2 s[12:13], s[4:5], 0x10
	s_load_dwordx4 s[8:11], s[4:5], 0x3c
	s_waitcnt lgkmcnt(0)
	s_cmpk_lt_i32 s3, 0x100
	s_cbranch_scc1 .LBB193_17
; %bb.3:
	s_ashr_i32 s0, s3, 31
	s_mul_i32 s17, s14, s2
	s_lshr_b32 s0, s0, 24
	s_abs_i32 s2, s11
	s_add_i32 s0, s3, s0
	v_cvt_f32_u32_e32 v14, s2
	s_ashr_i32 s18, s0, 8
	v_and_b32_e32 v5, 7, v0
	s_lshl_b32 s0, s18, 3
	v_lshlrev_b32_e32 v7, 3, v0
	v_mad_i32_i24 v9, s18, v1, s0
	v_rcp_iflag_f32_e32 v21, v14
	v_lshlrev_b32_e32 v5, 2, v5
	s_ashr_i32 s1, s9, 31
	v_lshlrev_b32_e32 v4, 2, v0
	v_add_nc_u32_e32 v10, s0, v9
	v_lshl_add_u32 v8, v1, 5, v0
	v_and_b32_e32 v18, 3, v0
	v_and_or_b32 v5, 0xc0, v7, v5
	s_lshr_b32 s1, s1, 27
	v_add_nc_u32_e32 v45, s0, v10
	v_mul_f32_e32 v7, 0x4f7ffffe, v21
	s_add_i32 s1, s9, s1
	v_and_b32_e32 v15, 0x7f, v8
	v_and_b32_e32 v20, 4, v4
	v_add_nc_u32_e32 v49, s0, v45
	s_ashr_i32 s9, s1, 5
	v_cvt_u32_f32_e32 v7, v7
	v_cmp_lt_u32_e64 s1, 1, v18
	v_lshrrev_b32_e32 v3, 2, v0
	v_add_nc_u32_e32 v53, s0, v49
	v_lshlrev_b32_e32 v11, 3, v1
	s_sub_i32 s14, 0, s2
	v_add_nc_u32_e32 v17, 0xfe, v18
	v_mul_i32_i24_e32 v101, s18, v15
	v_lshlrev_b32_e32 v21, 2, v15
	v_cndmask_b32_e64 v15, 0, v20, s1
	v_mul_lo_u32 v20, s14, v7
	v_add_nc_u32_e32 v57, s0, v53
	v_mul_u32_u24_e32 v6, 0x41, v1
	v_add_nc_u32_e32 v16, v3, v11
	v_and_b32_e32 v23, 0xff, v17
	v_cmp_gt_u32_e32 vcc_lo, 2, v18
	v_add_nc_u32_e32 v61, s0, v57
	v_and_b32_e32 v13, 6, v3
	v_and_b32_e32 v24, 0x7f, v16
	v_lshl_add_u32 v16, v6, 2, v5
	v_mul_hi_u32 v6, v7, v20
	v_lshrrev_b32_e32 v8, 3, v8
	v_add_nc_u16 v3, v3, v11
	v_cndmask_b32_e32 v5, v23, v18, vcc_lo
	v_cmp_ne_u32_e32 vcc_lo, 0, v18
	s_waitcnt vmcnt(0)
	v_sub_nc_u32_e32 v19, 0, v12
	v_add_nc_u32_e32 v11, s0, v61
	v_lshlrev_b32_e32 v22, 2, v18
	v_and_b32_e32 v8, 12, v8
	v_lshrrev_b16 v3, 1, v3
	v_add_co_ci_u32_e64 v102, null, 0, v5, vcc_lo
	v_lshlrev_b32_e32 v18, 1, v5
	v_xor_b32_e32 v5, 64, v24
	v_max_i32_e32 v27, v12, v19
	v_add_nc_u32_e32 v6, v7, v6
	v_add_nc_u32_e32 v69, s0, v11
	v_add3_u32 v17, v21, v8, 0x8e40
	v_lshl_or_b32 v8, v24, 4, v22
	v_and_b32_e32 v3, 60, v3
	v_lshrrev_b32_e32 v7, 1, v5
	v_mul_hi_u32 v6, v27, v6
	v_add_nc_u32_e32 v73, s0, v69
	v_lshrrev_b32_e32 v20, 3, v0
	v_add3_u32 v19, v8, v3, 0x8200
	v_lshl_or_b32 v3, v5, 4, v22
	v_and_b32_e32 v7, 60, v7
	v_add_nc_u32_e32 v77, s0, v73
	v_lshrrev_b32_e32 v2, 5, v0
	v_mul_i32_i24_e32 v103, s18, v5
	v_and_b32_e32 v5, 31, v0
	v_add3_u32 v22, v3, v7, 0x8200
	v_mul_lo_u32 v7, v6, s2
	v_add_nc_u32_e32 v81, s0, v77
	v_lshl_add_u32 v21, v1, 7, 0x8a40
	v_add_nc_u32_e32 v3, v20, v4
	v_mul_i32_i24_e32 v100, s18, v24
	v_add_nc_u32_e32 v8, 1, v6
	v_add_nc_u32_e32 v85, s0, v81
	v_lshl_add_u32 v24, v5, 2, v21
	v_lshlrev_b32_e32 v5, 2, v2
	v_sub_nc_u32_e32 v7, v27, v7
	v_lshl_add_u32 v26, v3, 2, 0x8200
	v_add_nc_u32_e32 v3, 32, v0
	v_add_nc_u32_e32 v89, s0, v85
	v_add3_u32 v29, v4, v5, 0x8e40
	v_subrev_nc_u32_e32 v5, s2, v7
	v_cmp_le_u32_e64 s0, s2, v7
	v_lshrrev_b32_e32 v28, 3, v3
	v_xor_b32_e32 v30, s11, v12
	v_add_nc_u32_e32 v33, 0x60, v0
	v_add_nc_u32_e32 v32, 64, v0
	v_cndmask_b32_e64 v6, v6, v8, s0
	v_cndmask_b32_e64 v5, v7, v5, s0
	v_lshl_add_u32 v3, v3, 2, v28
	s_load_dwordx4 s[4:7], s[4:5], 0x0
	v_and_b32_e32 v8, 60, v28
	v_add_nc_u32_e32 v7, 1, v6
	v_cmp_le_u32_e64 s0, s2, v5
	v_ashrrev_i32_e32 v34, 31, v30
	v_lshl_add_u32 v30, v3, 2, 0x8200
	v_lshrrev_b32_e32 v3, 3, v33
	s_mul_i32 s20, s18, s16
	v_cndmask_b32_e64 v5, v6, v7, s0
	v_lshrrev_b32_e32 v6, 3, v32
	s_mul_hi_i32 s15, s20, 0xb0
	s_mul_i32 s14, s20, 0xb0
	v_add3_u32 v31, v4, v8, 0x8e40
	v_lshl_add_u32 v8, v33, 2, v3
	v_and_b32_e32 v35, 60, v3
	v_mad_u64_u32 v[2:3], null, 0xb0, v2, s[14:15]
	v_mul_i32_i24_e32 v36, s18, v1
	v_xor_b32_e32 v5, v5, v34
	v_lshl_add_u32 v7, v32, 2, v6
	v_and_b32_e32 v95, 28, v4
	v_and_b32_e32 v6, 60, v6
	;; [unrolled: 1-line block ×3, first 2 shown]
	v_sub_nc_u32_e32 v5, v5, v34
	v_lshl_add_u32 v32, v7, 2, 0x8200
	v_lshl_add_u32 v34, v8, 2, 0x8200
	v_mad_u64_u32 v[7:8], null, 0xb0, v36, v[2:3]
	v_cmp_gt_i32_e64 s0, s8, v5
	v_mul_lo_u32 v36, v5, s9
	s_waitcnt lgkmcnt(0)
	v_add_co_u32 v5, s2, s6, v95
	v_add_nc_u32_e32 v23, 0x9050, v4
	v_add3_u32 v33, v4, v6, 0x8e40
	v_add3_u32 v35, v4, v35, 0x8e40
	v_add_co_ci_u32_e64 v6, null, s7, 0, s2
	v_add_co_u32 v4, s2, v7, v95
	v_add_co_ci_u32_e64 v37, null, 0, v8, s2
	v_add_co_u32 v7, s2, v7, v99
	v_add_co_ci_u32_e64 v8, null, 0, v8, s2
	v_add_co_u32 v4, s2, s4, v4
	v_add_co_ci_u32_e64 v38, null, s5, v37, s2
	v_add_co_u32 v39, s2, s4, v7
	v_add_co_ci_u32_e64 v40, null, s5, v8, s2
	v_mad_u64_u32 v[7:8], null, 0xb0, v9, v[2:3]
	v_add_co_u32 v37, s2, v4, 16
	v_add_co_ci_u32_e64 v38, null, 0, v38, s2
	v_add_co_u32 v39, s2, v39, 48
	v_add_co_ci_u32_e64 v40, null, 0, v40, s2
	v_add_co_u32 v4, s2, v7, v95
	v_add_co_ci_u32_e64 v9, null, 0, v8, s2
	v_add_co_u32 v7, s2, v7, v99
	v_add_co_ci_u32_e64 v8, null, 0, v8, s2
	v_add_co_u32 v4, s2, s4, v4
	v_add_co_ci_u32_e64 v9, null, s5, v9, s2
	v_add_co_u32 v43, s2, s4, v7
	v_add_co_ci_u32_e64 v44, null, s5, v8, s2
	v_mad_u64_u32 v[7:8], null, 0xb0, v10, v[2:3]
	v_add_co_u32 v41, s2, v4, 16
	v_add_co_ci_u32_e64 v42, null, 0, v9, s2
	v_add_co_u32 v43, s2, v43, 48
	;; [unrolled: 13-line block ×14, first 2 shown]
	s_mul_i32 s21, s18, 0x78
	v_add_co_ci_u32_e64 v92, null, 0, v11, s2
	v_add_co_u32 v4, s2, v7, v95
	v_lshlrev_b32_e32 v25, 4, v1
	v_mad_i32_i24 v1, s18, v1, s21
	v_add_co_ci_u32_e64 v9, null, 0, v8, s2
	v_add_co_u32 v4, s2, s4, v4
	v_mad_u64_u32 v[1:2], null, 0xb0, v1, v[2:3]
	v_add_co_ci_u32_e64 v9, null, s5, v9, s2
	v_add_co_u32 v93, s2, v4, 16
	v_cmp_gt_u32_e32 vcc_lo, 4, v0
	v_add_co_ci_u32_e64 v94, null, 0, v9, s2
	v_add_co_u32 v3, s2, v7, v99
	v_add_co_ci_u32_e64 v4, null, 0, v8, s2
	v_add_co_u32 v7, s2, v1, v95
	;; [unrolled: 2-line block ×7, first 2 shown]
	v_add_co_ci_u32_e64 v4, null, 0, v2, s2
	v_mad_u64_u32 v[1:2], null, 0xb0, v100, 0
	v_add_co_u32 v3, s2, s4, v3
	v_add_co_ci_u32_e64 v4, null, s5, v4, s2
	v_cndmask_b32_e64 v7, 0, 1, s1
	v_add_co_u32 v99, s1, v3, 48
	v_add_co_ci_u32_e64 v100, null, 0, v4, s1
	v_add_co_u32 v1, s1, s14, v1
	v_lshlrev_b32_e32 v3, 2, v7
	v_add_co_ci_u32_e64 v2, null, s15, v2, s1
	v_lshlrev_b32_e32 v7, 2, v102
	s_ashr_i32 s19, s17, 31
	v_or_b32_e32 v4, v1, v3
	s_and_b32 s20, vcc_lo, s0
	s_add_u32 s22, s4, s14
	s_addc_u32 s23, s5, s15
	v_mov_b32_e32 v105, 0
	v_add_co_u32 v4, s1, s4, v4
	v_add_co_ci_u32_e64 v10, null, s5, v2, s1
	v_add_co_u32 v11, s1, v1, v7
	v_add_co_ci_u32_e64 v104, null, 0, v2, s1
	v_mad_u64_u32 v[1:2], null, 0xb0, v103, 0
	v_mad_u64_u32 v[8:9], null, 0xb0, v101, s[22:23]
	v_add_co_u32 v101, s1, v4, 4
	v_add_co_ci_u32_e64 v102, null, 0, v10, s1
	v_add_co_u32 v4, s1, s4, v11
	v_add_co_ci_u32_e64 v10, null, s5, v104, s1
	;; [unrolled: 2-line block ×3, first 2 shown]
	v_add_co_u32 v103, s2, v4, 4
	v_or_b32_e32 v3, v1, v3
	v_add_co_u32 v1, s1, v1, v7
	v_add_co_ci_u32_e64 v4, null, 0, v2, s1
	v_add_co_u32 v3, s1, s4, v3
	v_add_co_ci_u32_e64 v2, null, s5, v2, s1
	;; [unrolled: 2-line block ×4, first 2 shown]
	v_add_co_u32 v108, s1, v1, 4
	v_or_b32_e32 v14, 1, v13
	v_mul_u32_u24_e32 v27, 0x104, v0
	v_add_co_ci_u32_e64 v104, null, 0, v10, s2
	v_add_co_ci_u32_e64 v109, null, 0, v4, s1
	v_add_nc_u32_e32 v110, 0x3000, v16
	v_add_nc_u32_e32 v111, 0x3800, v16
	;; [unrolled: 1-line block ×10, first 2 shown]
	v_mov_b32_e32 v120, v0
	v_mov_b32_e32 v122, 0
	;; [unrolled: 1-line block ×4, first 2 shown]
	s_movk_i32 s2, 0x80
	s_branch .LBB193_6
.LBB193_4:                              ;   in Loop: Header=BB193_6 Depth=1
	s_or_b32 exec_lo, exec_lo, s4
	s_waitcnt lgkmcnt(0)
	s_barrier
	buffer_gl0_inv
	ds_read2_b32 v[123:124], v27 offset0:32 offset1:33
	ds_read_b128 v[127:130], v21
	ds_read_b128 v[131:134], v21 offset:16
	ds_read2_b32 v[125:126], v27 offset0:34 offset1:35
	ds_read_b128 v[135:138], v21 offset:32
	ds_read_b128 v[139:142], v21 offset:48
	v_mov_b32_e32 v175, 0
	ds_read2_b32 v[143:144], v27 offset0:36 offset1:37
	ds_read2_b32 v[145:146], v27 offset0:38 offset1:39
	;; [unrolled: 1-line block ×3, first 2 shown]
	v_add_nc_u32_e32 v149, 0x2100, v27
	ds_read2_b32 v[10:11], v26 offset0:1 offset1:3
	ds_read_b128 v[1:4], v25 offset:36944
	ds_read2_b32 v[149:150], v149 offset1:1
	ds_read2_b32 v[151:152], v27 offset0:42 offset1:43
	ds_read2_b32 v[153:154], v27 offset0:44 offset1:45
	v_add_nc_u32_e32 v159, 0x2118, v27
	v_add_nc_u32_e32 v161, 0x2120, v27
	v_mov_b32_e32 v176, 0
	v_mov_b32_e32 v177, 0
	;; [unrolled: 1-line block ×4, first 2 shown]
	v_add_nc_u32_e32 v165, 0x41b0, v27
	s_waitcnt lgkmcnt(12)
	v_dot4c_i32_i8 v175, v123, v127
	v_add_nc_u32_e32 v123, 0x2108, v27
	v_add_nc_u32_e32 v167, 0x41b8, v27
	;; [unrolled: 1-line block ×4, first 2 shown]
	v_dot4c_i32_i8 v175, v124, v128
	v_add_nc_u32_e32 v124, 0x2110, v27
	ds_read2_b32 v[155:156], v123 offset1:1
	ds_read2_b32 v[157:158], v124 offset1:1
	ds_read2_b32 v[159:160], v159 offset1:1
	ds_read2_b32 v[161:162], v161 offset1:1
	s_waitcnt lgkmcnt(14)
	v_dot4c_i32_i8 v175, v125, v129
	s_waitcnt lgkmcnt(9)
	v_dot4c_i32_i8 v176, v147, v135
	ds_read_b32 v123, v31 offset:128
	ds_read_b32 v124, v33 offset:256
	ds_read_b32 v125, v35 offset:384
	s_waitcnt lgkmcnt(9)
	v_dot4c_i32_i8 v177, v149, v127
	v_add_nc_u32_e32 v149, 0x2138, v27
	v_dot4c_i32_i8 v175, v126, v130
	v_dot4c_i32_i8 v176, v148, v136
	ds_read2_b32 v[147:148], v27 offset0:46 offset1:47
	ds_read2_b32 v[163:164], v27 offset0:48 offset1:49
	ds_read_b32 v126, v29
	v_dot4c_i32_i8 v177, v150, v128
	v_dot4c_i32_i8 v175, v143, v131
	v_add_nc_u32_e32 v143, 0x2128, v27
	s_waitcnt lgkmcnt(11)
	v_dot4c_i32_i8 v176, v151, v137
	v_add_nc_u32_e32 v151, 0x4180, v27
	v_add_nc_u32_e32 v173, 0x6220, v27
	v_dot4c_i32_i8 v175, v144, v132
	ds_read2_b32 v[143:144], v143 offset1:1
	v_dot4c_i32_i8 v176, v152, v138
	s_waitcnt lgkmcnt(10)
	v_dot4c_i32_i8 v177, v155, v129
	s_waitcnt lgkmcnt(7)
	v_dot4c_i32_i8 v178, v161, v135
	v_dot4c_i32_i8 v175, v145, v133
	v_add_nc_u32_e32 v145, 0x2130, v27
	v_dot4c_i32_i8 v176, v153, v139
	v_dot4c_i32_i8 v177, v156, v130
	;; [unrolled: 1-line block ×4, first 2 shown]
	ds_read2_b32 v[145:146], v145 offset1:1
	ds_read2_b32 v[149:150], v149 offset1:1
	;; [unrolled: 1-line block ×3, first 2 shown]
	v_dot4c_i32_i8 v176, v154, v140
	v_dot4c_i32_i8 v177, v157, v131
	v_add_nc_u32_e32 v161, 0x41a0, v27
	v_mov_b32_e32 v184, 0
	v_mov_b32_e32 v186, 0
	s_waitcnt lgkmcnt(6)
	v_dot4c_i32_i8 v176, v147, v141
	v_dot4c_i32_i8 v177, v158, v132
	v_cvt_f32_ubyte0_e32 v179, v11
	s_waitcnt lgkmcnt(3)
	v_dot4c_i32_i8 v178, v143, v137
	v_add_nc_u32_e32 v143, 0x4188, v27
	v_dot4c_i32_i8 v176, v148, v142
	v_dot4c_i32_i8 v177, v159, v133
	v_add_nc_u32_e32 v159, 0x4198, v27
	v_dot4c_i32_i8 v178, v144, v138
	ds_read2_b32 v[143:144], v143 offset1:1
	ds_read2_b32 v[147:148], v27 offset0:58 offset1:59
	ds_read2_b32 v[153:154], v27 offset0:60 offset1:61
	;; [unrolled: 1-line block ×4, first 2 shown]
	v_dot4c_i32_i8 v177, v160, v134
	v_cvt_f32_ubyte1_e32 v180, v11
	s_waitcnt lgkmcnt(7)
	v_dot4c_i32_i8 v178, v145, v139
	v_add_nc_u32_e32 v145, 0x4190, v27
	s_waitcnt lgkmcnt(5)
	v_dot4c_i32_i8 v182, v151, v127
	v_cvt_f32_f16_sdwa v181, v126 dst_sel:DWORD dst_unused:UNUSED_PAD src0_sel:WORD_1
	v_cvt_f32_f16_sdwa v187, v123 dst_sel:DWORD dst_unused:UNUSED_PAD src0_sel:WORD_1
	v_dot4c_i32_i8 v178, v146, v140
	ds_read2_b32 v[145:146], v145 offset1:1
	ds_read2_b32 v[159:160], v159 offset1:1
	;; [unrolled: 1-line block ×3, first 2 shown]
	v_dot4c_i32_i8 v182, v152, v128
	v_mov_b32_e32 v188, 0
	v_mov_b32_e32 v191, 0
	v_dot4c_i32_i8 v178, v149, v141
	v_add_nc_u32_e32 v149, 0x41a8, v27
	ds_read2_b32 v[151:152], v149 offset1:1
	ds_read2_b32 v[165:166], v165 offset1:1
	;; [unrolled: 1-line block ×4, first 2 shown]
	s_waitcnt lgkmcnt(11)
	v_dot4c_i32_i8 v182, v143, v129
	v_add_nc_u32_e32 v143, 0x6208, v27
	v_add_nc_u32_e32 v149, 0x6210, v27
	v_dot4c_i32_i8 v178, v150, v142
	s_waitcnt lgkmcnt(7)
	v_cvt_f32_ubyte0_e32 v183, v158
	v_dot4c_i32_i8 v182, v144, v130
	ds_read2_b32 v[143:144], v143 offset1:1
	ds_read2_b32 v[149:150], v149 offset1:1
	;; [unrolled: 1-line block ×4, first 2 shown]
	v_cvt_f32_ubyte1_e32 v185, v158
	v_cvt_f32_ubyte2_e32 v190, v11
	s_waitcnt lgkmcnt(8)
	v_dot4c_i32_i8 v184, v161, v135
	v_dot4c_i32_i8 v182, v145, v131
	v_add_nc_u32_e32 v161, 0x6228, v27
	v_cvt_f32_ubyte3_e32 v11, v11
	v_dot4c_i32_i8 v184, v162, v136
	v_dot4c_i32_i8 v182, v146, v132
	ds_read2_b32 v[145:146], v32 offset0:1 offset1:3
	ds_read2_b32 v[161:162], v161 offset1:1
	s_waitcnt lgkmcnt(6)
	v_dot4c_i32_i8 v186, v169, v127
	v_dot4c_i32_i8 v182, v159, v133
	v_mov_b32_e32 v159, 0
	v_add_nc_u32_e32 v127, 0x6230, v27
	v_dot4c_i32_i8 v184, v151, v137
	v_dot4c_i32_i8 v186, v170, v128
	;; [unrolled: 1-line block ×3, first 2 shown]
	s_waitcnt lgkmcnt(2)
	v_dot4c_i32_i8 v159, v173, v135
	ds_read2_b32 v[127:128], v127 offset1:1
	v_add_nc_u32_e32 v135, 0x2140, v27
	v_dot4c_i32_i8 v186, v143, v129
	v_add_nc_u32_e32 v129, 0x6238, v27
	v_dot4c_i32_i8 v159, v174, v136
	v_dot4c_i32_i8 v184, v152, v138
	v_add_nc_u32_e32 v169, 0x2160, v27
	v_dot4c_i32_i8 v186, v144, v130
	ds_read2_b32 v[143:144], v34 offset0:1 offset1:3
	ds_read2_b32 v[129:130], v129 offset1:1
	ds_read2_b32 v[151:152], v135 offset1:1
	s_waitcnt lgkmcnt(4)
	v_dot4c_i32_i8 v159, v161, v137
	v_and_b32_e32 v135, 0xff, v10
	v_dot4c_i32_i8 v184, v165, v139
	v_dot4c_i32_i8 v186, v149, v131
	v_bfe_u32 v136, v145, 8, 8
	v_dot4c_i32_i8 v159, v162, v138
	v_mul_lo_u32 v135, v175, v135
	v_dot4c_i32_i8 v184, v166, v140
	v_dot4c_i32_i8 v186, v150, v132
	v_bfe_u32 v132, v10, 8, 8
	v_cvt_f32_ubyte0_e32 v131, v146
	s_waitcnt lgkmcnt(3)
	v_dot4c_i32_i8 v159, v127, v139
	v_dot4c_i32_i8 v184, v167, v141
	;; [unrolled: 1-line block ×3, first 2 shown]
	v_mul_lo_u32 v127, v176, v132
	v_cvt_f32_i32_e32 v133, v135
	v_dot4c_i32_i8 v159, v128, v140
	v_fma_mix_f32 v128, v1, v179, 0 op_sel:[1,0,0] op_sel_hi:[1,0,0]
	v_dot4c_i32_i8 v186, v172, v134
	v_bfe_u32 v134, v157, 8, 8
	v_fma_mix_f32 v133, v1, v133, 0 op_sel_hi:[1,0,0]
	s_waitcnt lgkmcnt(1)
	v_dot4c_i32_i8 v159, v129, v141
	v_cvt_f32_i32_e32 v127, v127
	v_and_b32_e32 v129, 0xff, v157
	v_fma_mix_f32 v128, v2, v180, v128 op_sel:[1,0,0] op_sel_hi:[1,0,0]
	v_dot4c_i32_i8 v184, v168, v142
	v_mul_lo_u32 v134, v178, v134
	v_fma_mix_f32 v127, v2, v127, v133 op_sel_hi:[1,0,0]
	v_and_b32_e32 v133, 0xff, v145
	v_mul_lo_u32 v129, v177, v129
	v_mul_f32_e32 v128, v128, v181
	v_dot4c_i32_i8 v159, v130, v142
	v_fma_mix_f32 v130, v1, v183, 0 op_sel:[1,0,0] op_sel_hi:[1,0,0]
	v_mul_lo_u32 v133, v182, v133
	v_cvt_f32_i32_e32 v134, v134
	v_fma_mix_f32 v127, v127, v126, -v128 op_sel_hi:[0,1,0]
	v_mul_lo_u32 v128, v184, v136
	v_cvt_f32_i32_e32 v129, v129
	v_fma_mix_f32 v130, v2, v185, v130 op_sel:[1,0,0] op_sel_hi:[1,0,0]
	v_cvt_f32_ubyte1_e32 v132, v146
	v_fma_mix_f32 v131, v1, v131, 0 op_sel:[1,0,0] op_sel_hi:[1,0,0]
	v_cvt_f32_i32_e32 v133, v133
	v_fma_mix_f32 v129, v1, v129, 0 op_sel_hi:[1,0,0]
	v_mul_f32_e32 v130, v130, v187
	v_cvt_f32_i32_e32 v128, v128
	v_fma_mix_f32 v131, v2, v132, v131 op_sel:[1,0,0] op_sel_hi:[1,0,0]
	v_fma_mix_f32 v133, v1, v133, 0 op_sel_hi:[1,0,0]
	v_fma_mix_f32 v129, v2, v134, v129 op_sel_hi:[1,0,0]
	v_and_b32_e32 v132, 0xff, v143
	v_cvt_f32_f16_sdwa v175, v124 dst_sel:DWORD dst_unused:UNUSED_PAD src0_sel:WORD_1
	v_add_f32_e32 v105, v105, v127
	v_fma_mix_f32 v133, v2, v128, v133 op_sel_hi:[1,0,0]
	v_fma_mix_f32 v136, v129, v123, -v130 op_sel_hi:[0,1,0]
	ds_read_b128 v[127:130], v21 offset:64
	v_bfe_u32 v134, v143, 8, 8
	v_mul_lo_u32 v132, v186, v132
	v_mul_f32_e32 v131, v131, v175
	v_add_f32_e32 v178, v122, v136
	v_mov_b32_e32 v183, 0
	v_mul_lo_u32 v134, v159, v134
	v_cvt_f32_ubyte0_e32 v135, v144
	v_fma_mix_f32 v131, v133, v124, -v131 op_sel_hi:[0,1,0]
	v_add_nc_u32_e32 v142, 0x2148, v27
	v_cvt_f32_i32_e32 v122, v132
	v_add_nc_u32_e32 v165, 0x2150, v27
	v_add_nc_u32_e32 v167, 0x2158, v27
	v_add_f32_e32 v180, v121, v131
	v_cvt_f32_i32_e32 v139, v134
	v_fma_mix_f32 v140, v1, v122, 0 op_sel_hi:[1,0,0]
	ds_read_b128 v[131:134], v21 offset:96
	ds_read2_b32 v[121:122], v27 offset0:50 offset1:51
	ds_read2_b32 v[149:150], v27 offset0:52 offset1:53
	;; [unrolled: 1-line block ×4, first 2 shown]
	v_fma_mix_f32 v1, v1, v135, 0 op_sel:[1,0,0] op_sel_hi:[1,0,0]
	v_cvt_f32_ubyte1_e32 v141, v144
	s_waitcnt lgkmcnt(5)
	v_dot4c_i32_i8 v183, v163, v127
	ds_read_b128 v[135:138], v21 offset:80
	v_mov_b32_e32 v184, 0
	v_fma_mix_f32 v171, v2, v139, v140 op_sel_hi:[1,0,0]
	v_fma_mix_f32 v172, v2, v141, v1 op_sel:[1,0,0] op_sel_hi:[1,0,0]
	v_dot4c_i32_i8 v183, v164, v128
	ds_read2_b32 v[163:164], v142 offset1:1
	ds_read2_b32 v[165:166], v165 offset1:1
	ds_read2_b32 v[167:168], v167 offset1:1
	ds_read2_b32 v[169:170], v169 offset1:1
	v_add_nc_u32_e32 v1, 0x2168, v27
	ds_read_b128 v[139:142], v21 offset:112
	v_mov_b32_e32 v185, 0
	v_cvt_f32_f16_sdwa v186, v125 dst_sel:DWORD dst_unused:UNUSED_PAD src0_sel:WORD_1
	v_add_nc_u32_e32 v173, 0x6260, v27
	ds_read2_b32 v[1:2], v1 offset1:1
	v_lshrrev_b32_e32 v176, 24, v10
	s_waitcnt lgkmcnt(10)
	v_dot4c_i32_i8 v183, v121, v129
	v_add_nc_u32_e32 v121, 0x2170, v27
	v_dot4c_i32_i8 v185, v151, v127
	s_waitcnt lgkmcnt(7)
	v_dot4c_i32_i8 v184, v161, v131
	v_add_nc_u32_e32 v151, 0x41d8, v27
	v_dot4c_i32_i8 v183, v122, v130
	ds_read2_b32 v[121:122], v121 offset1:1
	v_dot4c_i32_i8 v185, v152, v128
	v_dot4c_i32_i8 v184, v162, v132
	v_add_nc_u32_e32 v161, 0x41f8, v27
	s_waitcnt lgkmcnt(7)
	v_dot4c_i32_i8 v183, v149, v135
	v_add_nc_u32_e32 v149, 0x41c0, v27
	s_waitcnt lgkmcnt(3)
	v_dot4c_i32_i8 v188, v169, v131
	v_dot4c_i32_i8 v184, v147, v133
	;; [unrolled: 1-line block ×3, first 2 shown]
	v_add_nc_u32_e32 v147, 0x2178, v27
	v_dot4c_i32_i8 v183, v150, v136
	v_dot4c_i32_i8 v188, v170, v132
	;; [unrolled: 1-line block ×4, first 2 shown]
	ds_read2_b32 v[147:148], v147 offset1:1
	ds_read2_b32 v[149:150], v149 offset1:1
	v_dot4c_i32_i8 v183, v159, v137
	s_waitcnt lgkmcnt(3)
	v_dot4c_i32_i8 v188, v1, v133
	v_dot4c_i32_i8 v184, v153, v139
	v_mul_f32_e32 v1, v172, v186
	v_dot4c_i32_i8 v185, v165, v135
	v_add_nc_u32_e32 v153, 0x41e0, v27
	v_dot4c_i32_i8 v188, v2, v134
	v_dot4c_i32_i8 v184, v154, v140
	v_fma_mix_f32 v189, v171, v125, -v1 op_sel_hi:[0,1,0]
	v_add_nc_u32_e32 v1, 0x41c8, v27
	v_dot4c_i32_i8 v185, v166, v136
	s_waitcnt lgkmcnt(2)
	v_dot4c_i32_i8 v188, v121, v139
	v_dot4c_i32_i8 v184, v155, v141
	v_add_nc_u32_e32 v121, 0x41d0, v27
	v_add_nc_u32_e32 v155, 0x41e8, v27
	;; [unrolled: 1-line block ×4, first 2 shown]
	v_dot4c_i32_i8 v183, v160, v138
	v_dot4c_i32_i8 v184, v156, v142
	;; [unrolled: 1-line block ×3, first 2 shown]
	ds_read2_b32 v[1:2], v1 offset1:1
	ds_read2_b32 v[121:122], v121 offset1:1
	;; [unrolled: 1-line block ×8, first 2 shown]
	v_add_nc_u32_e32 v165, 0x6248, v27
	v_dot4c_i32_i8 v185, v167, v137
	v_add_nc_u32_e32 v167, 0x6250, v27
	v_add_nc_u32_e32 v171, 0x6258, v27
	ds_read2_b32 v[165:166], v165 offset1:1
	ds_read2_b32 v[169:170], v167 offset1:1
	ds_read2_b32 v[171:172], v171 offset1:1
	ds_read2_b32 v[173:174], v173 offset1:1
	s_waitcnt lgkmcnt(12)
	v_dot4c_i32_i8 v191, v149, v127
	v_dot4c_i32_i8 v188, v147, v141
	v_add_nc_u32_e32 v147, 0x6268, v27
	v_mov_b32_e32 v149, 0
	v_bfe_u32 v10, v10, 16, 8
	v_dot4c_i32_i8 v191, v150, v128
	v_mov_b32_e32 v150, 0
	v_dot4c_i32_i8 v188, v148, v142
	ds_read2_b32 v[147:148], v147 offset1:1
	s_waitcnt lgkmcnt(9)
	v_dot4c_i32_i8 v149, v153, v131
	v_dot4c_i32_i8 v191, v1, v129
	v_add_nc_u32_e32 v1, 0x6270, v27
	s_waitcnt lgkmcnt(5)
	v_dot4c_i32_i8 v150, v163, v127
	v_mov_b32_e32 v127, 0
	v_dot4c_i32_i8 v149, v154, v132
	v_dot4c_i32_i8 v191, v2, v130
	ds_read2_b32 v[1:2], v1 offset1:1
	v_dot4c_i32_i8 v150, v164, v128
	v_dot4c_i32_i8 v185, v168, v138
	s_waitcnt lgkmcnt(2)
	v_dot4c_i32_i8 v127, v173, v131
	v_dot4c_i32_i8 v191, v121, v135
	v_add_nc_u32_e32 v121, 0x6278, v27
	v_dot4c_i32_i8 v150, v165, v129
	v_dot4c_i32_i8 v149, v155, v133
	;; [unrolled: 1-line block ×4, first 2 shown]
	ds_read2_b32 v[121:122], v121 offset1:1
	v_dot4c_i32_i8 v150, v166, v130
	v_dot4c_i32_i8 v149, v156, v134
	s_waitcnt lgkmcnt(2)
	v_dot4c_i32_i8 v127, v147, v133
	v_mul_lo_u32 v129, v184, v176
	v_bfe_u32 v130, v157, 16, 8
	v_dot4c_i32_i8 v150, v169, v135
	v_dot4c_i32_i8 v149, v159, v139
	;; [unrolled: 1-line block ×3, first 2 shown]
	v_lshrrev_b32_e32 v177, 24, v157
	v_dot4c_i32_i8 v191, v151, v137
	v_dot4c_i32_i8 v150, v170, v136
	;; [unrolled: 1-line block ×3, first 2 shown]
	s_waitcnt lgkmcnt(1)
	v_dot4c_i32_i8 v127, v1, v139
	v_mul_lo_u32 v1, v183, v10
	v_dot4c_i32_i8 v191, v152, v138
	v_dot4c_i32_i8 v150, v171, v137
	;; [unrolled: 1-line block ×4, first 2 shown]
	v_mul_lo_u32 v132, v188, v177
	v_lshrrev_b32_e32 v179, 24, v145
	v_dot4c_i32_i8 v150, v172, v138
	v_cvt_f32_i32_e32 v1, v1
	s_waitcnt lgkmcnt(0)
	v_dot4c_i32_i8 v127, v121, v141
	v_cvt_f32_i32_e32 v121, v129
	v_mul_lo_u32 v129, v185, v130
	v_fma_mix_f32 v130, v3, v190, 0 op_sel:[1,0,0] op_sel_hi:[1,0,0]
	v_fma_mix_f32 v1, v3, v1, 0 op_sel_hi:[1,0,0]
	v_dot4c_i32_i8 v127, v122, v142
	v_bfe_u32 v122, v145, 16, 8
	v_lshrrev_b32_e32 v182, 24, v143
	v_fma_mix_f32 v11, v4, v11, v130 op_sel:[1,0,0] op_sel_hi:[1,0,0]
	v_bfe_u32 v130, v143, 16, 8
	v_fma_mix_f32 v1, v4, v121, v1 op_sel_hi:[1,0,0]
	v_cvt_f32_i32_e32 v121, v129
	v_dot4c_i32_i8 v149, v162, v142
	v_mul_lo_u32 v122, v191, v122
	v_mul_lo_u32 v130, v150, v130
	v_cvt_f32_ubyte2_e32 v167, v158
	v_cvt_f32_ubyte2_e32 v10, v146
	;; [unrolled: 1-line block ×3, first 2 shown]
	v_cvt_f32_i32_e32 v132, v132
	v_fma_mix_f32 v121, v3, v121, 0 op_sel_hi:[1,0,0]
	v_mul_lo_u32 v133, v149, v179
	v_mul_lo_u32 v127, v127, v182
	v_cvt_f32_ubyte3_e32 v128, v158
	v_cvt_f32_ubyte3_e32 v2, v146
	v_fma_mix_f32 v129, v3, v167, 0 op_sel:[1,0,0] op_sel_hi:[1,0,0]
	v_fma_mix_f32 v121, v4, v132, v121 op_sel_hi:[1,0,0]
	v_fma_mix_f32 v10, v3, v10, 0 op_sel:[1,0,0] op_sel_hi:[1,0,0]
	v_cvt_f32_i32_e32 v122, v122
	v_cvt_f32_i32_e32 v130, v130
	v_fma_mix_f32 v131, v3, v131, 0 op_sel:[1,0,0] op_sel_hi:[1,0,0]
	v_cvt_f32_ubyte3_e32 v132, v144
	v_fma_mix_f32 v128, v4, v128, v129 op_sel:[1,0,0] op_sel_hi:[1,0,0]
	v_cvt_f32_i32_e32 v129, v133
	v_fma_mix_f32 v122, v3, v122, 0 op_sel_hi:[1,0,0]
	v_fma_mix_f32 v2, v4, v2, v10 op_sel:[1,0,0] op_sel_hi:[1,0,0]
	v_cvt_f32_i32_e32 v10, v127
	v_fma_mix_f32 v3, v3, v130, 0 op_sel_hi:[1,0,0]
	v_fma_mix_f32 v127, v4, v132, v131 op_sel:[1,0,0] op_sel_hi:[1,0,0]
	v_mul_f32_e32 v11, v11, v181
	v_mul_f32_e32 v128, v128, v187
	v_fma_mix_f32 v122, v4, v129, v122 op_sel_hi:[1,0,0]
	v_mul_f32_e32 v2, v2, v175
	v_fma_mix_f32 v3, v4, v10, v3 op_sel_hi:[1,0,0]
	v_mul_f32_e32 v4, v127, v186
	v_add_f32_e32 v7, v7, v189
	v_fma_mix_f32 v1, v1, v126, -v11 op_sel_hi:[0,1,0]
	v_fma_mix_f32 v10, v121, v123, -v128 op_sel_hi:[0,1,0]
	v_fma_mix_f32 v2, v122, v124, -v2 op_sel_hi:[0,1,0]
	v_fma_mix_f32 v3, v3, v125, -v4 op_sel_hi:[0,1,0]
	v_add_f32_e32 v105, v105, v1
	v_add_f32_e32 v122, v178, v10
	;; [unrolled: 1-line block ×4, first 2 shown]
	s_barrier
	buffer_gl0_inv
.LBB193_5:                              ;   in Loop: Header=BB193_6 Depth=1
	v_add_co_u32 v37, s1, 0xb0, v37
	v_add_co_ci_u32_e64 v38, null, 0, v38, s1
	v_add_co_u32 v39, s1, 0xb0, v39
	v_add_co_ci_u32_e64 v40, null, 0, v40, s1
	;; [unrolled: 2-line block ×36, first 2 shown]
	v_add_co_u32 v108, s1, 0xb0, v108
	v_add_nc_u32_e32 v28, 8, v28
	v_add_nc_u32_e32 v20, 8, v20
	;; [unrolled: 1-line block ×3, first 2 shown]
	v_add_co_ci_u32_e64 v109, null, 0, v109, s1
	s_add_i32 s18, s18, -1
	s_addk_i32 s2, 0x100
	s_cmp_eq_u32 s18, 0
	s_cbranch_scc1 .LBB193_17
.LBB193_6:                              ; =>This Inner Loop Header: Depth=1
	v_add_co_u32 v1, s1, v39, s17
	v_add_co_ci_u32_e64 v2, null, s19, v40, s1
	v_add_co_u32 v10, s1, v37, s17
	v_add_co_ci_u32_e64 v11, null, s19, v38, s1
	;; [unrolled: 2-line block ×4, first 2 shown]
	global_load_dword v4, v[1:2], off
	global_load_dword v2, v[10:11], off
	global_load_dword v1, v[123:124], off
	global_load_dword v3, v[125:126], off
	v_add_co_u32 v10, s1, v47, s17
	v_add_co_ci_u32_e64 v11, null, s19, v48, s1
	v_add_co_u32 v123, s1, v45, s17
	v_add_co_ci_u32_e64 v124, null, s19, v46, s1
	v_add_co_u32 v125, s1, v51, s17
	v_add_co_ci_u32_e64 v126, null, s19, v52, s1
	v_add_co_u32 v127, s1, v49, s17
	v_add_co_ci_u32_e64 v128, null, s19, v50, s1
	v_add_co_u32 v129, s1, v55, s17
	v_add_co_ci_u32_e64 v130, null, s19, v56, s1
	global_load_dword v131, v[10:11], off
	global_load_dword v132, v[123:124], off
	global_load_dword v133, v[125:126], off
	global_load_dword v134, v[127:128], off
	global_load_dword v135, v[129:130], off
	v_add_co_u32 v10, s1, v53, s17
	v_add_co_ci_u32_e64 v11, null, s19, v54, s1
	v_add_co_u32 v123, s1, v59, s17
	v_add_co_ci_u32_e64 v124, null, s19, v60, s1
	v_add_co_u32 v125, s1, v57, s17
	v_add_co_ci_u32_e64 v126, null, s19, v58, s1
	v_add_co_u32 v127, s1, v63, s17
	v_add_co_ci_u32_e64 v128, null, s19, v64, s1
	v_add_co_u32 v129, s1, v61, s17
	v_add_co_ci_u32_e64 v130, null, s19, v62, s1
	global_load_dword v136, v[10:11], off
	;; [unrolled: 15-line block ×4, first 2 shown]
	global_load_dword v147, v[123:124], off
	global_load_dword v148, v[125:126], off
	global_load_dword v149, v[127:128], off
	v_add_co_u32 v10, s1, v87, s17
	v_add_co_ci_u32_e64 v11, null, s19, v88, s1
	v_add_co_u32 v123, s1, v85, s17
	v_add_co_ci_u32_e64 v124, null, s19, v86, s1
	;; [unrolled: 2-line block ×4, first 2 shown]
	global_load_dword v129, v[129:130], off
	global_load_dword v130, v[10:11], off
	;; [unrolled: 1-line block ×5, first 2 shown]
	v_add_co_u32 v10, s1, v95, s17
	v_add_co_ci_u32_e64 v11, null, s19, v96, s1
	v_add_co_u32 v123, s1, v93, s17
	v_add_co_ci_u32_e64 v124, null, s19, v94, s1
	;; [unrolled: 2-line block ×3, first 2 shown]
	global_load_dword v128, v[10:11], off
	global_load_dword v152, v[123:124], off
	v_add_co_u32 v10, s1, v97, s17
	v_add_co_ci_u32_e64 v11, null, s19, v98, s1
	v_add_co_u32 v123, s1, v103, s17
	v_add_co_ci_u32_e64 v124, null, s19, v104, s1
	global_load_dword v153, v[125:126], off
	global_load_dword v154, v[10:11], off
	;; [unrolled: 1-line block ×3, first 2 shown]
	v_add_co_u32 v10, s1, v101, s17
	v_add_co_ci_u32_e64 v11, null, s19, v102, s1
	v_add_co_u32 v123, s1, v108, s17
	v_add_co_ci_u32_e64 v124, null, s19, v109, s1
	;; [unrolled: 2-line block ×3, first 2 shown]
	global_load_dword v123, v[123:124], off
	global_load_dword v124, v[10:11], off
	;; [unrolled: 1-line block ×3, first 2 shown]
	v_add_co_u32 v10, s1, v8, s17
	v_add_co_ci_u32_e64 v11, null, s19, v9, s1
	v_add_nc_u32_e32 v126, 0x1000, v16
	v_add_nc_u32_e32 v156, 0x1800, v16
	;; [unrolled: 1-line block ×3, first 2 shown]
	global_load_dword v10, v[10:11], off
	v_add_nc_u32_e32 v11, 0x800, v16
	v_add_nc_u32_e32 v158, 0x2800, v16
	s_add_i32 s1, s2, 0xffffff80
	s_cmp_lt_i32 s1, s3
	s_waitcnt vmcnt(36)
	v_and_b32_e32 v159, 0xf0f0f0f, v4
	v_lshrrev_b32_e32 v4, 4, v4
	s_waitcnt vmcnt(35)
	v_ashrrev_i32_e32 v160, v13, v2
	v_ashrrev_i32_e32 v2, v14, v2
	s_waitcnt vmcnt(34)
	v_and_b32_e32 v161, 0xf0f0f0f, v1
	v_lshrrev_b32_e32 v1, 4, v1
	s_waitcnt vmcnt(33)
	v_ashrrev_i32_e32 v162, v13, v3
	v_ashrrev_i32_e32 v3, v14, v3
	v_lshlrev_b32_e32 v160, 4, v160
	v_and_b32_e32 v4, 0xf0f0f0f, v4
	v_lshlrev_b32_e32 v2, 4, v2
	v_lshlrev_b32_e32 v162, 4, v162
	v_and_b32_e32 v1, 0xf0f0f0f, v1
	v_lshlrev_b32_e32 v3, 4, v3
	v_and_or_b32 v159, 0x10101010, v160, v159
	v_and_or_b32 v2, 0x10101010, v2, v4
	;; [unrolled: 1-line block ×4, first 2 shown]
	s_waitcnt vmcnt(32)
	v_and_b32_e32 v163, 0xf0f0f0f, v131
	v_lshrrev_b32_e32 v131, 4, v131
	s_waitcnt vmcnt(31)
	v_ashrrev_i32_e32 v164, v13, v132
	v_ashrrev_i32_e32 v132, v14, v132
	s_waitcnt vmcnt(30)
	v_and_b32_e32 v165, 0xf0f0f0f, v133
	v_lshrrev_b32_e32 v133, 4, v133
	s_waitcnt vmcnt(29)
	v_ashrrev_i32_e32 v166, v13, v134
	v_ashrrev_i32_e32 v134, v14, v134
	s_waitcnt vmcnt(28)
	v_and_b32_e32 v167, 0xf0f0f0f, v135
	v_lshrrev_b32_e32 v135, 4, v135
	v_lshlrev_b32_e32 v164, 4, v164
	v_and_b32_e32 v131, 0xf0f0f0f, v131
	v_lshlrev_b32_e32 v132, 4, v132
	v_lshlrev_b32_e32 v166, 4, v166
	v_and_b32_e32 v133, 0xf0f0f0f, v133
	v_lshlrev_b32_e32 v134, 4, v134
	v_and_b32_e32 v135, 0xf0f0f0f, v135
	v_and_or_b32 v3, 0x10101010, v164, v163
	v_and_or_b32 v131, 0x10101010, v132, v131
	;; [unrolled: 1-line block ×4, first 2 shown]
	s_waitcnt vmcnt(27)
	v_ashrrev_i32_e32 v168, v13, v136
	v_ashrrev_i32_e32 v136, v14, v136
	s_waitcnt vmcnt(26)
	v_and_b32_e32 v169, 0xf0f0f0f, v137
	v_lshrrev_b32_e32 v137, 4, v137
	s_waitcnt vmcnt(25)
	v_ashrrev_i32_e32 v170, v13, v138
	v_ashrrev_i32_e32 v138, v14, v138
	s_waitcnt vmcnt(24)
	v_and_b32_e32 v171, 0xf0f0f0f, v139
	v_lshrrev_b32_e32 v139, 4, v139
	s_waitcnt vmcnt(23)
	v_ashrrev_i32_e32 v172, v13, v140
	v_ashrrev_i32_e32 v140, v14, v140
	v_lshlrev_b32_e32 v168, 4, v168
	v_lshlrev_b32_e32 v136, 4, v136
	v_and_b32_e32 v137, 0xf0f0f0f, v137
	v_lshlrev_b32_e32 v170, 4, v170
	v_lshlrev_b32_e32 v138, 4, v138
	v_and_b32_e32 v139, 0xf0f0f0f, v139
	v_lshlrev_b32_e32 v172, 4, v172
	v_lshlrev_b32_e32 v140, 4, v140
	v_and_or_b32 v134, 0x10101010, v168, v167
	v_and_or_b32 v135, 0x10101010, v136, v135
	;; [unrolled: 1-line block ×3, first 2 shown]
	s_waitcnt vmcnt(22)
	v_and_b32_e32 v173, 0xf0f0f0f, v141
	v_lshrrev_b32_e32 v141, 4, v141
	s_waitcnt vmcnt(21)
	v_ashrrev_i32_e32 v174, v13, v142
	v_ashrrev_i32_e32 v142, v14, v142
	s_waitcnt vmcnt(20)
	v_and_b32_e32 v175, 0xf0f0f0f, v143
	v_lshrrev_b32_e32 v143, 4, v143
	s_waitcnt vmcnt(19)
	v_ashrrev_i32_e32 v176, v13, v144
	v_ashrrev_i32_e32 v144, v14, v144
	s_waitcnt vmcnt(18)
	v_and_b32_e32 v177, 0xf0f0f0f, v145
	v_lshrrev_b32_e32 v145, 4, v145
	v_and_b32_e32 v141, 0xf0f0f0f, v141
	v_lshlrev_b32_e32 v174, 4, v174
	v_lshlrev_b32_e32 v142, 4, v142
	v_and_b32_e32 v143, 0xf0f0f0f, v143
	v_lshlrev_b32_e32 v176, 4, v176
	v_lshlrev_b32_e32 v144, 4, v144
	v_and_b32_e32 v145, 0xf0f0f0f, v145
	v_and_or_b32 v137, 0x10101010, v138, v137
	v_and_or_b32 v138, 0x10101010, v172, v171
	;; [unrolled: 1-line block ×5, first 2 shown]
	s_waitcnt vmcnt(17)
	v_ashrrev_i32_e32 v178, v13, v146
	v_ashrrev_i32_e32 v146, v14, v146
	s_waitcnt vmcnt(16)
	v_and_b32_e32 v179, 0xf0f0f0f, v147
	v_lshrrev_b32_e32 v147, 4, v147
	s_waitcnt vmcnt(15)
	v_ashrrev_i32_e32 v180, v13, v148
	v_ashrrev_i32_e32 v148, v14, v148
	s_waitcnt vmcnt(14)
	v_and_b32_e32 v181, 0xf0f0f0f, v149
	v_lshrrev_b32_e32 v149, 4, v149
	v_lshlrev_b32_e32 v178, 4, v178
	v_lshlrev_b32_e32 v146, 4, v146
	v_and_b32_e32 v147, 0xf0f0f0f, v147
	v_lshlrev_b32_e32 v180, 4, v180
	v_lshlrev_b32_e32 v148, 4, v148
	v_and_b32_e32 v149, 0xf0f0f0f, v149
	v_and_or_b32 v142, 0x10101010, v176, v175
	v_and_or_b32 v143, 0x10101010, v144, v143
	s_waitcnt vmcnt(13)
	v_ashrrev_i32_e32 v182, v13, v129
	v_ashrrev_i32_e32 v129, v14, v129
	s_waitcnt vmcnt(12)
	v_and_b32_e32 v183, 0xf0f0f0f, v130
	v_lshrrev_b32_e32 v130, 4, v130
	s_waitcnt vmcnt(11)
	v_ashrrev_i32_e32 v184, v13, v150
	v_ashrrev_i32_e32 v150, v14, v150
	s_waitcnt vmcnt(10)
	v_and_b32_e32 v185, 0xf0f0f0f, v151
	v_lshrrev_b32_e32 v151, 4, v151
	s_waitcnt vmcnt(9)
	v_ashrrev_i32_e32 v186, v13, v127
	v_ashrrev_i32_e32 v127, v14, v127
	v_lshlrev_b32_e32 v182, 4, v182
	v_lshlrev_b32_e32 v129, 4, v129
	v_and_b32_e32 v130, 0xf0f0f0f, v130
	v_lshlrev_b32_e32 v184, 4, v184
	v_lshlrev_b32_e32 v150, 4, v150
	v_and_b32_e32 v151, 0xf0f0f0f, v151
	s_waitcnt vmcnt(8)
	v_and_b32_e32 v187, 0xf0f0f0f, v128
	v_lshrrev_b32_e32 v128, 4, v128
	s_waitcnt vmcnt(7)
	v_ashrrev_i32_e32 v188, v13, v152
	v_ashrrev_i32_e32 v152, v14, v152
	v_lshlrev_b32_e32 v186, 4, v186
	v_lshlrev_b32_e32 v127, 4, v127
	v_and_b32_e32 v128, 0xf0f0f0f, v128
	v_lshlrev_b32_e32 v188, 4, v188
	v_lshlrev_b32_e32 v152, 4, v152
	s_waitcnt vmcnt(6)
	v_and_b32_e32 v189, 0xf0f0f0f, v153
	v_lshrrev_b32_e32 v153, 4, v153
	s_waitcnt vmcnt(5)
	v_ashrrev_i32_e32 v190, v13, v154
	v_ashrrev_i32_e32 v154, v14, v154
	s_waitcnt vmcnt(4)
	v_ashrrev_i32_e32 v155, v15, v155
	v_and_or_b32 v144, 0x10101010, v178, v177
	v_and_or_b32 v145, 0x10101010, v146, v145
	v_and_or_b32 v146, 0x10101010, v180, v179
	v_and_or_b32 v147, 0x10101010, v148, v147
	v_and_or_b32 v148, 0x10101010, v182, v181
	v_and_or_b32 v129, 0x10101010, v129, v149
	v_and_or_b32 v149, 0x10101010, v184, v183
	v_and_or_b32 v130, 0x10101010, v150, v130
	ds_write2_b32 v16, v159, v2 offset1:8
	ds_write2_b32 v11, v4, v1 offset0:8 offset1:16
	ds_write2_b32 v126, v3, v131 offset0:16 offset1:24
	ds_write2_b32 v156, v132, v133 offset0:24 offset1:32
	ds_write2_b32 v157, v134, v135 offset0:32 offset1:40
	ds_write2_b32 v158, v136, v137 offset0:40 offset1:48
	ds_write2_b32 v110, v138, v139 offset0:48 offset1:56
	ds_write2_b32 v111, v140, v141 offset0:56 offset1:64
	ds_write2_b32 v112, v142, v143 offset0:64 offset1:72
	ds_write2_b32 v113, v144, v145 offset0:72 offset1:80
	ds_write2_b32 v114, v146, v147 offset0:80 offset1:88
	ds_write2_b32 v115, v148, v129 offset0:88 offset1:96
	ds_write2_b32 v116, v149, v130 offset0:96 offset1:104
	s_waitcnt vmcnt(3)
	v_ashrrev_i32_e32 v1, v15, v123
	v_and_b32_e32 v153, 0xf0f0f0f, v153
	v_lshlrev_b32_e32 v190, 4, v190
	v_lshlrev_b32_e32 v154, 4, v154
	v_and_or_b32 v150, 0x10101010, v186, v185
	v_and_or_b32 v127, 0x10101010, v127, v151
	v_and_b32_e32 v4, 0xf0f0f0f, v155
	s_waitcnt vmcnt(2)
	v_ashrrev_i32_e32 v11, v18, v124
	v_and_or_b32 v151, 0x10101010, v188, v187
	v_and_or_b32 v128, 0x10101010, v152, v128
	v_and_b32_e32 v1, 0xf0f0f0f, v1
	s_waitcnt vmcnt(1)
	v_ashrrev_i32_e32 v123, v18, v125
	v_and_or_b32 v2, 0x10101010, v190, v189
	v_and_or_b32 v3, 0x10101010, v154, v153
	ds_write2_b32 v117, v150, v127 offset0:104 offset1:112
	ds_write2_b32 v118, v151, v128 offset0:112 offset1:120
	ds_write2_b32 v119, v2, v3 offset0:120 offset1:128
	v_and_or_b32 v2, 0x30303030, v11, v4
	v_and_or_b32 v1, 0x30303030, v123, v1
	s_waitcnt vmcnt(0)
	ds_write_b32 v17, v10
	ds_write_b32 v19, v2
	;; [unrolled: 1-line block ×3, first 2 shown]
	s_cbranch_scc0 .LBB193_5
; %bb.7:                                ;   in Loop: Header=BB193_6 Depth=1
	v_cmp_gt_i32_e64 s1, s9, v20
	s_and_b32 s4, s0, s1
	s_and_saveexec_b32 s1, s4
	s_cbranch_execz .LBB193_9
; %bb.8:                                ;   in Loop: Header=BB193_6 Depth=1
	v_add_nc_u32_e32 v1, v36, v20
	v_mad_i64_i32 v[1:2], null, v1, 36, v[5:6]
	global_load_dword v1, v[1:2], off offset:4
	s_waitcnt vmcnt(0)
	ds_write_b32 v24, v1
.LBB193_9:                              ;   in Loop: Header=BB193_6 Depth=1
	s_or_b32 exec_lo, exec_lo, s1
	v_cmp_gt_i32_e64 s1, s9, v120
	s_and_b32 s4, s20, s1
	s_and_saveexec_b32 s1, s4
	s_cbranch_execz .LBB193_11
; %bb.10:                               ;   in Loop: Header=BB193_6 Depth=1
	v_add_nc_u32_e32 v1, v36, v120
	v_mad_i64_i32 v[1:2], null, v1, 36, s[6:7]
	global_load_dword v1, v[1:2], off
	v_add_nc_u32_e32 v2, v23, v25
	s_waitcnt vmcnt(0)
	ds_write_b32 v2, v1
.LBB193_11:                             ;   in Loop: Header=BB193_6 Depth=1
	s_or_b32 exec_lo, exec_lo, s1
	s_waitcnt lgkmcnt(0)
	s_barrier
	buffer_gl0_inv
	ds_read2_b32 v[123:124], v27 offset1:1
	ds_read_b128 v[127:130], v21
	ds_read_b128 v[131:134], v21 offset:16
	ds_read_b128 v[135:138], v21 offset:32
	;; [unrolled: 1-line block ×3, first 2 shown]
	ds_read2_b32 v[125:126], v27 offset0:2 offset1:3
	ds_read2_b32 v[143:144], v27 offset0:4 offset1:5
	;; [unrolled: 1-line block ×4, first 2 shown]
	v_add_nc_u32_e32 v151, 0x2080, v27
	v_mov_b32_e32 v175, 0
	ds_read2_b32 v[10:11], v26 offset1:2
	ds_read_b128 v[1:4], v25 offset:36944
	ds_read2_b32 v[149:150], v27 offset0:10 offset1:11
	v_mov_b32_e32 v176, 0
	ds_read2_b32 v[151:152], v151 offset1:1
	v_add_nc_u32_e32 v161, 0x2090, v27
	v_add_nc_u32_e32 v162, 0x20a0, v27
	v_mov_b32_e32 v177, 0
	v_add_nc_u32_e32 v163, 0x2098, v27
	v_mov_b32_e32 v178, 0
	v_mov_b32_e32 v182, 0
	s_waitcnt lgkmcnt(11)
	v_dot4c_i32_i8 v175, v123, v127
	v_add_nc_u32_e32 v123, 0x2088, v27
	ds_read2_b32 v[153:154], v27 offset0:12 offset1:13
	ds_read2_b32 v[155:156], v27 offset0:14 offset1:15
	;; [unrolled: 1-line block ×3, first 2 shown]
	ds_read2_b32 v[159:160], v123 offset1:1
	v_add_nc_u32_e32 v165, 0x4130, v27
	v_dot4c_i32_i8 v175, v124, v128
	v_add_nc_u32_e32 v167, 0x4138, v27
	s_waitcnt lgkmcnt(8)
	v_dot4c_i32_i8 v176, v147, v135
	v_add_nc_u32_e32 v169, 0x6180, v27
	v_add_nc_u32_e32 v171, 0x6198, v27
	v_dot4c_i32_i8 v175, v125, v129
	ds_read_b32 v123, v31 offset:128
	ds_read_b32 v124, v33 offset:256
	;; [unrolled: 1-line block ×3, first 2 shown]
	v_dot4c_i32_i8 v176, v148, v136
	ds_read2_b32 v[147:148], v161 offset1:1
	ds_read2_b32 v[161:162], v162 offset1:1
	s_waitcnt lgkmcnt(9)
	v_dot4c_i32_i8 v177, v151, v127
	v_dot4c_i32_i8 v175, v126, v130
	ds_read_b32 v126, v29
	v_dot4c_i32_i8 v176, v149, v137
	v_add_nc_u32_e32 v151, 0x4100, v27
	v_dot4c_i32_i8 v177, v152, v128
	v_dot4c_i32_i8 v175, v143, v131
	v_add_nc_u32_e32 v143, 0x20a8, v27
	v_dot4c_i32_i8 v176, v150, v138
	ds_read2_b32 v[149:150], v163 offset1:1
	s_waitcnt lgkmcnt(7)
	v_dot4c_i32_i8 v177, v159, v129
	v_dot4c_i32_i8 v175, v144, v132
	ds_read2_b32 v[143:144], v143 offset1:1
	v_dot4c_i32_i8 v176, v153, v139
	v_add_nc_u32_e32 v173, 0x61a0, v27
	v_dot4c_i32_i8 v177, v160, v130
	v_dot4c_i32_i8 v175, v145, v133
	v_add_nc_u32_e32 v145, 0x20b0, v27
	v_dot4c_i32_i8 v176, v154, v140
	s_waitcnt lgkmcnt(3)
	v_dot4c_i32_i8 v178, v161, v135
	v_dot4c_i32_i8 v177, v147, v131
	;; [unrolled: 1-line block ×3, first 2 shown]
	ds_read2_b32 v[145:146], v145 offset1:1
	v_add_nc_u32_e32 v147, 0x20b8, v27
	v_dot4c_i32_i8 v178, v162, v136
	v_dot4c_i32_i8 v177, v148, v132
	ds_read2_b32 v[147:148], v147 offset1:1
	ds_read2_b32 v[151:152], v151 offset1:1
	v_dot4c_i32_i8 v176, v155, v141
	s_waitcnt lgkmcnt(4)
	v_dot4c_i32_i8 v177, v149, v133
	v_add_nc_u32_e32 v161, 0x4118, v27
	s_waitcnt lgkmcnt(3)
	v_dot4c_i32_i8 v178, v143, v137
	v_add_nc_u32_e32 v143, 0x4108, v27
	v_dot4c_i32_i8 v176, v156, v142
	v_add_nc_u32_e32 v163, 0x4120, v27
	v_dot4c_i32_i8 v177, v150, v134
	v_dot4c_i32_i8 v178, v144, v138
	ds_read2_b32 v[143:144], v143 offset1:1
	ds_read2_b32 v[153:154], v27 offset0:26 offset1:27
	ds_read2_b32 v[155:156], v27 offset0:28 offset1:29
	ds_read2_b32 v[159:160], v27 offset0:30 offset1:31
	ds_read2_b32 v[149:150], v30 offset1:2
	v_mov_b32_e32 v184, 0
	v_mov_b32_e32 v186, 0
	s_waitcnt lgkmcnt(7)
	v_dot4c_i32_i8 v178, v145, v139
	v_add_nc_u32_e32 v145, 0x4110, v27
	v_cvt_f32_ubyte0_e32 v179, v11
	v_cvt_f32_ubyte1_e32 v180, v11
	v_cvt_f32_f16_sdwa v181, v126 dst_sel:DWORD dst_unused:UNUSED_PAD src0_sel:WORD_1
	v_dot4c_i32_i8 v178, v146, v140
	s_waitcnt lgkmcnt(5)
	v_dot4c_i32_i8 v182, v151, v127
	ds_read2_b32 v[145:146], v145 offset1:1
	ds_read2_b32 v[161:162], v161 offset1:1
	;; [unrolled: 1-line block ×3, first 2 shown]
	v_cvt_f32_f16_sdwa v187, v123 dst_sel:DWORD dst_unused:UNUSED_PAD src0_sel:WORD_1
	v_mov_b32_e32 v188, 0
	v_dot4c_i32_i8 v178, v147, v141
	v_add_nc_u32_e32 v147, 0x4128, v27
	v_dot4c_i32_i8 v182, v152, v128
	ds_read2_b32 v[151:152], v147 offset1:1
	ds_read2_b32 v[165:166], v165 offset1:1
	;; [unrolled: 1-line block ×4, first 2 shown]
	s_waitcnt lgkmcnt(11)
	v_dot4c_i32_i8 v182, v143, v129
	v_add_nc_u32_e32 v143, 0x6188, v27
	v_add_nc_u32_e32 v147, 0x6190, v27
	v_dot4c_i32_i8 v178, v148, v142
	s_waitcnt lgkmcnt(7)
	v_cvt_f32_ubyte0_e32 v183, v150
	v_dot4c_i32_i8 v182, v144, v130
	ds_read2_b32 v[143:144], v143 offset1:1
	ds_read2_b32 v[147:148], v147 offset1:1
	;; [unrolled: 1-line block ×4, first 2 shown]
	v_cvt_f32_ubyte1_e32 v185, v150
	v_mov_b32_e32 v191, 0
	v_cvt_f32_ubyte2_e32 v190, v11
	s_waitcnt lgkmcnt(8)
	v_dot4c_i32_i8 v184, v163, v135
	v_dot4c_i32_i8 v182, v145, v131
	v_add_nc_u32_e32 v163, 0x61a8, v27
	v_cvt_f32_ubyte3_e32 v11, v11
	s_cmp_ge_i32 s2, s3
	v_dot4c_i32_i8 v184, v164, v136
	v_dot4c_i32_i8 v182, v146, v132
	ds_read2_b32 v[145:146], v32 offset1:2
	ds_read2_b32 v[163:164], v163 offset1:1
	s_waitcnt lgkmcnt(6)
	v_dot4c_i32_i8 v186, v169, v127
	v_add_nc_u32_e32 v127, 0x61b0, v27
	v_dot4c_i32_i8 v182, v161, v133
	v_mov_b32_e32 v161, 0
	v_dot4c_i32_i8 v184, v151, v137
	v_dot4c_i32_i8 v186, v170, v128
	ds_read2_b32 v[127:128], v127 offset1:1
	v_dot4c_i32_i8 v182, v162, v134
	s_waitcnt lgkmcnt(3)
	v_dot4c_i32_i8 v161, v173, v135
	v_add_nc_u32_e32 v135, 0x20c0, v27
	v_dot4c_i32_i8 v186, v143, v129
	v_add_nc_u32_e32 v129, 0x61b8, v27
	v_dot4c_i32_i8 v184, v152, v138
	v_dot4c_i32_i8 v161, v174, v136
	v_add_nc_u32_e32 v169, 0x20e0, v27
	v_dot4c_i32_i8 v186, v144, v130
	ds_read2_b32 v[143:144], v34 offset1:2
	ds_read2_b32 v[129:130], v129 offset1:1
	;; [unrolled: 1-line block ×3, first 2 shown]
	v_and_b32_e32 v135, 0xff, v10
	s_waitcnt lgkmcnt(4)
	v_dot4c_i32_i8 v161, v163, v137
	v_dot4c_i32_i8 v184, v165, v139
	;; [unrolled: 1-line block ×3, first 2 shown]
	v_bfe_u32 v136, v145, 8, 8
	v_mul_lo_u32 v135, v175, v135
	v_dot4c_i32_i8 v161, v164, v138
	v_dot4c_i32_i8 v184, v166, v140
	;; [unrolled: 1-line block ×3, first 2 shown]
	v_bfe_u32 v132, v10, 8, 8
	v_cvt_f32_ubyte0_e32 v131, v146
	s_waitcnt lgkmcnt(3)
	v_dot4c_i32_i8 v161, v127, v139
	v_dot4c_i32_i8 v184, v167, v141
	;; [unrolled: 1-line block ×3, first 2 shown]
	v_mul_lo_u32 v127, v176, v132
	v_cvt_f32_i32_e32 v133, v135
	v_dot4c_i32_i8 v161, v128, v140
	v_fma_mix_f32 v128, v1, v179, 0 op_sel:[1,0,0] op_sel_hi:[1,0,0]
	v_dot4c_i32_i8 v186, v172, v134
	v_bfe_u32 v134, v149, 8, 8
	v_fma_mix_f32 v133, v1, v133, 0 op_sel_hi:[1,0,0]
	s_waitcnt lgkmcnt(1)
	v_dot4c_i32_i8 v161, v129, v141
	v_cvt_f32_i32_e32 v127, v127
	v_and_b32_e32 v129, 0xff, v149
	v_fma_mix_f32 v128, v2, v180, v128 op_sel:[1,0,0] op_sel_hi:[1,0,0]
	v_dot4c_i32_i8 v184, v168, v142
	v_mul_lo_u32 v134, v178, v134
	v_fma_mix_f32 v127, v2, v127, v133 op_sel_hi:[1,0,0]
	v_and_b32_e32 v133, 0xff, v145
	v_mul_lo_u32 v129, v177, v129
	v_mul_f32_e32 v128, v128, v181
	v_dot4c_i32_i8 v161, v130, v142
	v_fma_mix_f32 v130, v1, v183, 0 op_sel:[1,0,0] op_sel_hi:[1,0,0]
	v_mul_lo_u32 v133, v182, v133
	v_cvt_f32_i32_e32 v134, v134
	v_fma_mix_f32 v127, v127, v126, -v128 op_sel_hi:[0,1,0]
	v_mul_lo_u32 v128, v184, v136
	v_cvt_f32_i32_e32 v129, v129
	v_fma_mix_f32 v130, v2, v185, v130 op_sel:[1,0,0] op_sel_hi:[1,0,0]
	v_cvt_f32_ubyte1_e32 v132, v146
	v_fma_mix_f32 v131, v1, v131, 0 op_sel:[1,0,0] op_sel_hi:[1,0,0]
	v_cvt_f32_i32_e32 v133, v133
	v_fma_mix_f32 v129, v1, v129, 0 op_sel_hi:[1,0,0]
	v_mul_f32_e32 v130, v130, v187
	v_cvt_f32_i32_e32 v128, v128
	v_fma_mix_f32 v131, v2, v132, v131 op_sel:[1,0,0] op_sel_hi:[1,0,0]
	v_fma_mix_f32 v133, v1, v133, 0 op_sel_hi:[1,0,0]
	v_fma_mix_f32 v129, v2, v134, v129 op_sel_hi:[1,0,0]
	v_and_b32_e32 v132, 0xff, v143
	v_cvt_f32_f16_sdwa v175, v124 dst_sel:DWORD dst_unused:UNUSED_PAD src0_sel:WORD_1
	v_add_f32_e32 v105, v105, v127
	v_fma_mix_f32 v133, v2, v128, v133 op_sel_hi:[1,0,0]
	v_fma_mix_f32 v136, v129, v123, -v130 op_sel_hi:[0,1,0]
	ds_read_b128 v[127:130], v21 offset:64
	v_bfe_u32 v134, v143, 8, 8
	v_mul_lo_u32 v132, v186, v132
	v_mul_f32_e32 v131, v131, v175
	v_add_f32_e32 v178, v122, v136
	v_mov_b32_e32 v183, 0
	v_mul_lo_u32 v134, v161, v134
	v_cvt_f32_ubyte0_e32 v135, v144
	v_fma_mix_f32 v131, v133, v124, -v131 op_sel_hi:[0,1,0]
	v_add_nc_u32_e32 v142, 0x20c8, v27
	v_cvt_f32_i32_e32 v122, v132
	v_add_nc_u32_e32 v165, 0x20d0, v27
	v_add_nc_u32_e32 v167, 0x20d8, v27
	v_add_f32_e32 v180, v121, v131
	v_cvt_f32_i32_e32 v139, v134
	v_fma_mix_f32 v140, v1, v122, 0 op_sel_hi:[1,0,0]
	ds_read_b128 v[131:134], v21 offset:96
	ds_read2_b32 v[121:122], v27 offset0:18 offset1:19
	ds_read2_b32 v[147:148], v27 offset0:20 offset1:21
	ds_read2_b32 v[161:162], v27 offset0:22 offset1:23
	ds_read2_b32 v[163:164], v27 offset0:24 offset1:25
	v_fma_mix_f32 v1, v1, v135, 0 op_sel:[1,0,0] op_sel_hi:[1,0,0]
	v_cvt_f32_ubyte1_e32 v141, v144
	s_waitcnt lgkmcnt(5)
	v_dot4c_i32_i8 v183, v157, v127
	ds_read_b128 v[135:138], v21 offset:80
	v_mov_b32_e32 v184, 0
	v_fma_mix_f32 v171, v2, v139, v140 op_sel_hi:[1,0,0]
	v_fma_mix_f32 v172, v2, v141, v1 op_sel:[1,0,0] op_sel_hi:[1,0,0]
	v_dot4c_i32_i8 v183, v158, v128
	ds_read2_b32 v[157:158], v142 offset1:1
	ds_read2_b32 v[165:166], v165 offset1:1
	ds_read2_b32 v[167:168], v167 offset1:1
	ds_read2_b32 v[169:170], v169 offset1:1
	v_add_nc_u32_e32 v1, 0x20e8, v27
	ds_read_b128 v[139:142], v21 offset:112
	v_mov_b32_e32 v185, 0
	v_cvt_f32_f16_sdwa v186, v125 dst_sel:DWORD dst_unused:UNUSED_PAD src0_sel:WORD_1
	v_add_nc_u32_e32 v173, 0x61e0, v27
	ds_read2_b32 v[1:2], v1 offset1:1
	v_lshrrev_b32_e32 v176, 24, v10
	s_waitcnt lgkmcnt(10)
	v_dot4c_i32_i8 v183, v121, v129
	v_add_nc_u32_e32 v121, 0x20f0, v27
	v_dot4c_i32_i8 v185, v151, v127
	s_waitcnt lgkmcnt(7)
	v_dot4c_i32_i8 v184, v163, v131
	v_add_nc_u32_e32 v151, 0x4140, v27
	v_dot4c_i32_i8 v183, v122, v130
	ds_read2_b32 v[121:122], v121 offset1:1
	v_dot4c_i32_i8 v185, v152, v128
	v_dot4c_i32_i8 v184, v164, v132
	v_add_nc_u32_e32 v163, 0x61c0, v27
	s_waitcnt lgkmcnt(7)
	v_dot4c_i32_i8 v183, v147, v135
	v_add_nc_u32_e32 v147, 0x20f8, v27
	s_waitcnt lgkmcnt(3)
	v_dot4c_i32_i8 v188, v169, v131
	v_dot4c_i32_i8 v184, v153, v133
	;; [unrolled: 1-line block ×4, first 2 shown]
	ds_read2_b32 v[147:148], v147 offset1:1
	ds_read2_b32 v[151:152], v151 offset1:1
	v_dot4c_i32_i8 v188, v170, v132
	v_dot4c_i32_i8 v184, v154, v134
	;; [unrolled: 1-line block ×4, first 2 shown]
	v_add_nc_u32_e32 v153, 0x4158, v27
	s_waitcnt lgkmcnt(3)
	v_dot4c_i32_i8 v188, v1, v133
	v_dot4c_i32_i8 v184, v155, v139
	v_mul_f32_e32 v1, v172, v186
	v_dot4c_i32_i8 v185, v165, v135
	v_add_nc_u32_e32 v155, 0x4160, v27
	v_dot4c_i32_i8 v188, v2, v134
	v_dot4c_i32_i8 v184, v156, v140
	v_fma_mix_f32 v189, v171, v125, -v1 op_sel_hi:[0,1,0]
	v_add_nc_u32_e32 v1, 0x4148, v27
	v_dot4c_i32_i8 v185, v166, v136
	s_waitcnt lgkmcnt(2)
	v_dot4c_i32_i8 v188, v121, v139
	v_dot4c_i32_i8 v184, v159, v141
	v_add_nc_u32_e32 v121, 0x4150, v27
	v_add_nc_u32_e32 v157, 0x4168, v27
	;; [unrolled: 1-line block ×4, first 2 shown]
	v_dot4c_i32_i8 v183, v162, v138
	v_dot4c_i32_i8 v184, v160, v142
	v_dot4c_i32_i8 v188, v122, v140
	ds_read2_b32 v[1:2], v1 offset1:1
	ds_read2_b32 v[121:122], v121 offset1:1
	;; [unrolled: 1-line block ×8, first 2 shown]
	v_add_nc_u32_e32 v165, 0x61c8, v27
	v_dot4c_i32_i8 v185, v167, v137
	v_add_nc_u32_e32 v167, 0x61d0, v27
	v_add_nc_u32_e32 v171, 0x61d8, v27
	ds_read2_b32 v[165:166], v165 offset1:1
	ds_read2_b32 v[169:170], v167 offset1:1
	;; [unrolled: 1-line block ×4, first 2 shown]
	s_waitcnt lgkmcnt(12)
	v_dot4c_i32_i8 v191, v151, v127
	v_dot4c_i32_i8 v188, v147, v141
	v_add_nc_u32_e32 v147, 0x61e8, v27
	v_mov_b32_e32 v151, 0
	v_bfe_u32 v10, v10, 16, 8
	v_dot4c_i32_i8 v191, v152, v128
	v_mov_b32_e32 v152, 0
	v_dot4c_i32_i8 v188, v148, v142
	ds_read2_b32 v[147:148], v147 offset1:1
	s_waitcnt lgkmcnt(9)
	v_dot4c_i32_i8 v151, v155, v131
	v_dot4c_i32_i8 v191, v1, v129
	v_add_nc_u32_e32 v1, 0x61f0, v27
	s_waitcnt lgkmcnt(5)
	v_dot4c_i32_i8 v152, v163, v127
	v_mov_b32_e32 v127, 0
	v_dot4c_i32_i8 v151, v156, v132
	v_dot4c_i32_i8 v191, v2, v130
	ds_read2_b32 v[1:2], v1 offset1:1
	v_dot4c_i32_i8 v152, v164, v128
	v_dot4c_i32_i8 v185, v168, v138
	s_waitcnt lgkmcnt(2)
	v_dot4c_i32_i8 v127, v173, v131
	v_dot4c_i32_i8 v191, v121, v135
	v_add_nc_u32_e32 v121, 0x61f8, v27
	v_dot4c_i32_i8 v152, v165, v129
	v_dot4c_i32_i8 v151, v157, v133
	;; [unrolled: 1-line block ×4, first 2 shown]
	ds_read2_b32 v[121:122], v121 offset1:1
	v_dot4c_i32_i8 v152, v166, v130
	v_dot4c_i32_i8 v151, v158, v134
	s_waitcnt lgkmcnt(2)
	v_dot4c_i32_i8 v127, v147, v133
	v_mul_lo_u32 v129, v184, v176
	v_bfe_u32 v130, v149, 16, 8
	v_dot4c_i32_i8 v152, v169, v135
	v_dot4c_i32_i8 v151, v159, v139
	;; [unrolled: 1-line block ×3, first 2 shown]
	v_lshrrev_b32_e32 v177, 24, v149
	v_dot4c_i32_i8 v191, v153, v137
	v_dot4c_i32_i8 v152, v170, v136
	;; [unrolled: 1-line block ×3, first 2 shown]
	s_waitcnt lgkmcnt(1)
	v_dot4c_i32_i8 v127, v1, v139
	v_mul_lo_u32 v1, v183, v10
	v_dot4c_i32_i8 v191, v154, v138
	v_dot4c_i32_i8 v152, v171, v137
	;; [unrolled: 1-line block ×4, first 2 shown]
	v_mul_lo_u32 v132, v188, v177
	v_lshrrev_b32_e32 v179, 24, v145
	v_dot4c_i32_i8 v152, v172, v138
	v_cvt_f32_i32_e32 v1, v1
	s_waitcnt lgkmcnt(0)
	v_dot4c_i32_i8 v127, v121, v141
	v_cvt_f32_i32_e32 v121, v129
	v_mul_lo_u32 v129, v185, v130
	v_fma_mix_f32 v130, v3, v190, 0 op_sel:[1,0,0] op_sel_hi:[1,0,0]
	v_fma_mix_f32 v1, v3, v1, 0 op_sel_hi:[1,0,0]
	v_dot4c_i32_i8 v127, v122, v142
	v_bfe_u32 v122, v145, 16, 8
	v_lshrrev_b32_e32 v182, 24, v143
	v_fma_mix_f32 v11, v4, v11, v130 op_sel:[1,0,0] op_sel_hi:[1,0,0]
	v_bfe_u32 v130, v143, 16, 8
	v_fma_mix_f32 v1, v4, v121, v1 op_sel_hi:[1,0,0]
	v_cvt_f32_i32_e32 v121, v129
	v_dot4c_i32_i8 v151, v162, v142
	v_mul_lo_u32 v122, v191, v122
	v_mul_lo_u32 v130, v152, v130
	v_cvt_f32_ubyte2_e32 v167, v150
	v_cvt_f32_ubyte2_e32 v10, v146
	;; [unrolled: 1-line block ×3, first 2 shown]
	v_cvt_f32_i32_e32 v132, v132
	v_fma_mix_f32 v121, v3, v121, 0 op_sel_hi:[1,0,0]
	v_mul_lo_u32 v133, v151, v179
	v_mul_lo_u32 v127, v127, v182
	v_cvt_f32_ubyte3_e32 v128, v150
	v_cvt_f32_ubyte3_e32 v2, v146
	v_fma_mix_f32 v129, v3, v167, 0 op_sel:[1,0,0] op_sel_hi:[1,0,0]
	v_fma_mix_f32 v121, v4, v132, v121 op_sel_hi:[1,0,0]
	v_fma_mix_f32 v10, v3, v10, 0 op_sel:[1,0,0] op_sel_hi:[1,0,0]
	v_cvt_f32_i32_e32 v122, v122
	v_cvt_f32_i32_e32 v130, v130
	v_fma_mix_f32 v131, v3, v131, 0 op_sel:[1,0,0] op_sel_hi:[1,0,0]
	v_cvt_f32_ubyte3_e32 v132, v144
	v_fma_mix_f32 v128, v4, v128, v129 op_sel:[1,0,0] op_sel_hi:[1,0,0]
	v_cvt_f32_i32_e32 v129, v133
	v_fma_mix_f32 v122, v3, v122, 0 op_sel_hi:[1,0,0]
	v_fma_mix_f32 v2, v4, v2, v10 op_sel:[1,0,0] op_sel_hi:[1,0,0]
	v_cvt_f32_i32_e32 v10, v127
	v_fma_mix_f32 v3, v3, v130, 0 op_sel_hi:[1,0,0]
	v_fma_mix_f32 v127, v4, v132, v131 op_sel:[1,0,0] op_sel_hi:[1,0,0]
	v_mul_f32_e32 v11, v11, v181
	v_mul_f32_e32 v128, v128, v187
	v_fma_mix_f32 v122, v4, v129, v122 op_sel_hi:[1,0,0]
	v_mul_f32_e32 v2, v2, v175
	v_fma_mix_f32 v3, v4, v10, v3 op_sel_hi:[1,0,0]
	v_mul_f32_e32 v4, v127, v186
	v_add_f32_e32 v7, v7, v189
	v_fma_mix_f32 v1, v1, v126, -v11 op_sel_hi:[0,1,0]
	v_fma_mix_f32 v10, v121, v123, -v128 op_sel_hi:[0,1,0]
	;; [unrolled: 1-line block ×4, first 2 shown]
	v_add_f32_e32 v105, v105, v1
	v_add_f32_e32 v122, v178, v10
	;; [unrolled: 1-line block ×4, first 2 shown]
	s_barrier
	buffer_gl0_inv
	s_cbranch_scc1 .LBB193_5
; %bb.12:                               ;   in Loop: Header=BB193_6 Depth=1
	v_cmp_gt_i32_e64 s1, s9, v28
	s_and_b32 s4, s0, s1
	s_and_saveexec_b32 s1, s4
	s_cbranch_execz .LBB193_14
; %bb.13:                               ;   in Loop: Header=BB193_6 Depth=1
	v_add_nc_u32_e32 v1, v36, v28
	v_mad_i64_i32 v[1:2], null, v1, 36, v[5:6]
	global_load_dword v1, v[1:2], off offset:4
	s_waitcnt vmcnt(0)
	ds_write_b32 v24, v1
.LBB193_14:                             ;   in Loop: Header=BB193_6 Depth=1
	s_or_b32 exec_lo, exec_lo, s1
	s_and_saveexec_b32 s4, vcc_lo
	s_cbranch_execz .LBB193_4
; %bb.15:                               ;   in Loop: Header=BB193_6 Depth=1
	v_add_nc_u32_e32 v1, 4, v120
	v_cmp_gt_i32_e64 s1, s9, v1
	s_and_b32 s1, s0, s1
	s_and_b32 exec_lo, exec_lo, s1
	s_cbranch_execz .LBB193_4
; %bb.16:                               ;   in Loop: Header=BB193_6 Depth=1
	v_ashrrev_i32_e32 v1, 31, v120
	v_ashrrev_i32_e32 v2, 31, v36
	v_add_co_u32 v3, s1, v36, v120
	v_add_co_ci_u32_e64 v4, null, v2, v1, s1
	v_mad_u64_u32 v[1:2], null, v3, 36, s[6:7]
	v_mad_i32_i24 v2, v4, 36, v2
	global_load_dword v1, v[1:2], off offset:144
	v_add_nc_u32_e32 v2, v23, v25
	s_waitcnt vmcnt(0)
	ds_write_b32 v2, v1
	s_branch .LBB193_4
.LBB193_17:
	s_mul_i32 s0, s11, s8
	s_waitcnt vmcnt(0)
	v_cmp_gt_i32_e32 vcc_lo, s0, v12
	s_and_saveexec_b32 s0, vcc_lo
	s_cbranch_execz .LBB193_26
; %bb.18:
	v_add_nc_u32_e32 v1, s16, v0
	v_mul_lo_u32 v0, v12, s10
	s_mov_b32 s0, exec_lo
	v_cmpx_gt_u32_e64 s10, v1
	s_cbranch_execz .LBB193_20
; %bb.19:
	v_add_nc_u32_e32 v2, v0, v1
	v_mov_b32_e32 v3, 0
	v_lshlrev_b64 v[2:3], 2, v[2:3]
	v_add_co_u32 v2, vcc_lo, s12, v2
	v_add_co_ci_u32_e64 v3, null, s13, v3, vcc_lo
	global_store_dword v[2:3], v105, off
.LBB193_20:
	s_or_b32 exec_lo, exec_lo, s0
	v_add_nc_u32_e32 v2, 32, v1
	s_mov_b32 s0, exec_lo
	v_cmpx_gt_u32_e64 s10, v2
	s_cbranch_execz .LBB193_22
; %bb.21:
	v_add_nc_u32_e32 v2, v0, v2
	v_mov_b32_e32 v3, 0
	v_lshlrev_b64 v[2:3], 2, v[2:3]
	v_add_co_u32 v2, vcc_lo, s12, v2
	v_add_co_ci_u32_e64 v3, null, s13, v3, vcc_lo
	global_store_dword v[2:3], v122, off
.LBB193_22:
	s_or_b32 exec_lo, exec_lo, s0
	v_add_nc_u32_e32 v2, 64, v1
	;; [unrolled: 13-line block ×3, first 2 shown]
	v_cmp_gt_u32_e32 vcc_lo, s10, v1
	s_and_b32 exec_lo, exec_lo, vcc_lo
	s_cbranch_execz .LBB193_26
; %bb.25:
	v_add_nc_u32_e32 v0, v0, v1
	v_mov_b32_e32 v1, 0
	v_lshlrev_b64 v[0:1], 2, v[0:1]
	v_add_co_u32 v0, vcc_lo, s12, v0
	v_add_co_ci_u32_e64 v1, null, s13, v1, vcc_lo
	global_store_dword v[0:1], v7, off
.LBB193_26:
	s_endpgm
	.section	.rodata,"a",@progbits
	.p2align	6, 0x0
	.amdhsa_kernel _ZL8moe_q5_KIfLb0EEvPKvS1_PT_PKiS5_S5_iiiiiii
		.amdhsa_group_segment_fixed_size 37072
		.amdhsa_private_segment_fixed_size 0
		.amdhsa_kernarg_size 76
		.amdhsa_user_sgpr_count 6
		.amdhsa_user_sgpr_private_segment_buffer 1
		.amdhsa_user_sgpr_dispatch_ptr 0
		.amdhsa_user_sgpr_queue_ptr 0
		.amdhsa_user_sgpr_kernarg_segment_ptr 1
		.amdhsa_user_sgpr_dispatch_id 0
		.amdhsa_user_sgpr_flat_scratch_init 0
		.amdhsa_user_sgpr_private_segment_size 0
		.amdhsa_wavefront_size32 1
		.amdhsa_uses_dynamic_stack 0
		.amdhsa_system_sgpr_private_segment_wavefront_offset 0
		.amdhsa_system_sgpr_workgroup_id_x 1
		.amdhsa_system_sgpr_workgroup_id_y 1
		.amdhsa_system_sgpr_workgroup_id_z 0
		.amdhsa_system_sgpr_workgroup_info 0
		.amdhsa_system_vgpr_workitem_id 1
		.amdhsa_next_free_vgpr 192
		.amdhsa_next_free_sgpr 24
		.amdhsa_reserve_vcc 1
		.amdhsa_reserve_flat_scratch 0
		.amdhsa_float_round_mode_32 0
		.amdhsa_float_round_mode_16_64 0
		.amdhsa_float_denorm_mode_32 3
		.amdhsa_float_denorm_mode_16_64 3
		.amdhsa_dx10_clamp 1
		.amdhsa_ieee_mode 1
		.amdhsa_fp16_overflow 0
		.amdhsa_workgroup_processor_mode 1
		.amdhsa_memory_ordered 1
		.amdhsa_forward_progress 1
		.amdhsa_shared_vgpr_count 0
		.amdhsa_exception_fp_ieee_invalid_op 0
		.amdhsa_exception_fp_denorm_src 0
		.amdhsa_exception_fp_ieee_div_zero 0
		.amdhsa_exception_fp_ieee_overflow 0
		.amdhsa_exception_fp_ieee_underflow 0
		.amdhsa_exception_fp_ieee_inexact 0
		.amdhsa_exception_int_div_zero 0
	.end_amdhsa_kernel
	.section	.text._ZL8moe_q5_KIfLb0EEvPKvS1_PT_PKiS5_S5_iiiiiii,"axG",@progbits,_ZL8moe_q5_KIfLb0EEvPKvS1_PT_PKiS5_S5_iiiiiii,comdat
.Lfunc_end193:
	.size	_ZL8moe_q5_KIfLb0EEvPKvS1_PT_PKiS5_S5_iiiiiii, .Lfunc_end193-_ZL8moe_q5_KIfLb0EEvPKvS1_PT_PKiS5_S5_iiiiiii
                                        ; -- End function
	.set _ZL8moe_q5_KIfLb0EEvPKvS1_PT_PKiS5_S5_iiiiiii.num_vgpr, 192
	.set _ZL8moe_q5_KIfLb0EEvPKvS1_PT_PKiS5_S5_iiiiiii.num_agpr, 0
	.set _ZL8moe_q5_KIfLb0EEvPKvS1_PT_PKiS5_S5_iiiiiii.numbered_sgpr, 24
	.set _ZL8moe_q5_KIfLb0EEvPKvS1_PT_PKiS5_S5_iiiiiii.num_named_barrier, 0
	.set _ZL8moe_q5_KIfLb0EEvPKvS1_PT_PKiS5_S5_iiiiiii.private_seg_size, 0
	.set _ZL8moe_q5_KIfLb0EEvPKvS1_PT_PKiS5_S5_iiiiiii.uses_vcc, 1
	.set _ZL8moe_q5_KIfLb0EEvPKvS1_PT_PKiS5_S5_iiiiiii.uses_flat_scratch, 0
	.set _ZL8moe_q5_KIfLb0EEvPKvS1_PT_PKiS5_S5_iiiiiii.has_dyn_sized_stack, 0
	.set _ZL8moe_q5_KIfLb0EEvPKvS1_PT_PKiS5_S5_iiiiiii.has_recursion, 0
	.set _ZL8moe_q5_KIfLb0EEvPKvS1_PT_PKiS5_S5_iiiiiii.has_indirect_call, 0
	.section	.AMDGPU.csdata,"",@progbits
; Kernel info:
; codeLenInByte = 11824
; TotalNumSgprs: 26
; NumVgprs: 192
; ScratchSize: 0
; MemoryBound: 0
; FloatMode: 240
; IeeeMode: 1
; LDSByteSize: 37072 bytes/workgroup (compile time only)
; SGPRBlocks: 0
; VGPRBlocks: 23
; NumSGPRsForWavesPerEU: 26
; NumVGPRsForWavesPerEU: 192
; Occupancy: 5
; WaveLimiterHint : 1
; COMPUTE_PGM_RSRC2:SCRATCH_EN: 0
; COMPUTE_PGM_RSRC2:USER_SGPR: 6
; COMPUTE_PGM_RSRC2:TRAP_HANDLER: 0
; COMPUTE_PGM_RSRC2:TGID_X_EN: 1
; COMPUTE_PGM_RSRC2:TGID_Y_EN: 1
; COMPUTE_PGM_RSRC2:TGID_Z_EN: 0
; COMPUTE_PGM_RSRC2:TIDIG_COMP_CNT: 1
	.section	.text._ZL8moe_q5_KIfLb1EEvPKvS1_PT_PKiS5_S5_iiiiiii,"axG",@progbits,_ZL8moe_q5_KIfLb1EEvPKvS1_PT_PKiS5_S5_iiiiiii,comdat
	.globl	_ZL8moe_q5_KIfLb1EEvPKvS1_PT_PKiS5_S5_iiiiiii ; -- Begin function _ZL8moe_q5_KIfLb1EEvPKvS1_PT_PKiS5_S5_iiiiiii
	.p2align	8
	.type	_ZL8moe_q5_KIfLb1EEvPKvS1_PT_PKiS5_S5_iiiiiii,@function
_ZL8moe_q5_KIfLb1EEvPKvS1_PT_PKiS5_S5_iiiiiii: ; @_ZL8moe_q5_KIfLb1EEvPKvS1_PT_PKiS5_S5_iiiiiii
; %bb.0:
	s_load_dwordx4 s[0:3], s[4:5], 0x18
	s_mov_b32 s8, s7
	s_mov_b32 s9, 0
	s_lshl_b64 s[10:11], s[8:9], 2
	s_waitcnt lgkmcnt(0)
	s_add_u32 s2, s2, s10
	s_addc_u32 s3, s3, s11
	s_load_dword s2, s[2:3], 0x0
	s_waitcnt lgkmcnt(0)
	s_cmpk_gt_u32 s2, 0xff
	s_cbranch_scc1 .LBB194_26
; %bb.1:
	s_load_dwordx2 s[10:11], s[4:5], 0x28
	s_lshl_b32 s3, s8, 3
	s_waitcnt lgkmcnt(0)
	s_load_dword s7, s[10:11], 0x0
	s_waitcnt lgkmcnt(0)
	s_cmp_gt_u32 s3, s7
	s_cbranch_scc1 .LBB194_26
; %bb.2:
	v_add_nc_u32_e32 v22, s3, v1
	v_mov_b32_e32 v23, 0
	s_lshl_b32 s3, s6, 7
	v_lshlrev_b64 v[2:3], 2, v[22:23]
	v_mov_b32_e32 v127, v23
	v_mov_b32_e32 v128, v23
	;; [unrolled: 1-line block ×3, first 2 shown]
	v_add_co_u32 v2, vcc_lo, s0, v2
	v_add_co_ci_u32_e64 v3, null, s1, v3, vcc_lo
	global_load_dword v28, v[2:3], off
	s_clause 0x1
	s_load_dwordx8 s[8:15], s[4:5], 0x30
	s_load_dwordx2 s[16:17], s[4:5], 0x10
	s_waitcnt lgkmcnt(0)
	s_cmpk_lt_i32 s9, 0x100
	s_cbranch_scc1 .LBB194_17
; %bb.3:
	s_ashr_i32 s0, s9, 31
	s_ashr_i32 s1, s12, 31
	s_lshr_b32 s0, s0, 24
	v_lshlrev_b32_e32 v3, 1, v0
	v_and_b32_e32 v4, 7, v0
	s_add_i32 s0, s9, s0
	s_lshr_b32 s1, s1, 27
	s_ashr_i32 s15, s0, 8
	s_add_i32 s0, s12, s1
	v_and_or_b32 v4, v3, 48, v4
	s_ashr_i32 s12, s0, 5
	s_not_b32 s0, s3
	v_add_nc_u32_e32 v6, 8, v1
	s_add_i32 s0, s10, s0
	v_lshlrev_b32_e32 v4, 2, v4
	v_min_i32_e32 v5, s0, v1
	v_add_nc_u32_e32 v8, 16, v1
	v_lshl_add_u32 v18, v1, 5, v0
	v_min_i32_e32 v7, s0, v6
	v_add_nc_u32_e32 v9, 24, v1
	v_mul_lo_u32 v25, v5, s15
	v_mad_u64_u32 v[5:6], null, 0x104, v5, v[4:5]
	v_add_nc_u32_e32 v10, 32, v1
	v_add_nc_u32_e32 v11, 40, v1
	;; [unrolled: 1-line block ×3, first 2 shown]
	v_min_i32_e32 v8, s0, v8
	v_add_nc_u32_e32 v13, 56, v1
	v_and_b32_e32 v18, 0x7f, v18
	v_min_i32_e32 v9, s0, v9
	v_add_nc_u32_e32 v14, 64, v1
	v_min_i32_e32 v10, s0, v10
	v_add_nc_u32_e32 v15, 0x48, v1
	;; [unrolled: 2-line block ×3, first 2 shown]
	v_mul_lo_u32 v27, v7, s15
	v_mad_u64_u32 v[6:7], null, 0x104, v7, v[4:5]
	v_min_i32_e32 v12, s0, v12
	v_add_nc_u32_e32 v17, 0x58, v1
	v_mul_lo_u32 v55, v8, s15
	v_mad_u64_u32 v[7:8], null, 0x104, v8, v[4:5]
	v_min_i32_e32 v13, s0, v13
	v_add_nc_u32_e32 v20, 0x60, v1
	v_min_i32_e32 v24, s0, v18
	v_mul_lo_u32 v59, v9, s15
	v_mad_u64_u32 v[8:9], null, 0x104, v9, v[4:5]
	v_min_i32_e32 v14, s0, v14
	v_mul_lo_u32 v63, v10, s15
	v_mad_u64_u32 v[9:10], null, 0x104, v10, v[4:5]
	;; [unrolled: 3-line block ×5, first 2 shown]
	v_min_i32_e32 v20, s0, v20
	v_add_nc_u32_e32 v21, 0x68, v1
	v_add_nc_u32_e32 v26, 0x70, v1
	v_ashrrev_i32_e32 v31, 31, v24
	v_mul_lo_u32 v79, v14, s15
	v_mad_u64_u32 v[13:14], null, 0x104, v14, v[4:5]
	v_mul_lo_u32 v83, v15, s15
	v_mad_u64_u32 v[14:15], null, 0x104, v15, v[4:5]
	;; [unrolled: 2-line block ×4, first 2 shown]
	v_lshrrev_b32_e32 v19, 2, v0
	v_mul_lo_u32 v95, v20, s15
	v_min_i32_e32 v21, s0, v21
	v_mad_u64_u32 v[17:18], null, 0x104, v20, v[4:5]
	v_min_i32_e32 v20, s0, v26
	v_add_nc_u32_e32 v26, 0x78, v1
	v_lshrrev_b32_e32 v31, 27, v31
	v_and_b32_e32 v29, 6, v19
	v_mul_lo_u32 v99, v21, s15
	v_lshl_add_u32 v32, v1, 3, v19
	v_mad_u64_u32 v[18:19], null, 0x104, v21, v[4:5]
	v_min_i32_e32 v21, s0, v26
	v_add_nc_u32_e32 v26, v24, v31
	s_abs_i32 s10, s14
	v_and_b32_e32 v31, 0x7f, v32
	v_cvt_f32_u32_e32 v32, s10
	v_mul_lo_u32 v103, v20, s15
	v_ashrrev_i32_e32 v26, 5, v26
	v_mad_u64_u32 v[19:20], null, 0x104, v20, v[4:5]
	v_mul_lo_u32 v108, v21, s15
	v_mad_u64_u32 v[20:21], null, 0x104, v21, v[4:5]
	v_lshlrev_b32_e32 v21, 2, v26
	v_rcp_iflag_f32_e32 v26, v32
	v_and_b32_e32 v4, 3, v0
	v_min_i32_e32 v34, s0, v31
	v_xor_b32_e32 v36, 64, v31
	v_lshlrev_b32_e32 v33, 2, v24
	v_lshlrev_b32_e32 v22, 2, v0
	v_add_nc_u32_e32 v35, 0xfe, v4
	v_ashrrev_i32_e32 v32, 31, v34
	v_min_i32_e32 v36, s0, v36
	s_sub_i32 s0, 0, s10
	v_mul_f32_e32 v26, 0x4f7ffffe, v26
	v_add3_u32 v31, v21, v33, 0x8e40
	v_and_b32_e32 v21, 0xff, v35
	v_mul_lo_u32 v116, v24, s15
	v_lshrrev_b32_e32 v24, 29, v32
	v_cvt_u32_f32_e32 v26, v26
	v_cmp_gt_u32_e32 vcc_lo, 2, v4
	v_ashrrev_i32_e32 v32, 31, v36
	v_and_b32_e32 v33, 4, v22
	v_cmp_lt_u32_e64 s1, 1, v4
	v_mul_lo_u32 v35, s0, v26
	v_cndmask_b32_e32 v21, v21, v4, vcc_lo
	v_lshrrev_b32_e32 v32, 29, v32
	v_cmp_ne_u32_e32 vcc_lo, 0, v4
	v_add_nc_u32_e32 v24, v34, v24
	v_lshlrev_b32_e32 v4, 2, v4
	v_mul_lo_u32 v114, v34, s15
	v_add_nc_u32_e32 v37, v36, v32
	v_mul_hi_u32 v35, v26, v35
	v_add_co_ci_u32_e64 v117, null, 0, v21, vcc_lo
	v_cndmask_b32_e64 v32, 0, v33, s1
	v_lshlrev_b32_e32 v33, 1, v21
	s_waitcnt vmcnt(0)
	v_sub_nc_u32_e32 v21, 0, v28
	v_ashrrev_i32_e32 v24, 3, v24
	v_ashrrev_i32_e32 v37, 3, v37
	v_add_nc_u32_e32 v26, v26, v35
	v_lshlrev_b32_e32 v125, 4, v34
	v_max_i32_e32 v21, v28, v21
	v_lshlrev_b32_e32 v24, 2, v24
	v_lshl_add_u32 v34, v1, 7, 0x8a40
	v_lshrrev_b32_e32 v35, 3, v0
	v_add_nc_u32_e32 v42, 32, v0
	v_mul_hi_u32 v26, v21, v26
	v_add3_u32 v124, v24, v4, 0x8200
	v_lshlrev_b32_e32 v24, 2, v37
	v_lshrrev_b32_e32 v23, 5, v0
	v_lshrrev_b32_e32 v38, 3, v42
	v_lshlrev_b32_e32 v39, 4, v1
	v_xor_b32_e32 v46, s14, v28
	v_add3_u32 v4, v24, v4, 0x8200
	v_and_b32_e32 v24, 31, v0
	v_mul_lo_u32 v43, v26, s10
	v_lshlrev_b32_e32 v1, 2, v23
	s_load_dwordx4 s[4:7], s[4:5], 0x0
	s_mul_i32 s8, s2, s8
	v_lshl_add_u32 v37, v24, 2, v34
	v_add_nc_u32_e32 v24, v35, v22
	s_mul_i32 s2, s15, s3
	v_ashrrev_i32_e32 v46, 31, v46
	v_sub_nc_u32_e32 v21, v21, v43
	s_mul_hi_i32 s19, s2, 0xb0
	v_lshl_add_u32 v40, v24, 2, 0x8200
	v_lshl_add_u32 v24, v42, 2, v38
	v_add3_u32 v42, v22, v1, 0x8e40
	v_add_nc_u32_e32 v1, 1, v26
	v_cmp_le_u32_e64 s0, s10, v21
	s_mul_i32 s18, s2, 0xb0
	v_lshl_add_u32 v43, v24, 2, 0x8200
	v_subrev_nc_u32_e32 v24, s10, v21
	v_add_nc_u32_e32 v45, 0x60, v0
	v_cndmask_b32_e64 v1, v26, v1, s0
	v_add_nc_u32_e32 v26, 64, v0
	v_and_b32_e32 v3, 28, v22
	v_cndmask_b32_e64 v21, v21, v24, s0
	v_lshrrev_b32_e32 v48, 3, v45
	v_add_nc_u32_e32 v24, 1, v1
	v_lshrrev_b32_e32 v47, 3, v26
	v_and_b32_e32 v44, 60, v38
	v_cmp_le_u32_e64 s0, s10, v21
	v_and_b32_e32 v2, 0x7c, v22
	v_mul_lo_u32 v118, v36, s15
	v_lshl_add_u32 v21, v26, 2, v47
	v_and_b32_e32 v26, 60, v47
	v_cndmask_b32_e64 v1, v1, v24, s0
	v_mad_u64_u32 v[23:24], null, 0xb0, v23, s[18:19]
	v_lshl_add_u32 v47, v45, 2, v48
	v_and_b32_e32 v48, 60, v48
	v_xor_b32_e32 v1, v1, v46
	v_lshl_add_u32 v45, v21, 2, 0x8200
	s_waitcnt lgkmcnt(0)
	v_add_co_u32 v21, s2, s6, v3
	v_lshlrev_b32_e32 v126, 4, v36
	v_sub_nc_u32_e32 v1, v1, v46
	v_add3_u32 v46, v22, v26, 0x8e40
	v_mad_i64_i32 v[25:26], null, 0xb0, v25, v[23:24]
	v_add_nc_u32_e32 v36, 0x9050, v22
	v_add3_u32 v44, v22, v44, 0x8e40
	v_add3_u32 v48, v22, v48, 0x8e40
	v_cmp_gt_i32_e64 s0, s11, v1
	v_mul_lo_u32 v49, v1, s12
	v_add_co_ci_u32_e64 v22, null, s7, 0, s2
	v_add_co_u32 v1, s2, v25, v3
	v_add_co_ci_u32_e64 v51, null, 0, v26, s2
	v_cmp_gt_u32_e32 vcc_lo, 4, v0
	v_add_co_u32 v1, s2, s4, v1
	v_add_co_ci_u32_e64 v52, null, s5, v51, s2
	v_add_co_u32 v53, s2, v25, v2
	v_add_co_ci_u32_e64 v54, null, 0, v26, s2
	v_mad_i64_i32 v[25:26], null, 0xb0, v27, v[23:24]
	v_add_co_u32 v51, s2, v1, 16
	v_add_co_ci_u32_e64 v52, null, 0, v52, s2
	v_add_co_u32 v1, s2, s4, v53
	v_add_co_ci_u32_e64 v27, null, s5, v54, s2
	v_add_co_u32 v56, s2, v25, v3
	v_add_co_ci_u32_e64 v57, null, 0, v26, s2
	v_add_co_u32 v53, s2, v1, 48
	v_add_co_ci_u32_e64 v54, null, 0, v27, s2
	v_add_co_u32 v1, s2, s4, v56
	v_add_co_ci_u32_e64 v27, null, s5, v57, s2
	v_add_co_u32 v57, s2, v25, v2
	v_add_co_ci_u32_e64 v58, null, 0, v26, s2
	v_mad_i64_i32 v[25:26], null, 0xb0, v55, v[23:24]
	v_add_co_u32 v55, s2, v1, 16
	v_add_co_ci_u32_e64 v56, null, 0, v27, s2
	v_add_co_u32 v1, s2, s4, v57
	v_add_co_ci_u32_e64 v27, null, s5, v58, s2
	v_add_co_u32 v60, s2, v25, v3
	v_add_co_ci_u32_e64 v61, null, 0, v26, s2
	v_add_co_u32 v57, s2, v1, 48
	v_add_co_ci_u32_e64 v58, null, 0, v27, s2
	;; [unrolled: 13-line block ×14, first 2 shown]
	v_add_co_u32 v1, s2, s4, v109
	v_mad_i64_i32 v[23:24], null, 0xb0, v108, v[23:24]
	v_add_co_ci_u32_e64 v27, null, s5, v110, s2
	v_add_co_u32 v108, s2, v1, 16
	s_ashr_i32 s20, s8, 31
	v_add_co_ci_u32_e64 v109, null, 0, v27, s2
	v_add_co_u32 v1, s2, v25, v2
	v_add_co_ci_u32_e64 v25, null, 0, v26, s2
	v_add_co_u32 v3, s2, v23, v3
	;; [unrolled: 2-line block ×7, first 2 shown]
	v_add_co_ci_u32_e64 v23, null, 0, v24, s2
	v_mad_i64_i32 v[1:2], null, 0xb0, v114, 0
	v_add_co_u32 v3, s2, s4, v3
	v_add_co_ci_u32_e64 v23, null, s5, v23, s2
	v_cndmask_b32_e64 v24, 0, 1, s1
	v_add_co_u32 v114, s1, v3, 48
	v_add_co_ci_u32_e64 v115, null, 0, v23, s1
	v_add_co_u32 v1, s1, s18, v1
	v_lshlrev_b32_e32 v3, 2, v24
	v_add_co_ci_u32_e64 v2, null, s19, v2, s1
	v_lshlrev_b32_e32 v26, 2, v117
	s_and_b32 s10, vcc_lo, s0
	v_or_b32_e32 v23, v1, v3
	s_add_u32 s22, s4, s18
	s_addc_u32 s23, s5, s19
	v_mov_b32_e32 v107, 0
	v_mad_i64_i32 v[24:25], null, 0xb0, v116, s[22:23]
	v_add_co_u32 v23, s1, s4, v23
	v_add_co_ci_u32_e64 v27, null, s5, v2, s1
	v_add_co_u32 v119, s1, v1, v26
	v_add_co_ci_u32_e64 v120, null, 0, v2, s1
	v_mad_i64_i32 v[1:2], null, 0xb0, v118, 0
	v_add_co_u32 v116, s1, v23, 4
	v_add_co_ci_u32_e64 v117, null, 0, v27, s1
	v_add_co_u32 v23, s1, s4, v119
	v_add_co_ci_u32_e64 v27, null, s5, v120, s1
	;; [unrolled: 2-line block ×3, first 2 shown]
	v_add_co_u32 v118, s2, v23, 4
	v_or_b32_e32 v3, v1, v3
	v_add_co_u32 v1, s1, v1, v26
	v_add_co_ci_u32_e64 v23, null, 0, v2, s1
	v_add_co_u32 v3, s1, s4, v3
	v_add_co_ci_u32_e64 v2, null, s5, v2, s1
	;; [unrolled: 2-line block ×4, first 2 shown]
	v_add_co_u32 v122, s1, v1, 4
	v_or_b32_e32 v30, 1, v29
	v_mul_u32_u24_e32 v41, 0x104, v0
	v_lshl_add_u32 v47, v47, 2, 0x8200
	v_ashrrev_i32_e32 v50, 31, v49
	v_add_co_ci_u32_e64 v119, null, 0, v27, s2
	v_add_co_ci_u32_e64 v123, null, 0, v23, s1
	v_add_nc_u32_e32 v124, v124, v125
	v_add_nc_u32_e32 v125, v4, v126
	v_mov_b32_e32 v126, v0
	v_mov_b32_e32 v128, 0
	;; [unrolled: 1-line block ×4, first 2 shown]
	s_movk_i32 s2, 0x80
	s_branch .LBB194_6
.LBB194_4:                              ;   in Loop: Header=BB194_6 Depth=1
	s_or_b32 exec_lo, exec_lo, s4
	s_waitcnt lgkmcnt(0)
	s_barrier
	buffer_gl0_inv
	ds_read2_b32 v[129:130], v41 offset0:32 offset1:33
	ds_read_b128 v[133:136], v34
	ds_read_b128 v[137:140], v34 offset:16
	ds_read2_b32 v[131:132], v41 offset0:34 offset1:35
	ds_read_b128 v[141:144], v34 offset:32
	ds_read_b128 v[145:148], v34 offset:48
	v_mov_b32_e32 v181, 0
	ds_read2_b32 v[149:150], v41 offset0:36 offset1:37
	ds_read2_b32 v[151:152], v41 offset0:38 offset1:39
	;; [unrolled: 1-line block ×3, first 2 shown]
	v_add_nc_u32_e32 v155, 0x2100, v41
	ds_read2_b32 v[26:27], v40 offset0:1 offset1:3
	ds_read_b128 v[1:4], v39 offset:36944
	ds_read2_b32 v[155:156], v155 offset1:1
	ds_read2_b32 v[157:158], v41 offset0:42 offset1:43
	ds_read2_b32 v[159:160], v41 offset0:44 offset1:45
	v_add_nc_u32_e32 v165, 0x2118, v41
	v_add_nc_u32_e32 v167, 0x2120, v41
	v_mov_b32_e32 v182, 0
	v_mov_b32_e32 v183, 0
	;; [unrolled: 1-line block ×4, first 2 shown]
	v_add_nc_u32_e32 v171, 0x41b0, v41
	s_waitcnt lgkmcnt(12)
	v_dot4c_i32_i8 v181, v129, v133
	v_add_nc_u32_e32 v129, 0x2108, v41
	v_add_nc_u32_e32 v173, 0x41b8, v41
	;; [unrolled: 1-line block ×4, first 2 shown]
	v_dot4c_i32_i8 v181, v130, v134
	v_add_nc_u32_e32 v130, 0x2110, v41
	ds_read2_b32 v[161:162], v129 offset1:1
	ds_read2_b32 v[163:164], v130 offset1:1
	;; [unrolled: 1-line block ×4, first 2 shown]
	s_waitcnt lgkmcnt(14)
	v_dot4c_i32_i8 v181, v131, v135
	s_waitcnt lgkmcnt(9)
	v_dot4c_i32_i8 v182, v153, v141
	ds_read_b32 v129, v44 offset:128
	ds_read_b32 v130, v46 offset:256
	;; [unrolled: 1-line block ×3, first 2 shown]
	s_waitcnt lgkmcnt(9)
	v_dot4c_i32_i8 v183, v155, v133
	v_add_nc_u32_e32 v155, 0x2138, v41
	v_dot4c_i32_i8 v181, v132, v136
	v_dot4c_i32_i8 v182, v154, v142
	ds_read2_b32 v[153:154], v41 offset0:46 offset1:47
	ds_read2_b32 v[169:170], v41 offset0:48 offset1:49
	ds_read_b32 v132, v42
	v_dot4c_i32_i8 v183, v156, v134
	v_dot4c_i32_i8 v181, v149, v137
	v_add_nc_u32_e32 v149, 0x2128, v41
	s_waitcnt lgkmcnt(11)
	v_dot4c_i32_i8 v182, v157, v143
	v_add_nc_u32_e32 v157, 0x4180, v41
	v_add_nc_u32_e32 v179, 0x6220, v41
	v_dot4c_i32_i8 v181, v150, v138
	ds_read2_b32 v[149:150], v149 offset1:1
	v_dot4c_i32_i8 v182, v158, v144
	s_waitcnt lgkmcnt(10)
	v_dot4c_i32_i8 v183, v161, v135
	s_waitcnt lgkmcnt(7)
	v_dot4c_i32_i8 v184, v167, v141
	v_dot4c_i32_i8 v181, v151, v139
	v_add_nc_u32_e32 v151, 0x2130, v41
	v_dot4c_i32_i8 v182, v159, v145
	v_dot4c_i32_i8 v183, v162, v136
	;; [unrolled: 1-line block ×4, first 2 shown]
	ds_read2_b32 v[151:152], v151 offset1:1
	ds_read2_b32 v[155:156], v155 offset1:1
	;; [unrolled: 1-line block ×3, first 2 shown]
	v_dot4c_i32_i8 v182, v160, v146
	v_dot4c_i32_i8 v183, v163, v137
	v_add_nc_u32_e32 v167, 0x41a0, v41
	v_mov_b32_e32 v190, 0
	v_mov_b32_e32 v192, 0
	s_waitcnt lgkmcnt(6)
	v_dot4c_i32_i8 v182, v153, v147
	v_dot4c_i32_i8 v183, v164, v138
	v_cvt_f32_ubyte0_e32 v185, v27
	s_waitcnt lgkmcnt(3)
	v_dot4c_i32_i8 v184, v149, v143
	v_add_nc_u32_e32 v149, 0x4188, v41
	v_dot4c_i32_i8 v182, v154, v148
	v_dot4c_i32_i8 v183, v165, v139
	v_add_nc_u32_e32 v165, 0x4198, v41
	v_dot4c_i32_i8 v184, v150, v144
	ds_read2_b32 v[149:150], v149 offset1:1
	ds_read2_b32 v[153:154], v41 offset0:58 offset1:59
	ds_read2_b32 v[159:160], v41 offset0:60 offset1:61
	;; [unrolled: 1-line block ×4, first 2 shown]
	v_dot4c_i32_i8 v183, v166, v140
	v_cvt_f32_ubyte1_e32 v186, v27
	s_waitcnt lgkmcnt(7)
	v_dot4c_i32_i8 v184, v151, v145
	v_add_nc_u32_e32 v151, 0x4190, v41
	s_waitcnt lgkmcnt(5)
	v_dot4c_i32_i8 v188, v157, v133
	v_cvt_f32_f16_sdwa v187, v132 dst_sel:DWORD dst_unused:UNUSED_PAD src0_sel:WORD_1
	v_cvt_f32_f16_sdwa v193, v129 dst_sel:DWORD dst_unused:UNUSED_PAD src0_sel:WORD_1
	v_dot4c_i32_i8 v184, v152, v146
	ds_read2_b32 v[151:152], v151 offset1:1
	ds_read2_b32 v[165:166], v165 offset1:1
	;; [unrolled: 1-line block ×3, first 2 shown]
	v_dot4c_i32_i8 v188, v158, v134
	v_mov_b32_e32 v194, 0
	v_mov_b32_e32 v197, 0
	v_dot4c_i32_i8 v184, v155, v147
	v_add_nc_u32_e32 v155, 0x41a8, v41
	ds_read2_b32 v[157:158], v155 offset1:1
	ds_read2_b32 v[171:172], v171 offset1:1
	;; [unrolled: 1-line block ×4, first 2 shown]
	s_waitcnt lgkmcnt(11)
	v_dot4c_i32_i8 v188, v149, v135
	v_add_nc_u32_e32 v149, 0x6208, v41
	v_add_nc_u32_e32 v155, 0x6210, v41
	v_dot4c_i32_i8 v184, v156, v148
	s_waitcnt lgkmcnt(7)
	v_cvt_f32_ubyte0_e32 v189, v164
	v_dot4c_i32_i8 v188, v150, v136
	ds_read2_b32 v[149:150], v149 offset1:1
	ds_read2_b32 v[155:156], v155 offset1:1
	;; [unrolled: 1-line block ×4, first 2 shown]
	v_cvt_f32_ubyte1_e32 v191, v164
	v_cvt_f32_ubyte2_e32 v196, v27
	s_waitcnt lgkmcnt(8)
	v_dot4c_i32_i8 v190, v167, v141
	v_dot4c_i32_i8 v188, v151, v137
	v_add_nc_u32_e32 v167, 0x6228, v41
	v_cvt_f32_ubyte3_e32 v27, v27
	v_dot4c_i32_i8 v190, v168, v142
	v_dot4c_i32_i8 v188, v152, v138
	ds_read2_b32 v[151:152], v45 offset0:1 offset1:3
	ds_read2_b32 v[167:168], v167 offset1:1
	s_waitcnt lgkmcnt(6)
	v_dot4c_i32_i8 v192, v175, v133
	v_dot4c_i32_i8 v188, v165, v139
	v_mov_b32_e32 v165, 0
	v_add_nc_u32_e32 v133, 0x6230, v41
	v_dot4c_i32_i8 v190, v157, v143
	v_dot4c_i32_i8 v192, v176, v134
	;; [unrolled: 1-line block ×3, first 2 shown]
	s_waitcnt lgkmcnt(2)
	v_dot4c_i32_i8 v165, v179, v141
	ds_read2_b32 v[133:134], v133 offset1:1
	v_add_nc_u32_e32 v141, 0x2140, v41
	v_dot4c_i32_i8 v192, v149, v135
	v_add_nc_u32_e32 v135, 0x6238, v41
	v_dot4c_i32_i8 v165, v180, v142
	v_dot4c_i32_i8 v190, v158, v144
	v_add_nc_u32_e32 v175, 0x2160, v41
	v_dot4c_i32_i8 v192, v150, v136
	ds_read2_b32 v[149:150], v47 offset0:1 offset1:3
	ds_read2_b32 v[135:136], v135 offset1:1
	ds_read2_b32 v[157:158], v141 offset1:1
	s_waitcnt lgkmcnt(4)
	v_dot4c_i32_i8 v165, v167, v143
	v_and_b32_e32 v141, 0xff, v26
	v_dot4c_i32_i8 v190, v171, v145
	v_dot4c_i32_i8 v192, v155, v137
	v_bfe_u32 v142, v151, 8, 8
	v_dot4c_i32_i8 v165, v168, v144
	v_mul_lo_u32 v141, v181, v141
	v_dot4c_i32_i8 v190, v172, v146
	v_dot4c_i32_i8 v192, v156, v138
	v_bfe_u32 v138, v26, 8, 8
	v_cvt_f32_ubyte0_e32 v137, v152
	s_waitcnt lgkmcnt(3)
	v_dot4c_i32_i8 v165, v133, v145
	v_dot4c_i32_i8 v190, v173, v147
	;; [unrolled: 1-line block ×3, first 2 shown]
	v_mul_lo_u32 v133, v182, v138
	v_cvt_f32_i32_e32 v139, v141
	v_dot4c_i32_i8 v165, v134, v146
	v_fma_mix_f32 v134, v1, v185, 0 op_sel:[1,0,0] op_sel_hi:[1,0,0]
	v_dot4c_i32_i8 v192, v178, v140
	v_bfe_u32 v140, v163, 8, 8
	v_fma_mix_f32 v139, v1, v139, 0 op_sel_hi:[1,0,0]
	s_waitcnt lgkmcnt(1)
	v_dot4c_i32_i8 v165, v135, v147
	v_cvt_f32_i32_e32 v133, v133
	v_and_b32_e32 v135, 0xff, v163
	v_fma_mix_f32 v134, v2, v186, v134 op_sel:[1,0,0] op_sel_hi:[1,0,0]
	v_dot4c_i32_i8 v190, v174, v148
	v_mul_lo_u32 v140, v184, v140
	v_fma_mix_f32 v133, v2, v133, v139 op_sel_hi:[1,0,0]
	v_and_b32_e32 v139, 0xff, v151
	v_mul_lo_u32 v135, v183, v135
	v_mul_f32_e32 v134, v134, v187
	v_dot4c_i32_i8 v165, v136, v148
	v_fma_mix_f32 v136, v1, v189, 0 op_sel:[1,0,0] op_sel_hi:[1,0,0]
	v_mul_lo_u32 v139, v188, v139
	v_cvt_f32_i32_e32 v140, v140
	v_fma_mix_f32 v133, v133, v132, -v134 op_sel_hi:[0,1,0]
	v_mul_lo_u32 v134, v190, v142
	v_cvt_f32_i32_e32 v135, v135
	v_fma_mix_f32 v136, v2, v191, v136 op_sel:[1,0,0] op_sel_hi:[1,0,0]
	v_cvt_f32_ubyte1_e32 v138, v152
	v_fma_mix_f32 v137, v1, v137, 0 op_sel:[1,0,0] op_sel_hi:[1,0,0]
	v_cvt_f32_i32_e32 v139, v139
	v_fma_mix_f32 v135, v1, v135, 0 op_sel_hi:[1,0,0]
	v_mul_f32_e32 v136, v136, v193
	v_cvt_f32_i32_e32 v134, v134
	v_fma_mix_f32 v137, v2, v138, v137 op_sel:[1,0,0] op_sel_hi:[1,0,0]
	v_fma_mix_f32 v139, v1, v139, 0 op_sel_hi:[1,0,0]
	v_fma_mix_f32 v135, v2, v140, v135 op_sel_hi:[1,0,0]
	v_and_b32_e32 v138, 0xff, v149
	v_cvt_f32_f16_sdwa v181, v130 dst_sel:DWORD dst_unused:UNUSED_PAD src0_sel:WORD_1
	v_add_f32_e32 v107, v107, v133
	v_fma_mix_f32 v139, v2, v134, v139 op_sel_hi:[1,0,0]
	v_fma_mix_f32 v142, v135, v129, -v136 op_sel_hi:[0,1,0]
	ds_read_b128 v[133:136], v34 offset:64
	v_bfe_u32 v140, v149, 8, 8
	v_mul_lo_u32 v138, v192, v138
	v_mul_f32_e32 v137, v137, v181
	v_add_f32_e32 v184, v128, v142
	v_mov_b32_e32 v189, 0
	v_mul_lo_u32 v140, v165, v140
	v_cvt_f32_ubyte0_e32 v141, v150
	v_fma_mix_f32 v137, v139, v130, -v137 op_sel_hi:[0,1,0]
	v_add_nc_u32_e32 v148, 0x2148, v41
	v_cvt_f32_i32_e32 v128, v138
	v_add_nc_u32_e32 v171, 0x2150, v41
	v_add_nc_u32_e32 v173, 0x2158, v41
	v_add_f32_e32 v186, v127, v137
	v_cvt_f32_i32_e32 v145, v140
	v_fma_mix_f32 v146, v1, v128, 0 op_sel_hi:[1,0,0]
	ds_read_b128 v[137:140], v34 offset:96
	ds_read2_b32 v[127:128], v41 offset0:50 offset1:51
	ds_read2_b32 v[155:156], v41 offset0:52 offset1:53
	;; [unrolled: 1-line block ×4, first 2 shown]
	v_fma_mix_f32 v1, v1, v141, 0 op_sel:[1,0,0] op_sel_hi:[1,0,0]
	v_cvt_f32_ubyte1_e32 v147, v150
	s_waitcnt lgkmcnt(5)
	v_dot4c_i32_i8 v189, v169, v133
	ds_read_b128 v[141:144], v34 offset:80
	v_mov_b32_e32 v190, 0
	v_fma_mix_f32 v177, v2, v145, v146 op_sel_hi:[1,0,0]
	v_fma_mix_f32 v178, v2, v147, v1 op_sel:[1,0,0] op_sel_hi:[1,0,0]
	v_dot4c_i32_i8 v189, v170, v134
	ds_read2_b32 v[169:170], v148 offset1:1
	ds_read2_b32 v[171:172], v171 offset1:1
	;; [unrolled: 1-line block ×4, first 2 shown]
	v_add_nc_u32_e32 v1, 0x2168, v41
	ds_read_b128 v[145:148], v34 offset:112
	v_mov_b32_e32 v191, 0
	v_cvt_f32_f16_sdwa v192, v131 dst_sel:DWORD dst_unused:UNUSED_PAD src0_sel:WORD_1
	v_add_nc_u32_e32 v179, 0x6260, v41
	ds_read2_b32 v[1:2], v1 offset1:1
	v_lshrrev_b32_e32 v182, 24, v26
	s_waitcnt lgkmcnt(10)
	v_dot4c_i32_i8 v189, v127, v135
	v_add_nc_u32_e32 v127, 0x2170, v41
	v_dot4c_i32_i8 v191, v157, v133
	s_waitcnt lgkmcnt(7)
	v_dot4c_i32_i8 v190, v167, v137
	v_add_nc_u32_e32 v157, 0x41d8, v41
	v_dot4c_i32_i8 v189, v128, v136
	ds_read2_b32 v[127:128], v127 offset1:1
	v_dot4c_i32_i8 v191, v158, v134
	v_dot4c_i32_i8 v190, v168, v138
	v_add_nc_u32_e32 v167, 0x41f8, v41
	s_waitcnt lgkmcnt(7)
	v_dot4c_i32_i8 v189, v155, v141
	v_add_nc_u32_e32 v155, 0x41c0, v41
	s_waitcnt lgkmcnt(3)
	v_dot4c_i32_i8 v194, v175, v137
	v_dot4c_i32_i8 v190, v153, v139
	;; [unrolled: 1-line block ×3, first 2 shown]
	v_add_nc_u32_e32 v153, 0x2178, v41
	v_dot4c_i32_i8 v189, v156, v142
	v_dot4c_i32_i8 v194, v176, v138
	;; [unrolled: 1-line block ×4, first 2 shown]
	ds_read2_b32 v[153:154], v153 offset1:1
	ds_read2_b32 v[155:156], v155 offset1:1
	v_dot4c_i32_i8 v189, v165, v143
	s_waitcnt lgkmcnt(3)
	v_dot4c_i32_i8 v194, v1, v139
	v_dot4c_i32_i8 v190, v159, v145
	v_mul_f32_e32 v1, v178, v192
	v_dot4c_i32_i8 v191, v171, v141
	v_add_nc_u32_e32 v159, 0x41e0, v41
	v_dot4c_i32_i8 v194, v2, v140
	v_dot4c_i32_i8 v190, v160, v146
	v_fma_mix_f32 v195, v177, v131, -v1 op_sel_hi:[0,1,0]
	v_add_nc_u32_e32 v1, 0x41c8, v41
	v_dot4c_i32_i8 v191, v172, v142
	s_waitcnt lgkmcnt(2)
	v_dot4c_i32_i8 v194, v127, v145
	v_dot4c_i32_i8 v190, v161, v147
	v_add_nc_u32_e32 v127, 0x41d0, v41
	v_add_nc_u32_e32 v161, 0x41e8, v41
	;; [unrolled: 1-line block ×4, first 2 shown]
	v_dot4c_i32_i8 v189, v166, v144
	v_dot4c_i32_i8 v190, v162, v148
	;; [unrolled: 1-line block ×3, first 2 shown]
	ds_read2_b32 v[1:2], v1 offset1:1
	ds_read2_b32 v[127:128], v127 offset1:1
	;; [unrolled: 1-line block ×8, first 2 shown]
	v_add_nc_u32_e32 v171, 0x6248, v41
	v_dot4c_i32_i8 v191, v173, v143
	v_add_nc_u32_e32 v173, 0x6250, v41
	v_add_nc_u32_e32 v177, 0x6258, v41
	ds_read2_b32 v[171:172], v171 offset1:1
	ds_read2_b32 v[175:176], v173 offset1:1
	;; [unrolled: 1-line block ×4, first 2 shown]
	s_waitcnt lgkmcnt(12)
	v_dot4c_i32_i8 v197, v155, v133
	v_dot4c_i32_i8 v194, v153, v147
	v_add_nc_u32_e32 v153, 0x6268, v41
	v_mov_b32_e32 v155, 0
	v_bfe_u32 v26, v26, 16, 8
	v_dot4c_i32_i8 v197, v156, v134
	v_mov_b32_e32 v156, 0
	v_dot4c_i32_i8 v194, v154, v148
	ds_read2_b32 v[153:154], v153 offset1:1
	s_waitcnt lgkmcnt(9)
	v_dot4c_i32_i8 v155, v159, v137
	v_dot4c_i32_i8 v197, v1, v135
	v_add_nc_u32_e32 v1, 0x6270, v41
	s_waitcnt lgkmcnt(5)
	v_dot4c_i32_i8 v156, v169, v133
	v_mov_b32_e32 v133, 0
	v_dot4c_i32_i8 v155, v160, v138
	v_dot4c_i32_i8 v197, v2, v136
	ds_read2_b32 v[1:2], v1 offset1:1
	v_dot4c_i32_i8 v156, v170, v134
	v_dot4c_i32_i8 v191, v174, v144
	s_waitcnt lgkmcnt(2)
	v_dot4c_i32_i8 v133, v179, v137
	v_dot4c_i32_i8 v197, v127, v141
	v_add_nc_u32_e32 v127, 0x6278, v41
	v_dot4c_i32_i8 v156, v171, v135
	v_dot4c_i32_i8 v155, v161, v139
	;; [unrolled: 1-line block ×4, first 2 shown]
	ds_read2_b32 v[127:128], v127 offset1:1
	v_dot4c_i32_i8 v156, v172, v136
	v_dot4c_i32_i8 v155, v162, v140
	s_waitcnt lgkmcnt(2)
	v_dot4c_i32_i8 v133, v153, v139
	v_mul_lo_u32 v135, v190, v182
	v_bfe_u32 v136, v163, 16, 8
	v_dot4c_i32_i8 v156, v175, v141
	v_dot4c_i32_i8 v155, v165, v145
	;; [unrolled: 1-line block ×3, first 2 shown]
	v_lshrrev_b32_e32 v183, 24, v163
	v_dot4c_i32_i8 v197, v157, v143
	v_dot4c_i32_i8 v156, v176, v142
	;; [unrolled: 1-line block ×3, first 2 shown]
	s_waitcnt lgkmcnt(1)
	v_dot4c_i32_i8 v133, v1, v145
	v_mul_lo_u32 v1, v189, v26
	v_dot4c_i32_i8 v197, v158, v144
	v_dot4c_i32_i8 v156, v177, v143
	;; [unrolled: 1-line block ×4, first 2 shown]
	v_mul_lo_u32 v138, v194, v183
	v_lshrrev_b32_e32 v185, 24, v151
	v_dot4c_i32_i8 v156, v178, v144
	v_cvt_f32_i32_e32 v1, v1
	s_waitcnt lgkmcnt(0)
	v_dot4c_i32_i8 v133, v127, v147
	v_cvt_f32_i32_e32 v127, v135
	v_mul_lo_u32 v135, v191, v136
	v_fma_mix_f32 v136, v3, v196, 0 op_sel:[1,0,0] op_sel_hi:[1,0,0]
	v_fma_mix_f32 v1, v3, v1, 0 op_sel_hi:[1,0,0]
	v_dot4c_i32_i8 v133, v128, v148
	v_bfe_u32 v128, v151, 16, 8
	v_lshrrev_b32_e32 v188, 24, v149
	v_fma_mix_f32 v27, v4, v27, v136 op_sel:[1,0,0] op_sel_hi:[1,0,0]
	v_bfe_u32 v136, v149, 16, 8
	v_fma_mix_f32 v1, v4, v127, v1 op_sel_hi:[1,0,0]
	v_cvt_f32_i32_e32 v127, v135
	v_dot4c_i32_i8 v155, v168, v148
	v_mul_lo_u32 v128, v197, v128
	v_mul_lo_u32 v136, v156, v136
	v_cvt_f32_ubyte2_e32 v173, v164
	v_cvt_f32_ubyte2_e32 v26, v152
	;; [unrolled: 1-line block ×3, first 2 shown]
	v_cvt_f32_i32_e32 v138, v138
	v_fma_mix_f32 v127, v3, v127, 0 op_sel_hi:[1,0,0]
	v_mul_lo_u32 v139, v155, v185
	v_mul_lo_u32 v133, v133, v188
	v_cvt_f32_ubyte3_e32 v134, v164
	v_cvt_f32_ubyte3_e32 v2, v152
	v_fma_mix_f32 v135, v3, v173, 0 op_sel:[1,0,0] op_sel_hi:[1,0,0]
	v_fma_mix_f32 v127, v4, v138, v127 op_sel_hi:[1,0,0]
	v_fma_mix_f32 v26, v3, v26, 0 op_sel:[1,0,0] op_sel_hi:[1,0,0]
	v_cvt_f32_i32_e32 v128, v128
	v_cvt_f32_i32_e32 v136, v136
	v_fma_mix_f32 v137, v3, v137, 0 op_sel:[1,0,0] op_sel_hi:[1,0,0]
	v_cvt_f32_ubyte3_e32 v138, v150
	v_fma_mix_f32 v134, v4, v134, v135 op_sel:[1,0,0] op_sel_hi:[1,0,0]
	v_cvt_f32_i32_e32 v135, v139
	v_fma_mix_f32 v128, v3, v128, 0 op_sel_hi:[1,0,0]
	v_fma_mix_f32 v2, v4, v2, v26 op_sel:[1,0,0] op_sel_hi:[1,0,0]
	v_cvt_f32_i32_e32 v26, v133
	v_fma_mix_f32 v3, v3, v136, 0 op_sel_hi:[1,0,0]
	v_fma_mix_f32 v133, v4, v138, v137 op_sel:[1,0,0] op_sel_hi:[1,0,0]
	v_mul_f32_e32 v27, v27, v187
	v_mul_f32_e32 v134, v134, v193
	v_fma_mix_f32 v128, v4, v135, v128 op_sel_hi:[1,0,0]
	v_mul_f32_e32 v2, v2, v181
	v_fma_mix_f32 v3, v4, v26, v3 op_sel_hi:[1,0,0]
	v_mul_f32_e32 v4, v133, v192
	v_add_f32_e32 v23, v23, v195
	v_fma_mix_f32 v1, v1, v132, -v27 op_sel_hi:[0,1,0]
	v_fma_mix_f32 v26, v127, v129, -v134 op_sel_hi:[0,1,0]
	;; [unrolled: 1-line block ×4, first 2 shown]
	v_add_f32_e32 v107, v107, v1
	v_add_f32_e32 v128, v184, v26
	v_add_f32_e32 v127, v186, v2
	v_add_f32_e32 v23, v23, v3
	s_barrier
	buffer_gl0_inv
.LBB194_5:                              ;   in Loop: Header=BB194_6 Depth=1
	v_add_co_u32 v51, s1, 0xb0, v51
	v_add_co_ci_u32_e64 v52, null, 0, v52, s1
	v_add_co_u32 v53, s1, 0xb0, v53
	v_add_co_ci_u32_e64 v54, null, 0, v54, s1
	;; [unrolled: 2-line block ×36, first 2 shown]
	v_add_co_u32 v122, s1, 0xb0, v122
	v_add_nc_u32_e32 v38, 8, v38
	v_add_nc_u32_e32 v35, 8, v35
	;; [unrolled: 1-line block ×3, first 2 shown]
	v_add_co_ci_u32_e64 v123, null, 0, v123, s1
	s_add_i32 s15, s15, -1
	s_addk_i32 s2, 0x100
	s_cmp_eq_u32 s15, 0
	s_cbranch_scc1 .LBB194_17
.LBB194_6:                              ; =>This Inner Loop Header: Depth=1
	v_add_co_u32 v1, s1, v53, s8
	v_add_co_ci_u32_e64 v2, null, s20, v54, s1
	v_add_co_u32 v3, s1, v51, s8
	v_add_co_ci_u32_e64 v4, null, s20, v52, s1
	;; [unrolled: 2-line block ×4, first 2 shown]
	global_load_dword v133, v[1:2], off
	global_load_dword v134, v[3:4], off
	global_load_dword v135, v[26:27], off
	global_load_dword v136, v[129:130], off
	v_add_co_u32 v1, s1, v61, s8
	v_add_co_ci_u32_e64 v2, null, s20, v62, s1
	v_add_co_u32 v3, s1, v59, s8
	v_add_co_ci_u32_e64 v4, null, s20, v60, s1
	v_add_co_u32 v26, s1, v65, s8
	v_add_co_ci_u32_e64 v27, null, s20, v66, s1
	v_add_co_u32 v129, s1, v63, s8
	v_add_co_ci_u32_e64 v130, null, s20, v64, s1
	v_add_co_u32 v131, s1, v69, s8
	v_add_co_ci_u32_e64 v132, null, s20, v70, s1
	global_load_dword v137, v[1:2], off
	global_load_dword v138, v[3:4], off
	global_load_dword v139, v[26:27], off
	global_load_dword v140, v[129:130], off
	global_load_dword v141, v[131:132], off
	v_add_co_u32 v1, s1, v67, s8
	v_add_co_ci_u32_e64 v2, null, s20, v68, s1
	v_add_co_u32 v3, s1, v73, s8
	v_add_co_ci_u32_e64 v4, null, s20, v74, s1
	v_add_co_u32 v26, s1, v71, s8
	v_add_co_ci_u32_e64 v27, null, s20, v72, s1
	v_add_co_u32 v129, s1, v77, s8
	v_add_co_ci_u32_e64 v130, null, s20, v78, s1
	v_add_co_u32 v131, s1, v75, s8
	v_add_co_ci_u32_e64 v132, null, s20, v76, s1
	global_load_dword v142, v[1:2], off
	;; [unrolled: 15-line block ×4, first 2 shown]
	global_load_dword v153, v[3:4], off
	global_load_dword v154, v[26:27], off
	;; [unrolled: 1-line block ×3, first 2 shown]
	v_add_co_u32 v1, s1, v101, s8
	v_add_co_ci_u32_e64 v2, null, s20, v102, s1
	v_add_co_u32 v3, s1, v99, s8
	v_add_co_ci_u32_e64 v4, null, s20, v100, s1
	;; [unrolled: 2-line block ×4, first 2 shown]
	global_load_dword v131, v[131:132], off
	global_load_dword v132, v[1:2], off
	;; [unrolled: 1-line block ×5, first 2 shown]
	v_add_co_u32 v1, s1, v110, s8
	v_add_co_ci_u32_e64 v2, null, s20, v111, s1
	v_add_co_u32 v3, s1, v108, s8
	v_add_co_ci_u32_e64 v4, null, s20, v109, s1
	v_add_co_u32 v26, s1, v114, s8
	v_add_co_ci_u32_e64 v27, null, s20, v115, s1
	global_load_dword v130, v[1:2], off
	global_load_dword v158, v[3:4], off
	v_add_co_u32 v1, s1, v112, s8
	v_add_co_ci_u32_e64 v2, null, s20, v113, s1
	v_add_co_u32 v3, s1, v118, s8
	v_add_co_ci_u32_e64 v4, null, s20, v119, s1
	global_load_dword v159, v[26:27], off
	global_load_dword v160, v[1:2], off
	;; [unrolled: 1-line block ×3, first 2 shown]
	v_add_co_u32 v1, s1, v116, s8
	v_add_co_ci_u32_e64 v2, null, s20, v117, s1
	v_add_co_u32 v3, s1, v122, s8
	v_add_co_ci_u32_e64 v4, null, s20, v123, s1
	;; [unrolled: 2-line block ×3, first 2 shown]
	global_load_dword v3, v[3:4], off
	global_load_dword v4, v[1:2], off
	;; [unrolled: 1-line block ×3, first 2 shown]
	v_add_co_u32 v1, s1, v24, s8
	v_add_co_ci_u32_e64 v2, null, s20, v25, s1
	s_add_i32 s1, s2, 0xffffff80
	s_cmp_lt_i32 s1, s9
	global_load_dword v1, v[1:2], off
	s_waitcnt vmcnt(36)
	v_and_b32_e32 v2, 0xf0f0f0f, v133
	v_lshrrev_b32_e32 v27, 4, v133
	s_waitcnt vmcnt(35)
	v_ashrrev_i32_e32 v133, v29, v134
	v_ashrrev_i32_e32 v134, v30, v134
	s_waitcnt vmcnt(34)
	v_and_b32_e32 v162, 0xf0f0f0f, v135
	v_lshrrev_b32_e32 v135, 4, v135
	s_waitcnt vmcnt(33)
	v_ashrrev_i32_e32 v163, v29, v136
	v_ashrrev_i32_e32 v136, v30, v136
	v_lshlrev_b32_e32 v133, 4, v133
	v_and_b32_e32 v27, 0xf0f0f0f, v27
	v_lshlrev_b32_e32 v134, 4, v134
	v_lshlrev_b32_e32 v163, 4, v163
	v_and_b32_e32 v135, 0xf0f0f0f, v135
	v_lshlrev_b32_e32 v136, 4, v136
	v_and_or_b32 v2, 0x10101010, v133, v2
	v_and_or_b32 v27, 0x10101010, v134, v27
	;; [unrolled: 1-line block ×4, first 2 shown]
	s_waitcnt vmcnt(32)
	v_and_b32_e32 v164, 0xf0f0f0f, v137
	v_lshrrev_b32_e32 v137, 4, v137
	s_waitcnt vmcnt(31)
	v_ashrrev_i32_e32 v165, v29, v138
	v_ashrrev_i32_e32 v138, v30, v138
	s_waitcnt vmcnt(30)
	v_and_b32_e32 v166, 0xf0f0f0f, v139
	v_lshrrev_b32_e32 v139, 4, v139
	s_waitcnt vmcnt(29)
	v_ashrrev_i32_e32 v167, v29, v140
	v_ashrrev_i32_e32 v140, v30, v140
	s_waitcnt vmcnt(28)
	v_and_b32_e32 v168, 0xf0f0f0f, v141
	v_lshrrev_b32_e32 v141, 4, v141
	v_lshlrev_b32_e32 v165, 4, v165
	v_and_b32_e32 v137, 0xf0f0f0f, v137
	v_lshlrev_b32_e32 v138, 4, v138
	v_lshlrev_b32_e32 v167, 4, v167
	v_and_b32_e32 v139, 0xf0f0f0f, v139
	v_lshlrev_b32_e32 v140, 4, v140
	v_and_b32_e32 v141, 0xf0f0f0f, v141
	v_and_or_b32 v135, 0x10101010, v165, v164
	v_and_or_b32 v136, 0x10101010, v138, v137
	;; [unrolled: 1-line block ×4, first 2 shown]
	s_waitcnt vmcnt(27)
	v_ashrrev_i32_e32 v169, v29, v142
	v_ashrrev_i32_e32 v142, v30, v142
	s_waitcnt vmcnt(26)
	v_and_b32_e32 v170, 0xf0f0f0f, v143
	v_lshrrev_b32_e32 v143, 4, v143
	s_waitcnt vmcnt(25)
	v_ashrrev_i32_e32 v171, v29, v144
	v_ashrrev_i32_e32 v144, v30, v144
	s_waitcnt vmcnt(24)
	v_and_b32_e32 v172, 0xf0f0f0f, v145
	v_lshrrev_b32_e32 v145, 4, v145
	s_waitcnt vmcnt(23)
	v_ashrrev_i32_e32 v173, v29, v146
	v_ashrrev_i32_e32 v146, v30, v146
	v_lshlrev_b32_e32 v169, 4, v169
	v_lshlrev_b32_e32 v142, 4, v142
	;; [unrolled: 1-line block ×3, first 2 shown]
	v_and_b32_e32 v143, 0xf0f0f0f, v143
	v_lshlrev_b32_e32 v144, 4, v144
	v_lshlrev_b32_e32 v173, 4, v173
	v_and_b32_e32 v145, 0xf0f0f0f, v145
	v_lshlrev_b32_e32 v146, 4, v146
	v_and_or_b32 v139, 0x10101010, v169, v168
	v_and_or_b32 v140, 0x10101010, v142, v141
	;; [unrolled: 1-line block ×3, first 2 shown]
	s_waitcnt vmcnt(22)
	v_and_b32_e32 v174, 0xf0f0f0f, v147
	v_lshrrev_b32_e32 v147, 4, v147
	s_waitcnt vmcnt(21)
	v_ashrrev_i32_e32 v175, v29, v148
	v_ashrrev_i32_e32 v148, v30, v148
	s_waitcnt vmcnt(20)
	v_and_b32_e32 v176, 0xf0f0f0f, v149
	v_lshrrev_b32_e32 v149, 4, v149
	s_waitcnt vmcnt(19)
	v_ashrrev_i32_e32 v177, v29, v150
	v_ashrrev_i32_e32 v150, v30, v150
	s_waitcnt vmcnt(18)
	v_and_b32_e32 v178, 0xf0f0f0f, v151
	v_lshrrev_b32_e32 v151, 4, v151
	v_lshlrev_b32_e32 v175, 4, v175
	v_and_b32_e32 v147, 0xf0f0f0f, v147
	v_lshlrev_b32_e32 v148, 4, v148
	v_lshlrev_b32_e32 v177, 4, v177
	v_and_b32_e32 v149, 0xf0f0f0f, v149
	v_lshlrev_b32_e32 v150, 4, v150
	v_and_b32_e32 v151, 0xf0f0f0f, v151
	v_and_or_b32 v142, 0x10101010, v144, v143
	v_and_or_b32 v143, 0x10101010, v173, v172
	;; [unrolled: 1-line block ×5, first 2 shown]
	s_waitcnt vmcnt(17)
	v_ashrrev_i32_e32 v179, v29, v152
	v_ashrrev_i32_e32 v152, v30, v152
	s_waitcnt vmcnt(16)
	v_and_b32_e32 v180, 0xf0f0f0f, v153
	v_lshrrev_b32_e32 v153, 4, v153
	s_waitcnt vmcnt(15)
	v_ashrrev_i32_e32 v181, v29, v154
	v_ashrrev_i32_e32 v154, v30, v154
	s_waitcnt vmcnt(14)
	v_and_b32_e32 v182, 0xf0f0f0f, v155
	v_lshrrev_b32_e32 v155, 4, v155
	v_lshlrev_b32_e32 v179, 4, v179
	v_lshlrev_b32_e32 v152, 4, v152
	v_lshlrev_b32_e32 v181, 4, v181
	v_and_b32_e32 v153, 0xf0f0f0f, v153
	v_lshlrev_b32_e32 v154, 4, v154
	v_and_b32_e32 v155, 0xf0f0f0f, v155
	v_and_or_b32 v147, 0x10101010, v177, v176
	v_and_or_b32 v148, 0x10101010, v150, v149
	s_waitcnt vmcnt(13)
	v_ashrrev_i32_e32 v183, v29, v131
	v_ashrrev_i32_e32 v131, v30, v131
	s_waitcnt vmcnt(12)
	v_and_b32_e32 v184, 0xf0f0f0f, v132
	v_lshrrev_b32_e32 v132, 4, v132
	s_waitcnt vmcnt(11)
	v_ashrrev_i32_e32 v185, v29, v156
	v_ashrrev_i32_e32 v156, v30, v156
	s_waitcnt vmcnt(10)
	v_and_b32_e32 v186, 0xf0f0f0f, v157
	v_lshrrev_b32_e32 v157, 4, v157
	s_waitcnt vmcnt(9)
	v_ashrrev_i32_e32 v187, v29, v129
	v_ashrrev_i32_e32 v129, v30, v129
	v_lshlrev_b32_e32 v183, 4, v183
	v_lshlrev_b32_e32 v131, 4, v131
	;; [unrolled: 1-line block ×3, first 2 shown]
	v_and_b32_e32 v132, 0xf0f0f0f, v132
	v_lshlrev_b32_e32 v156, 4, v156
	v_and_b32_e32 v157, 0xf0f0f0f, v157
	s_waitcnt vmcnt(8)
	v_and_b32_e32 v188, 0xf0f0f0f, v130
	v_lshrrev_b32_e32 v130, 4, v130
	s_waitcnt vmcnt(7)
	v_ashrrev_i32_e32 v189, v29, v158
	v_ashrrev_i32_e32 v158, v30, v158
	v_lshlrev_b32_e32 v187, 4, v187
	v_lshlrev_b32_e32 v129, 4, v129
	v_and_b32_e32 v130, 0xf0f0f0f, v130
	v_lshlrev_b32_e32 v189, 4, v189
	v_lshlrev_b32_e32 v158, 4, v158
	s_waitcnt vmcnt(6)
	v_and_b32_e32 v190, 0xf0f0f0f, v159
	v_lshrrev_b32_e32 v159, 4, v159
	s_waitcnt vmcnt(5)
	v_ashrrev_i32_e32 v191, v29, v160
	v_ashrrev_i32_e32 v160, v30, v160
	s_waitcnt vmcnt(4)
	v_ashrrev_i32_e32 v161, v32, v161
	v_and_or_b32 v149, 0x10101010, v179, v178
	v_and_or_b32 v150, 0x10101010, v152, v151
	;; [unrolled: 1-line block ×8, first 2 shown]
	ds_write2_b32 v5, v2, v27 offset1:8
	ds_write2_b32 v6, v133, v134 offset1:8
	;; [unrolled: 1-line block ×13, first 2 shown]
	s_waitcnt vmcnt(3)
	v_ashrrev_i32_e32 v2, v32, v3
	v_and_b32_e32 v159, 0xf0f0f0f, v159
	v_lshlrev_b32_e32 v191, 4, v191
	v_lshlrev_b32_e32 v160, 4, v160
	v_and_or_b32 v155, 0x10101010, v187, v186
	v_and_or_b32 v129, 0x10101010, v129, v157
	v_and_b32_e32 v131, 0xf0f0f0f, v161
	s_waitcnt vmcnt(2)
	v_ashrrev_i32_e32 v4, v33, v4
	v_and_or_b32 v156, 0x10101010, v189, v188
	v_and_or_b32 v130, 0x10101010, v158, v130
	v_and_b32_e32 v2, 0xf0f0f0f, v2
	s_waitcnt vmcnt(1)
	v_ashrrev_i32_e32 v26, v33, v26
	v_and_or_b32 v3, 0x10101010, v191, v190
	v_and_or_b32 v27, 0x10101010, v160, v159
	ds_write2_b32 v18, v155, v129 offset1:8
	ds_write2_b32 v19, v156, v130 offset1:8
	;; [unrolled: 1-line block ×3, first 2 shown]
	v_and_or_b32 v3, 0x30303030, v4, v131
	v_and_or_b32 v2, 0x30303030, v26, v2
	s_waitcnt vmcnt(0)
	ds_write_b32 v31, v1
	ds_write_b32 v124, v3
	;; [unrolled: 1-line block ×3, first 2 shown]
	s_cbranch_scc0 .LBB194_5
; %bb.7:                                ;   in Loop: Header=BB194_6 Depth=1
	v_cmp_gt_i32_e64 s1, s12, v35
	s_and_b32 s4, s0, s1
	s_and_saveexec_b32 s1, s4
	s_cbranch_execz .LBB194_9
; %bb.8:                                ;   in Loop: Header=BB194_6 Depth=1
	v_add_nc_u32_e32 v1, v49, v35
	v_mad_i64_i32 v[1:2], null, v1, 36, v[21:22]
	global_load_dword v1, v[1:2], off offset:4
	s_waitcnt vmcnt(0)
	ds_write_b32 v37, v1
.LBB194_9:                              ;   in Loop: Header=BB194_6 Depth=1
	s_or_b32 exec_lo, exec_lo, s1
	v_cmp_gt_i32_e64 s1, s12, v126
	s_and_b32 s4, s10, s1
	s_and_saveexec_b32 s1, s4
	s_cbranch_execz .LBB194_11
; %bb.10:                               ;   in Loop: Header=BB194_6 Depth=1
	v_add_nc_u32_e32 v1, v49, v126
	v_mad_i64_i32 v[1:2], null, v1, 36, s[6:7]
	global_load_dword v1, v[1:2], off
	v_add_nc_u32_e32 v2, v36, v39
	s_waitcnt vmcnt(0)
	ds_write_b32 v2, v1
.LBB194_11:                             ;   in Loop: Header=BB194_6 Depth=1
	s_or_b32 exec_lo, exec_lo, s1
	s_waitcnt lgkmcnt(0)
	s_barrier
	buffer_gl0_inv
	ds_read2_b32 v[129:130], v41 offset1:1
	ds_read_b128 v[133:136], v34
	ds_read_b128 v[137:140], v34 offset:16
	ds_read2_b32 v[131:132], v41 offset0:2 offset1:3
	ds_read_b128 v[141:144], v34 offset:32
	ds_read_b128 v[145:148], v34 offset:48
	ds_read2_b32 v[149:150], v41 offset0:4 offset1:5
	ds_read2_b32 v[151:152], v41 offset0:6 offset1:7
	;; [unrolled: 1-line block ×3, first 2 shown]
	v_mov_b32_e32 v181, 0
	v_mov_b32_e32 v182, 0
	v_add_nc_u32_e32 v159, 0x2080, v41
	ds_read2_b32 v[26:27], v40 offset1:2
	ds_read_b128 v[1:4], v39 offset:36944
	ds_read2_b32 v[155:156], v41 offset0:10 offset1:11
	ds_read2_b32 v[157:158], v41 offset0:12 offset1:13
	ds_read2_b32 v[159:160], v159 offset1:1
	v_add_nc_u32_e32 v170, 0x20a0, v41
	v_add_nc_u32_e32 v161, 0x2088, v41
	v_mov_b32_e32 v183, 0
	v_add_nc_u32_e32 v167, 0x2090, v41
	v_add_nc_u32_e32 v169, 0x2098, v41
	v_mov_b32_e32 v184, 0
	v_mov_b32_e32 v188, 0
	v_add_nc_u32_e32 v171, 0x4130, v41
	v_add_nc_u32_e32 v173, 0x4138, v41
	s_waitcnt lgkmcnt(12)
	v_dot4c_i32_i8 v181, v129, v133
	v_add_nc_u32_e32 v175, 0x6180, v41
	v_add_nc_u32_e32 v177, 0x6198, v41
	;; [unrolled: 1-line block ×3, first 2 shown]
	v_mov_b32_e32 v190, 0
	v_dot4c_i32_i8 v181, v130, v134
	s_waitcnt lgkmcnt(5)
	v_dot4c_i32_i8 v182, v153, v141
	ds_read_b32 v129, v44 offset:128
	ds_read_b32 v130, v46 offset:256
	ds_read2_b32 v[161:162], v161 offset1:1
	v_mov_b32_e32 v192, 0
	s_waitcnt lgkmcnt(7)
	v_cvt_f32_ubyte0_e32 v185, v27
	v_dot4c_i32_i8 v181, v131, v135
	ds_read_b32 v131, v48 offset:384
	ds_read2_b32 v[163:164], v41 offset0:14 offset1:15
	ds_read2_b32 v[165:166], v41 offset0:16 offset1:17
	v_dot4c_i32_i8 v182, v154, v142
	ds_read2_b32 v[153:154], v170 offset1:1
	v_dot4c_i32_i8 v181, v132, v136
	ds_read_b32 v132, v42
	ds_read2_b32 v[167:168], v167 offset1:1
	s_waitcnt lgkmcnt(9)
	v_dot4c_i32_i8 v183, v159, v133
	v_dot4c_i32_i8 v182, v155, v143
	;; [unrolled: 1-line block ×3, first 2 shown]
	v_add_nc_u32_e32 v149, 0x20a8, v41
	v_cvt_f32_ubyte1_e32 v186, v27
	v_dot4c_i32_i8 v183, v160, v134
	v_dot4c_i32_i8 v182, v156, v144
	;; [unrolled: 1-line block ×3, first 2 shown]
	ds_read2_b32 v[149:150], v149 offset1:1
	ds_read2_b32 v[155:156], v169 offset1:1
	s_waitcnt lgkmcnt(8)
	v_dot4c_i32_i8 v183, v161, v135
	v_dot4c_i32_i8 v182, v157, v145
	v_dot4c_i32_i8 v181, v151, v139
	v_add_nc_u32_e32 v151, 0x20b0, v41
	v_add_nc_u32_e32 v157, 0x4100, v41
	v_dot4c_i32_i8 v183, v162, v136
	s_waitcnt lgkmcnt(4)
	v_dot4c_i32_i8 v184, v153, v141
	v_dot4c_i32_i8 v181, v152, v140
	ds_read2_b32 v[151:152], v151 offset1:1
	v_add_nc_u32_e32 v153, 0x20b8, v41
	v_dot4c_i32_i8 v182, v158, v146
	v_dot4c_i32_i8 v184, v154, v142
	ds_read2_b32 v[153:154], v153 offset1:1
	ds_read2_b32 v[157:158], v157 offset1:1
	s_waitcnt lgkmcnt(5)
	v_dot4c_i32_i8 v183, v167, v137
	v_dot4c_i32_i8 v182, v163, v147
	v_add_nc_u32_e32 v167, 0x4118, v41
	s_waitcnt lgkmcnt(4)
	v_dot4c_i32_i8 v184, v149, v143
	v_add_nc_u32_e32 v149, 0x4108, v41
	v_dot4c_i32_i8 v183, v168, v138
	v_dot4c_i32_i8 v182, v164, v148
	v_add_nc_u32_e32 v169, 0x4120, v41
	v_dot4c_i32_i8 v184, v150, v144
	ds_read2_b32 v[149:150], v149 offset1:1
	ds_read2_b32 v[159:160], v41 offset0:26 offset1:27
	ds_read2_b32 v[161:162], v41 offset0:28 offset1:29
	;; [unrolled: 1-line block ×3, first 2 shown]
	s_waitcnt lgkmcnt(7)
	v_dot4c_i32_i8 v183, v155, v139
	v_cvt_f32_f16_sdwa v187, v132 dst_sel:DWORD dst_unused:UNUSED_PAD src0_sel:WORD_1
	v_cvt_f32_f16_sdwa v193, v129 dst_sel:DWORD dst_unused:UNUSED_PAD src0_sel:WORD_1
	s_waitcnt lgkmcnt(6)
	v_dot4c_i32_i8 v184, v151, v145
	v_add_nc_u32_e32 v151, 0x4110, v41
	v_dot4c_i32_i8 v183, v156, v140
	ds_read2_b32 v[155:156], v43 offset1:2
	v_mov_b32_e32 v194, 0
	v_dot4c_i32_i8 v184, v152, v146
	s_waitcnt lgkmcnt(5)
	v_dot4c_i32_i8 v188, v157, v133
	ds_read2_b32 v[151:152], v151 offset1:1
	ds_read2_b32 v[167:168], v167 offset1:1
	;; [unrolled: 1-line block ×3, first 2 shown]
	v_mov_b32_e32 v197, 0
	v_cvt_f32_ubyte2_e32 v196, v27
	v_dot4c_i32_i8 v184, v153, v147
	v_add_nc_u32_e32 v153, 0x4128, v41
	v_dot4c_i32_i8 v188, v158, v134
	ds_read2_b32 v[157:158], v153 offset1:1
	ds_read2_b32 v[171:172], v171 offset1:1
	;; [unrolled: 1-line block ×4, first 2 shown]
	s_waitcnt lgkmcnt(11)
	v_dot4c_i32_i8 v188, v149, v135
	v_add_nc_u32_e32 v149, 0x6188, v41
	v_add_nc_u32_e32 v153, 0x6190, v41
	v_dot4c_i32_i8 v184, v154, v148
	v_cvt_f32_ubyte3_e32 v27, v27
	v_dot4c_i32_i8 v188, v150, v136
	ds_read2_b32 v[149:150], v149 offset1:1
	ds_read2_b32 v[153:154], v153 offset1:1
	ds_read2_b32 v[177:178], v177 offset1:1
	ds_read2_b32 v[179:180], v179 offset1:1
	s_waitcnt lgkmcnt(11)
	v_cvt_f32_ubyte0_e32 v189, v156
	v_cvt_f32_ubyte1_e32 v191, v156
	s_cmp_ge_i32 s2, s9
	s_waitcnt lgkmcnt(8)
	v_dot4c_i32_i8 v190, v169, v141
	v_dot4c_i32_i8 v188, v151, v137
	v_add_nc_u32_e32 v169, 0x61a8, v41
	v_dot4c_i32_i8 v190, v170, v142
	v_dot4c_i32_i8 v188, v152, v138
	ds_read2_b32 v[151:152], v45 offset1:2
	ds_read2_b32 v[169:170], v169 offset1:1
	s_waitcnt lgkmcnt(6)
	v_dot4c_i32_i8 v192, v175, v133
	v_add_nc_u32_e32 v133, 0x61b0, v41
	v_dot4c_i32_i8 v188, v167, v139
	v_mov_b32_e32 v167, 0
	v_dot4c_i32_i8 v190, v157, v143
	v_dot4c_i32_i8 v192, v176, v134
	ds_read2_b32 v[133:134], v133 offset1:1
	v_dot4c_i32_i8 v188, v168, v140
	s_waitcnt lgkmcnt(3)
	v_dot4c_i32_i8 v167, v179, v141
	v_add_nc_u32_e32 v141, 0x20c0, v41
	v_dot4c_i32_i8 v192, v149, v135
	v_add_nc_u32_e32 v135, 0x61b8, v41
	v_dot4c_i32_i8 v190, v158, v144
	v_dot4c_i32_i8 v167, v180, v142
	v_add_nc_u32_e32 v175, 0x20e0, v41
	v_dot4c_i32_i8 v192, v150, v136
	ds_read2_b32 v[149:150], v47 offset1:2
	ds_read2_b32 v[135:136], v135 offset1:1
	;; [unrolled: 1-line block ×3, first 2 shown]
	v_and_b32_e32 v141, 0xff, v26
	s_waitcnt lgkmcnt(4)
	v_dot4c_i32_i8 v167, v169, v143
	v_dot4c_i32_i8 v190, v171, v145
	;; [unrolled: 1-line block ×3, first 2 shown]
	v_bfe_u32 v142, v151, 8, 8
	v_mul_lo_u32 v141, v181, v141
	v_dot4c_i32_i8 v167, v170, v144
	v_dot4c_i32_i8 v190, v172, v146
	;; [unrolled: 1-line block ×3, first 2 shown]
	v_bfe_u32 v138, v26, 8, 8
	v_cvt_f32_ubyte0_e32 v137, v152
	s_waitcnt lgkmcnt(3)
	v_dot4c_i32_i8 v167, v133, v145
	v_dot4c_i32_i8 v190, v173, v147
	;; [unrolled: 1-line block ×3, first 2 shown]
	v_mul_lo_u32 v133, v182, v138
	v_cvt_f32_i32_e32 v139, v141
	v_dot4c_i32_i8 v167, v134, v146
	v_fma_mix_f32 v134, v1, v185, 0 op_sel:[1,0,0] op_sel_hi:[1,0,0]
	v_dot4c_i32_i8 v192, v178, v140
	v_bfe_u32 v140, v155, 8, 8
	v_fma_mix_f32 v139, v1, v139, 0 op_sel_hi:[1,0,0]
	s_waitcnt lgkmcnt(1)
	v_dot4c_i32_i8 v167, v135, v147
	v_cvt_f32_i32_e32 v133, v133
	v_and_b32_e32 v135, 0xff, v155
	v_fma_mix_f32 v134, v2, v186, v134 op_sel:[1,0,0] op_sel_hi:[1,0,0]
	v_dot4c_i32_i8 v190, v174, v148
	v_mul_lo_u32 v140, v184, v140
	v_fma_mix_f32 v133, v2, v133, v139 op_sel_hi:[1,0,0]
	v_and_b32_e32 v139, 0xff, v151
	v_mul_lo_u32 v135, v183, v135
	v_mul_f32_e32 v134, v134, v187
	v_dot4c_i32_i8 v167, v136, v148
	v_fma_mix_f32 v136, v1, v189, 0 op_sel:[1,0,0] op_sel_hi:[1,0,0]
	v_mul_lo_u32 v139, v188, v139
	v_cvt_f32_i32_e32 v140, v140
	v_fma_mix_f32 v133, v133, v132, -v134 op_sel_hi:[0,1,0]
	v_mul_lo_u32 v134, v190, v142
	v_cvt_f32_i32_e32 v135, v135
	v_fma_mix_f32 v136, v2, v191, v136 op_sel:[1,0,0] op_sel_hi:[1,0,0]
	v_cvt_f32_ubyte1_e32 v138, v152
	v_fma_mix_f32 v137, v1, v137, 0 op_sel:[1,0,0] op_sel_hi:[1,0,0]
	v_cvt_f32_i32_e32 v139, v139
	v_fma_mix_f32 v135, v1, v135, 0 op_sel_hi:[1,0,0]
	v_mul_f32_e32 v136, v136, v193
	v_cvt_f32_i32_e32 v134, v134
	v_fma_mix_f32 v137, v2, v138, v137 op_sel:[1,0,0] op_sel_hi:[1,0,0]
	v_fma_mix_f32 v139, v1, v139, 0 op_sel_hi:[1,0,0]
	v_fma_mix_f32 v135, v2, v140, v135 op_sel_hi:[1,0,0]
	v_and_b32_e32 v138, 0xff, v149
	v_cvt_f32_f16_sdwa v181, v130 dst_sel:DWORD dst_unused:UNUSED_PAD src0_sel:WORD_1
	v_add_f32_e32 v107, v107, v133
	v_fma_mix_f32 v139, v2, v134, v139 op_sel_hi:[1,0,0]
	v_fma_mix_f32 v142, v135, v129, -v136 op_sel_hi:[0,1,0]
	ds_read_b128 v[133:136], v34 offset:64
	v_bfe_u32 v140, v149, 8, 8
	v_mul_lo_u32 v138, v192, v138
	v_mul_f32_e32 v137, v137, v181
	v_add_f32_e32 v184, v128, v142
	v_mov_b32_e32 v189, 0
	v_mul_lo_u32 v140, v167, v140
	v_cvt_f32_ubyte0_e32 v141, v150
	v_fma_mix_f32 v137, v139, v130, -v137 op_sel_hi:[0,1,0]
	v_add_nc_u32_e32 v148, 0x20c8, v41
	v_cvt_f32_i32_e32 v128, v138
	v_add_nc_u32_e32 v171, 0x20d0, v41
	v_add_nc_u32_e32 v173, 0x20d8, v41
	v_add_f32_e32 v186, v127, v137
	v_cvt_f32_i32_e32 v145, v140
	v_fma_mix_f32 v146, v1, v128, 0 op_sel_hi:[1,0,0]
	ds_read_b128 v[137:140], v34 offset:96
	ds_read2_b32 v[127:128], v41 offset0:18 offset1:19
	ds_read2_b32 v[153:154], v41 offset0:20 offset1:21
	;; [unrolled: 1-line block ×4, first 2 shown]
	v_fma_mix_f32 v1, v1, v141, 0 op_sel:[1,0,0] op_sel_hi:[1,0,0]
	v_cvt_f32_ubyte1_e32 v147, v150
	s_waitcnt lgkmcnt(5)
	v_dot4c_i32_i8 v189, v165, v133
	ds_read_b128 v[141:144], v34 offset:80
	v_mov_b32_e32 v190, 0
	v_fma_mix_f32 v177, v2, v145, v146 op_sel_hi:[1,0,0]
	v_fma_mix_f32 v178, v2, v147, v1 op_sel:[1,0,0] op_sel_hi:[1,0,0]
	v_dot4c_i32_i8 v189, v166, v134
	ds_read2_b32 v[165:166], v148 offset1:1
	ds_read2_b32 v[171:172], v171 offset1:1
	ds_read2_b32 v[173:174], v173 offset1:1
	ds_read2_b32 v[175:176], v175 offset1:1
	v_add_nc_u32_e32 v1, 0x20e8, v41
	ds_read_b128 v[145:148], v34 offset:112
	v_mov_b32_e32 v191, 0
	v_cvt_f32_f16_sdwa v192, v131 dst_sel:DWORD dst_unused:UNUSED_PAD src0_sel:WORD_1
	v_add_nc_u32_e32 v179, 0x61e0, v41
	ds_read2_b32 v[1:2], v1 offset1:1
	v_lshrrev_b32_e32 v182, 24, v26
	s_waitcnt lgkmcnt(10)
	v_dot4c_i32_i8 v189, v127, v135
	v_add_nc_u32_e32 v127, 0x20f0, v41
	v_dot4c_i32_i8 v191, v157, v133
	s_waitcnt lgkmcnt(7)
	v_dot4c_i32_i8 v190, v169, v137
	v_add_nc_u32_e32 v157, 0x4140, v41
	v_dot4c_i32_i8 v189, v128, v136
	ds_read2_b32 v[127:128], v127 offset1:1
	v_dot4c_i32_i8 v191, v158, v134
	v_dot4c_i32_i8 v190, v170, v138
	v_add_nc_u32_e32 v169, 0x61c0, v41
	s_waitcnt lgkmcnt(7)
	v_dot4c_i32_i8 v189, v153, v141
	v_add_nc_u32_e32 v153, 0x20f8, v41
	s_waitcnt lgkmcnt(3)
	v_dot4c_i32_i8 v194, v175, v137
	v_dot4c_i32_i8 v190, v159, v139
	;; [unrolled: 1-line block ×4, first 2 shown]
	ds_read2_b32 v[153:154], v153 offset1:1
	ds_read2_b32 v[157:158], v157 offset1:1
	v_dot4c_i32_i8 v194, v176, v138
	v_dot4c_i32_i8 v190, v160, v140
	;; [unrolled: 1-line block ×4, first 2 shown]
	v_add_nc_u32_e32 v159, 0x4158, v41
	s_waitcnt lgkmcnt(3)
	v_dot4c_i32_i8 v194, v1, v139
	v_dot4c_i32_i8 v190, v161, v145
	v_mul_f32_e32 v1, v178, v192
	v_dot4c_i32_i8 v191, v171, v141
	v_add_nc_u32_e32 v161, 0x4160, v41
	v_dot4c_i32_i8 v194, v2, v140
	v_dot4c_i32_i8 v190, v162, v146
	v_fma_mix_f32 v195, v177, v131, -v1 op_sel_hi:[0,1,0]
	v_add_nc_u32_e32 v1, 0x4148, v41
	v_dot4c_i32_i8 v191, v172, v142
	s_waitcnt lgkmcnt(2)
	v_dot4c_i32_i8 v194, v127, v145
	v_dot4c_i32_i8 v190, v163, v147
	v_add_nc_u32_e32 v127, 0x4150, v41
	v_add_nc_u32_e32 v163, 0x4168, v41
	;; [unrolled: 1-line block ×4, first 2 shown]
	v_dot4c_i32_i8 v189, v168, v144
	v_dot4c_i32_i8 v190, v164, v148
	;; [unrolled: 1-line block ×3, first 2 shown]
	ds_read2_b32 v[1:2], v1 offset1:1
	ds_read2_b32 v[127:128], v127 offset1:1
	;; [unrolled: 1-line block ×8, first 2 shown]
	v_add_nc_u32_e32 v171, 0x61c8, v41
	v_dot4c_i32_i8 v191, v173, v143
	v_add_nc_u32_e32 v173, 0x61d0, v41
	v_add_nc_u32_e32 v177, 0x61d8, v41
	ds_read2_b32 v[171:172], v171 offset1:1
	ds_read2_b32 v[175:176], v173 offset1:1
	;; [unrolled: 1-line block ×4, first 2 shown]
	s_waitcnt lgkmcnt(12)
	v_dot4c_i32_i8 v197, v157, v133
	v_dot4c_i32_i8 v194, v153, v147
	v_add_nc_u32_e32 v153, 0x61e8, v41
	v_mov_b32_e32 v157, 0
	v_bfe_u32 v26, v26, 16, 8
	v_dot4c_i32_i8 v197, v158, v134
	v_mov_b32_e32 v158, 0
	v_dot4c_i32_i8 v194, v154, v148
	ds_read2_b32 v[153:154], v153 offset1:1
	s_waitcnt lgkmcnt(9)
	v_dot4c_i32_i8 v157, v161, v137
	v_dot4c_i32_i8 v197, v1, v135
	v_add_nc_u32_e32 v1, 0x61f0, v41
	s_waitcnt lgkmcnt(5)
	v_dot4c_i32_i8 v158, v169, v133
	v_mov_b32_e32 v133, 0
	v_dot4c_i32_i8 v157, v162, v138
	v_dot4c_i32_i8 v197, v2, v136
	ds_read2_b32 v[1:2], v1 offset1:1
	v_dot4c_i32_i8 v158, v170, v134
	v_dot4c_i32_i8 v191, v174, v144
	s_waitcnt lgkmcnt(2)
	v_dot4c_i32_i8 v133, v179, v137
	v_dot4c_i32_i8 v197, v127, v141
	v_add_nc_u32_e32 v127, 0x61f8, v41
	v_dot4c_i32_i8 v158, v171, v135
	v_dot4c_i32_i8 v157, v163, v139
	;; [unrolled: 1-line block ×4, first 2 shown]
	ds_read2_b32 v[127:128], v127 offset1:1
	v_dot4c_i32_i8 v158, v172, v136
	v_dot4c_i32_i8 v157, v164, v140
	s_waitcnt lgkmcnt(2)
	v_dot4c_i32_i8 v133, v153, v139
	v_mul_lo_u32 v135, v190, v182
	v_bfe_u32 v136, v155, 16, 8
	v_dot4c_i32_i8 v158, v175, v141
	v_dot4c_i32_i8 v157, v165, v145
	;; [unrolled: 1-line block ×3, first 2 shown]
	v_lshrrev_b32_e32 v183, 24, v155
	v_dot4c_i32_i8 v197, v159, v143
	v_dot4c_i32_i8 v158, v176, v142
	;; [unrolled: 1-line block ×3, first 2 shown]
	s_waitcnt lgkmcnt(1)
	v_dot4c_i32_i8 v133, v1, v145
	v_mul_lo_u32 v1, v189, v26
	v_dot4c_i32_i8 v197, v160, v144
	v_dot4c_i32_i8 v158, v177, v143
	;; [unrolled: 1-line block ×4, first 2 shown]
	v_mul_lo_u32 v138, v194, v183
	v_lshrrev_b32_e32 v185, 24, v151
	v_dot4c_i32_i8 v158, v178, v144
	v_cvt_f32_i32_e32 v1, v1
	s_waitcnt lgkmcnt(0)
	v_dot4c_i32_i8 v133, v127, v147
	v_cvt_f32_i32_e32 v127, v135
	v_mul_lo_u32 v135, v191, v136
	v_fma_mix_f32 v136, v3, v196, 0 op_sel:[1,0,0] op_sel_hi:[1,0,0]
	v_fma_mix_f32 v1, v3, v1, 0 op_sel_hi:[1,0,0]
	v_dot4c_i32_i8 v133, v128, v148
	v_bfe_u32 v128, v151, 16, 8
	v_lshrrev_b32_e32 v188, 24, v149
	v_fma_mix_f32 v27, v4, v27, v136 op_sel:[1,0,0] op_sel_hi:[1,0,0]
	v_bfe_u32 v136, v149, 16, 8
	v_fma_mix_f32 v1, v4, v127, v1 op_sel_hi:[1,0,0]
	v_cvt_f32_i32_e32 v127, v135
	v_dot4c_i32_i8 v157, v168, v148
	v_mul_lo_u32 v128, v197, v128
	v_mul_lo_u32 v136, v158, v136
	v_cvt_f32_ubyte2_e32 v173, v156
	v_cvt_f32_ubyte2_e32 v26, v152
	;; [unrolled: 1-line block ×3, first 2 shown]
	v_cvt_f32_i32_e32 v138, v138
	v_fma_mix_f32 v127, v3, v127, 0 op_sel_hi:[1,0,0]
	v_mul_lo_u32 v139, v157, v185
	v_mul_lo_u32 v133, v133, v188
	v_cvt_f32_ubyte3_e32 v134, v156
	v_cvt_f32_ubyte3_e32 v2, v152
	v_fma_mix_f32 v135, v3, v173, 0 op_sel:[1,0,0] op_sel_hi:[1,0,0]
	v_fma_mix_f32 v127, v4, v138, v127 op_sel_hi:[1,0,0]
	v_fma_mix_f32 v26, v3, v26, 0 op_sel:[1,0,0] op_sel_hi:[1,0,0]
	v_cvt_f32_i32_e32 v128, v128
	v_cvt_f32_i32_e32 v136, v136
	v_fma_mix_f32 v137, v3, v137, 0 op_sel:[1,0,0] op_sel_hi:[1,0,0]
	v_cvt_f32_ubyte3_e32 v138, v150
	v_fma_mix_f32 v134, v4, v134, v135 op_sel:[1,0,0] op_sel_hi:[1,0,0]
	v_cvt_f32_i32_e32 v135, v139
	v_fma_mix_f32 v128, v3, v128, 0 op_sel_hi:[1,0,0]
	v_fma_mix_f32 v2, v4, v2, v26 op_sel:[1,0,0] op_sel_hi:[1,0,0]
	v_cvt_f32_i32_e32 v26, v133
	v_fma_mix_f32 v3, v3, v136, 0 op_sel_hi:[1,0,0]
	v_fma_mix_f32 v133, v4, v138, v137 op_sel:[1,0,0] op_sel_hi:[1,0,0]
	v_mul_f32_e32 v27, v27, v187
	v_mul_f32_e32 v134, v134, v193
	v_fma_mix_f32 v128, v4, v135, v128 op_sel_hi:[1,0,0]
	v_mul_f32_e32 v2, v2, v181
	v_fma_mix_f32 v3, v4, v26, v3 op_sel_hi:[1,0,0]
	v_mul_f32_e32 v4, v133, v192
	v_add_f32_e32 v23, v23, v195
	v_fma_mix_f32 v1, v1, v132, -v27 op_sel_hi:[0,1,0]
	v_fma_mix_f32 v26, v127, v129, -v134 op_sel_hi:[0,1,0]
	;; [unrolled: 1-line block ×4, first 2 shown]
	v_add_f32_e32 v107, v107, v1
	v_add_f32_e32 v128, v184, v26
	;; [unrolled: 1-line block ×4, first 2 shown]
	s_barrier
	buffer_gl0_inv
	s_cbranch_scc1 .LBB194_5
; %bb.12:                               ;   in Loop: Header=BB194_6 Depth=1
	v_cmp_gt_i32_e64 s1, s12, v38
	s_and_b32 s4, s0, s1
	s_and_saveexec_b32 s1, s4
	s_cbranch_execz .LBB194_14
; %bb.13:                               ;   in Loop: Header=BB194_6 Depth=1
	v_add_nc_u32_e32 v1, v49, v38
	v_mad_i64_i32 v[1:2], null, v1, 36, v[21:22]
	global_load_dword v1, v[1:2], off offset:4
	s_waitcnt vmcnt(0)
	ds_write_b32 v37, v1
.LBB194_14:                             ;   in Loop: Header=BB194_6 Depth=1
	s_or_b32 exec_lo, exec_lo, s1
	s_and_saveexec_b32 s4, vcc_lo
	s_cbranch_execz .LBB194_4
; %bb.15:                               ;   in Loop: Header=BB194_6 Depth=1
	v_add_nc_u32_e32 v1, 4, v126
	v_cmp_gt_i32_e64 s1, s12, v1
	s_and_b32 s1, s0, s1
	s_and_b32 exec_lo, exec_lo, s1
	s_cbranch_execz .LBB194_4
; %bb.16:                               ;   in Loop: Header=BB194_6 Depth=1
	v_ashrrev_i32_e32 v1, 31, v126
	v_add_co_u32 v2, s1, v49, v126
	v_add_co_ci_u32_e64 v3, null, v50, v1, s1
	v_mad_u64_u32 v[1:2], null, v2, 36, s[6:7]
	v_mad_i32_i24 v2, v3, 36, v2
	global_load_dword v1, v[1:2], off offset:144
	v_add_nc_u32_e32 v2, v36, v39
	s_waitcnt vmcnt(0)
	ds_write_b32 v2, v1
	s_branch .LBB194_4
.LBB194_17:
	s_mul_i32 s0, s14, s11
	s_waitcnt vmcnt(0)
	v_cmp_gt_i32_e32 vcc_lo, s0, v28
	s_and_saveexec_b32 s0, vcc_lo
	s_cbranch_execz .LBB194_26
; %bb.18:
	v_add_nc_u32_e32 v1, s3, v0
	v_mul_lo_u32 v0, v28, s13
	s_mov_b32 s0, exec_lo
	v_cmpx_gt_u32_e64 s13, v1
	s_cbranch_execz .LBB194_20
; %bb.19:
	v_add_nc_u32_e32 v2, v0, v1
	v_mov_b32_e32 v3, 0
	v_lshlrev_b64 v[2:3], 2, v[2:3]
	v_add_co_u32 v2, vcc_lo, s16, v2
	v_add_co_ci_u32_e64 v3, null, s17, v3, vcc_lo
	global_store_dword v[2:3], v107, off
.LBB194_20:
	s_or_b32 exec_lo, exec_lo, s0
	v_add_nc_u32_e32 v2, 32, v1
	s_mov_b32 s0, exec_lo
	v_cmpx_gt_u32_e64 s13, v2
	s_cbranch_execz .LBB194_22
; %bb.21:
	v_add_nc_u32_e32 v2, v0, v2
	v_mov_b32_e32 v3, 0
	v_lshlrev_b64 v[2:3], 2, v[2:3]
	v_add_co_u32 v2, vcc_lo, s16, v2
	v_add_co_ci_u32_e64 v3, null, s17, v3, vcc_lo
	global_store_dword v[2:3], v128, off
.LBB194_22:
	s_or_b32 exec_lo, exec_lo, s0
	v_add_nc_u32_e32 v2, 64, v1
	;; [unrolled: 13-line block ×3, first 2 shown]
	v_cmp_gt_u32_e32 vcc_lo, s13, v1
	s_and_b32 exec_lo, exec_lo, vcc_lo
	s_cbranch_execz .LBB194_26
; %bb.25:
	v_add_nc_u32_e32 v0, v0, v1
	v_mov_b32_e32 v1, 0
	v_lshlrev_b64 v[0:1], 2, v[0:1]
	v_add_co_u32 v0, vcc_lo, s16, v0
	v_add_co_ci_u32_e64 v1, null, s17, v1, vcc_lo
	global_store_dword v[0:1], v23, off
.LBB194_26:
	s_endpgm
	.section	.rodata,"a",@progbits
	.p2align	6, 0x0
	.amdhsa_kernel _ZL8moe_q5_KIfLb1EEvPKvS1_PT_PKiS5_S5_iiiiiii
		.amdhsa_group_segment_fixed_size 37072
		.amdhsa_private_segment_fixed_size 0
		.amdhsa_kernarg_size 76
		.amdhsa_user_sgpr_count 6
		.amdhsa_user_sgpr_private_segment_buffer 1
		.amdhsa_user_sgpr_dispatch_ptr 0
		.amdhsa_user_sgpr_queue_ptr 0
		.amdhsa_user_sgpr_kernarg_segment_ptr 1
		.amdhsa_user_sgpr_dispatch_id 0
		.amdhsa_user_sgpr_flat_scratch_init 0
		.amdhsa_user_sgpr_private_segment_size 0
		.amdhsa_wavefront_size32 1
		.amdhsa_uses_dynamic_stack 0
		.amdhsa_system_sgpr_private_segment_wavefront_offset 0
		.amdhsa_system_sgpr_workgroup_id_x 1
		.amdhsa_system_sgpr_workgroup_id_y 1
		.amdhsa_system_sgpr_workgroup_id_z 0
		.amdhsa_system_sgpr_workgroup_info 0
		.amdhsa_system_vgpr_workitem_id 1
		.amdhsa_next_free_vgpr 198
		.amdhsa_next_free_sgpr 24
		.amdhsa_reserve_vcc 1
		.amdhsa_reserve_flat_scratch 0
		.amdhsa_float_round_mode_32 0
		.amdhsa_float_round_mode_16_64 0
		.amdhsa_float_denorm_mode_32 3
		.amdhsa_float_denorm_mode_16_64 3
		.amdhsa_dx10_clamp 1
		.amdhsa_ieee_mode 1
		.amdhsa_fp16_overflow 0
		.amdhsa_workgroup_processor_mode 1
		.amdhsa_memory_ordered 1
		.amdhsa_forward_progress 1
		.amdhsa_shared_vgpr_count 0
		.amdhsa_exception_fp_ieee_invalid_op 0
		.amdhsa_exception_fp_denorm_src 0
		.amdhsa_exception_fp_ieee_div_zero 0
		.amdhsa_exception_fp_ieee_overflow 0
		.amdhsa_exception_fp_ieee_underflow 0
		.amdhsa_exception_fp_ieee_inexact 0
		.amdhsa_exception_int_div_zero 0
	.end_amdhsa_kernel
	.section	.text._ZL8moe_q5_KIfLb1EEvPKvS1_PT_PKiS5_S5_iiiiiii,"axG",@progbits,_ZL8moe_q5_KIfLb1EEvPKvS1_PT_PKiS5_S5_iiiiiii,comdat
.Lfunc_end194:
	.size	_ZL8moe_q5_KIfLb1EEvPKvS1_PT_PKiS5_S5_iiiiiii, .Lfunc_end194-_ZL8moe_q5_KIfLb1EEvPKvS1_PT_PKiS5_S5_iiiiiii
                                        ; -- End function
	.set _ZL8moe_q5_KIfLb1EEvPKvS1_PT_PKiS5_S5_iiiiiii.num_vgpr, 198
	.set _ZL8moe_q5_KIfLb1EEvPKvS1_PT_PKiS5_S5_iiiiiii.num_agpr, 0
	.set _ZL8moe_q5_KIfLb1EEvPKvS1_PT_PKiS5_S5_iiiiiii.numbered_sgpr, 24
	.set _ZL8moe_q5_KIfLb1EEvPKvS1_PT_PKiS5_S5_iiiiiii.num_named_barrier, 0
	.set _ZL8moe_q5_KIfLb1EEvPKvS1_PT_PKiS5_S5_iiiiiii.private_seg_size, 0
	.set _ZL8moe_q5_KIfLb1EEvPKvS1_PT_PKiS5_S5_iiiiiii.uses_vcc, 1
	.set _ZL8moe_q5_KIfLb1EEvPKvS1_PT_PKiS5_S5_iiiiiii.uses_flat_scratch, 0
	.set _ZL8moe_q5_KIfLb1EEvPKvS1_PT_PKiS5_S5_iiiiiii.has_dyn_sized_stack, 0
	.set _ZL8moe_q5_KIfLb1EEvPKvS1_PT_PKiS5_S5_iiiiiii.has_recursion, 0
	.set _ZL8moe_q5_KIfLb1EEvPKvS1_PT_PKiS5_S5_iiiiiii.has_indirect_call, 0
	.section	.AMDGPU.csdata,"",@progbits
; Kernel info:
; codeLenInByte = 12128
; TotalNumSgprs: 26
; NumVgprs: 198
; ScratchSize: 0
; MemoryBound: 0
; FloatMode: 240
; IeeeMode: 1
; LDSByteSize: 37072 bytes/workgroup (compile time only)
; SGPRBlocks: 0
; VGPRBlocks: 24
; NumSGPRsForWavesPerEU: 26
; NumVGPRsForWavesPerEU: 198
; Occupancy: 4
; WaveLimiterHint : 1
; COMPUTE_PGM_RSRC2:SCRATCH_EN: 0
; COMPUTE_PGM_RSRC2:USER_SGPR: 6
; COMPUTE_PGM_RSRC2:TRAP_HANDLER: 0
; COMPUTE_PGM_RSRC2:TGID_X_EN: 1
; COMPUTE_PGM_RSRC2:TGID_Y_EN: 1
; COMPUTE_PGM_RSRC2:TGID_Z_EN: 0
; COMPUTE_PGM_RSRC2:TIDIG_COMP_CNT: 1
	.section	.text._ZL8moe_q6_KIfLb0EEvPKvS1_PT_PKiS5_S5_iiiiiii,"axG",@progbits,_ZL8moe_q6_KIfLb0EEvPKvS1_PT_PKiS5_S5_iiiiiii,comdat
	.globl	_ZL8moe_q6_KIfLb0EEvPKvS1_PT_PKiS5_S5_iiiiiii ; -- Begin function _ZL8moe_q6_KIfLb0EEvPKvS1_PT_PKiS5_S5_iiiiiii
	.p2align	8
	.type	_ZL8moe_q6_KIfLb0EEvPKvS1_PT_PKiS5_S5_iiiiiii,@function
_ZL8moe_q6_KIfLb0EEvPKvS1_PT_PKiS5_S5_iiiiiii: ; @_ZL8moe_q6_KIfLb0EEvPKvS1_PT_PKiS5_S5_iiiiiii
; %bb.0:
	s_load_dwordx4 s[0:3], s[4:5], 0x18
	s_mov_b32 s8, s7
	s_mov_b32 s9, 0
	s_lshl_b64 s[10:11], s[8:9], 2
	s_waitcnt lgkmcnt(0)
	s_add_u32 s2, s2, s10
	s_addc_u32 s3, s3, s11
	s_load_dword s14, s[2:3], 0x0
	s_waitcnt lgkmcnt(0)
	s_cmpk_gt_u32 s14, 0xff
	s_cbranch_scc1 .LBB195_26
; %bb.1:
	s_load_dwordx2 s[2:3], s[4:5], 0x28
	s_waitcnt lgkmcnt(0)
	s_load_dword s3, s[2:3], 0x0
	s_lshl_b32 s2, s8, 3
	s_waitcnt lgkmcnt(0)
	s_cmp_gt_u32 s2, s3
	s_cbranch_scc1 .LBB195_26
; %bb.2:
	v_add_nc_u32_e32 v3, s2, v1
	v_mov_b32_e32 v4, 0
	s_lshl_b32 s16, s6, 7
	v_lshlrev_b64 v[2:3], 2, v[3:4]
	v_mov_b32_e32 v99, v4
	v_mov_b32_e32 v102, v4
	;; [unrolled: 1-line block ×3, first 2 shown]
	v_add_co_u32 v2, vcc_lo, s0, v2
	v_add_co_ci_u32_e64 v3, null, s1, v3, vcc_lo
	global_load_dword v5, v[2:3], off
	s_clause 0x2
	s_load_dwordx2 s[12:13], s[4:5], 0x30
	s_load_dwordx2 s[2:3], s[4:5], 0x10
	s_load_dwordx4 s[8:11], s[4:5], 0x3c
	s_waitcnt lgkmcnt(0)
	s_cmpk_lt_i32 s13, 0x100
	s_cbranch_scc1 .LBB195_17
; %bb.3:
	s_ashr_i32 s0, s13, 31
	s_mul_i32 s12, s14, s12
	s_lshr_b32 s0, s0, 24
	s_abs_i32 s14, s11
	s_add_i32 s0, s13, s0
	v_and_b32_e32 v3, 31, v0
	s_ashr_i32 s17, s0, 8
	v_lshlrev_b32_e32 v10, 3, v1
	s_lshl_b32 s0, s17, 3
	v_lshrrev_b32_e32 v11, 2, v0
	v_cvt_f32_u32_e32 v13, s14
	v_mad_i32_i24 v4, s17, v1, s0
	v_lshl_add_u32 v9, v1, 5, v0
	v_lshlrev_b32_e32 v14, 1, v3
	v_add_nc_u32_e32 v18, v11, v10
	v_add_nc_u16 v10, v11, v10
	v_rcp_iflag_f32_e32 v11, v13
	v_add_nc_u32_e32 v40, s0, v4
	v_add_nc_u16 v15, v3, -16
	v_cmp_gt_u32_e32 vcc_lo, 16, v3
	v_and_b32_e32 v16, 0x7f, v9
	v_add_nc_u32_e32 v17, 0xe0, v14
	v_lshrrev_b32_e32 v9, 3, v9
	v_add_nc_u32_e32 v44, s0, v40
	v_lshlrev_b32_e32 v99, 2, v3
	v_cndmask_b32_e32 v3, v15, v3, vcc_lo
	v_cndmask_b32_e32 v15, v17, v14, vcc_lo
	v_and_b32_e32 v17, 12, v9
	v_mul_f32_e32 v9, 0x4f7ffffe, v11
	v_add_nc_u32_e32 v48, s0, v44
	s_sub_i32 s15, 0, s14
	v_cmp_lt_u16_e32 vcc_lo, 7, v3
	v_lshlrev_b32_e32 v19, 2, v16
	v_cvt_u32_f32_e32 v21, v9
	v_add_nc_u32_e32 v52, s0, v48
	v_mul_i32_i24_e32 v100, s17, v16
	v_and_b32_e32 v12, 3, v0
	v_add3_u32 v16, v19, v17, 0x8e40
	v_mul_lo_u32 v3, s15, v21
	v_add_nc_u32_e32 v56, s0, v52
	s_waitcnt vmcnt(0)
	v_sub_nc_u32_e32 v19, 0, v5
	v_lshrrev_b32_e32 v2, 5, v0
	v_lshlrev_b32_e32 v106, 2, v12
	v_and_b32_e32 v18, 0x7f, v18
	v_add_nc_u32_e32 v60, s0, v56
	v_max_i32_e32 v27, v5, v19
	v_mul_hi_u32 v3, v21, v3
	v_lshrrev_b16 v20, 1, v10
	v_lshl_or_b32 v23, v18, 4, v106
	v_add_nc_u32_e32 v64, s0, v60
	v_lshlrev_b32_e32 v33, 2, v0
	v_add_nc_u32_e32 v28, 32, v0
	v_and_b32_e32 v20, 60, v20
	v_lshlrev_b32_e32 v30, 2, v2
	v_add_nc_u32_e32 v3, v21, v3
	v_add_nc_u32_e32 v68, s0, v64
	;; [unrolled: 1-line block ×3, first 2 shown]
	v_add3_u32 v17, v23, v20, 0x8200
	v_lshrrev_b32_e32 v23, 3, v28
	v_mul_hi_u32 v3, v27, v3
	v_add_nc_u32_e32 v72, s0, v68
	v_lshlrev_b32_e32 v28, 4, v28
	s_ashr_i32 s1, s9, 31
	v_lshlrev_b32_e32 v31, 2, v23
	v_add_nc_u32_e32 v41, 0x60, v0
	v_add_nc_u32_e32 v76, s0, v72
	s_lshr_b32 s1, s1, 27
	v_mul_lo_u32 v29, v3, s14
	v_add3_u32 v28, v28, v31, 0x8200
	v_lshrrev_b32_e32 v31, 3, v32
	v_add_nc_u32_e32 v80, s0, v76
	v_xor_b32_e32 v39, s11, v5
	s_load_dwordx4 s[4:7], s[4:5], 0x0
	s_add_i32 s1, s9, s1
	v_lshlrev_b32_e32 v38, 2, v31
	v_add_nc_u32_e32 v84, s0, v80
	v_sub_nc_u32_e32 v29, v27, v29
	v_add3_u32 v27, v33, v30, 0x8e40
	v_add_nc_u32_e32 v30, 1, v3
	s_ashr_i32 s9, s1, 5
	v_add_nc_u32_e32 v88, s0, v84
	v_subrev_nc_u32_e32 v37, s14, v29
	v_cmp_le_u32_e64 s0, s14, v29
	s_mul_i32 s1, s17, s16
	v_lshlrev_b32_e32 v32, 4, v32
	v_ashrrev_i32_e32 v39, 31, v39
	s_mul_hi_i32 s15, s1, 0xd2
	v_cndmask_b32_e64 v3, v3, v30, s0
	v_cndmask_b32_e64 v29, v29, v37, s0
	v_and_b32_e32 v30, 60, v23
	v_and_b32_e32 v34, 7, v0
	;; [unrolled: 1-line block ×3, first 2 shown]
	v_add_nc_u32_e32 v37, 1, v3
	v_cmp_le_u32_e64 s0, s14, v29
	s_mul_i32 s14, s1, 0xd2
	v_add3_u32 v29, v33, v30, 0x8e40
	v_mad_u64_u32 v[90:91], null, 0xd2, v2, s[14:15]
	v_cndmask_b32_e64 v3, v3, v37, s0
	v_lshrrev_b32_e32 v37, 3, v41
	v_add3_u32 v30, v32, v38, 0x8200
	v_mul_i32_i24_e32 v35, s17, v1
	v_lshlrev_b32_e32 v38, 4, v41
	v_xor_b32_e32 v3, v3, v39
	v_lshlrev_b32_e32 v32, 2, v37
	v_and_b32_e32 v37, 60, v37
	v_add_nc_u32_e32 v19, 0x9050, v33
	v_and_b32_e32 v36, 28, v33
	v_add3_u32 v31, v33, v31, 0x8e40
	v_lshlrev_b32_e32 v2, 1, v0
	v_add3_u32 v33, v33, v37, 0x8e40
	v_lshlrev_b32_e32 v37, 2, v34
	v_sub_nc_u32_e32 v3, v3, v39
	v_add3_u32 v32, v38, v32, 0x8200
	v_mad_u64_u32 v[38:39], null, 0xd2, v35, v[90:91]
	v_and_or_b32 v96, v2, 32, v37
	s_waitcnt lgkmcnt(0)
	v_add_co_u32 v2, s1, s6, v36
	v_cmp_gt_i32_e64 s0, s8, v3
	v_mul_lo_u32 v34, v3, s9
	v_add_co_ci_u32_e64 v3, null, s7, 0, s1
	v_add_co_u32 v36, s1, v38, v96
	v_add_co_ci_u32_e64 v37, null, 0, v39, s1
	v_mad_u64_u32 v[42:43], null, 0xd2, v4, v[90:91]
	v_add_co_u32 v36, s1, s4, v36
	v_add_co_ci_u32_e64 v37, null, s5, v37, s1
	v_mad_u64_u32 v[46:47], null, 0xd2, v40, v[90:91]
	v_add_co_u32 v36, s1, 0x80, v36
	v_add_co_ci_u32_e64 v37, null, 0, v37, s1
	v_add_co_u32 v4, s1, v38, v99
	v_add_co_ci_u32_e64 v39, null, 0, v39, s1
	v_add_co_u32 v41, s1, v42, v96
	v_add_co_ci_u32_e64 v45, null, 0, v43, s1
	v_add_co_u32 v38, s1, s4, v4
	v_add_co_ci_u32_e64 v39, null, s5, v39, s1
	v_add_co_u32 v4, s1, s4, v41
	v_add_co_ci_u32_e64 v41, null, s5, v45, s1
	v_mad_u64_u32 v[50:51], null, 0xd2, v44, v[90:91]
	v_add_co_u32 v40, s1, 0x80, v4
	v_add_co_ci_u32_e64 v41, null, 0, v41, s1
	v_add_co_u32 v4, s1, v42, v99
	v_add_co_ci_u32_e64 v43, null, 0, v43, s1
	v_add_co_u32 v45, s1, v46, v96
	v_add_co_ci_u32_e64 v49, null, 0, v47, s1
	v_add_co_u32 v42, s1, s4, v4
	v_add_co_ci_u32_e64 v43, null, s5, v43, s1
	v_add_co_u32 v4, s1, s4, v45
	v_add_co_ci_u32_e64 v45, null, s5, v49, s1
	v_mad_u64_u32 v[54:55], null, 0xd2, v48, v[90:91]
	v_add_co_u32 v44, s1, 0x80, v4
	v_add_co_ci_u32_e64 v45, null, 0, v45, s1
	v_add_co_u32 v4, s1, v46, v99
	v_add_co_ci_u32_e64 v47, null, 0, v47, s1
	v_add_co_u32 v49, s1, v50, v96
	v_add_co_ci_u32_e64 v53, null, 0, v51, s1
	v_add_co_u32 v46, s1, s4, v4
	v_add_co_ci_u32_e64 v47, null, s5, v47, s1
	v_add_co_u32 v4, s1, s4, v49
	v_add_co_ci_u32_e64 v49, null, s5, v53, s1
	v_mad_u64_u32 v[58:59], null, 0xd2, v52, v[90:91]
	v_add_co_u32 v48, s1, 0x80, v4
	v_add_co_ci_u32_e64 v49, null, 0, v49, s1
	v_add_co_u32 v4, s1, v50, v99
	v_add_co_ci_u32_e64 v51, null, 0, v51, s1
	v_add_co_u32 v53, s1, v54, v96
	v_add_co_ci_u32_e64 v57, null, 0, v55, s1
	v_add_co_u32 v50, s1, s4, v4
	v_add_co_ci_u32_e64 v51, null, s5, v51, s1
	v_add_co_u32 v4, s1, s4, v53
	v_add_co_ci_u32_e64 v53, null, s5, v57, s1
	v_mad_u64_u32 v[62:63], null, 0xd2, v56, v[90:91]
	v_add_co_u32 v52, s1, 0x80, v4
	v_add_co_ci_u32_e64 v53, null, 0, v53, s1
	v_add_co_u32 v4, s1, v54, v99
	v_add_co_ci_u32_e64 v55, null, 0, v55, s1
	v_add_co_u32 v57, s1, v58, v96
	v_add_co_ci_u32_e64 v61, null, 0, v59, s1
	v_add_co_u32 v54, s1, s4, v4
	v_add_co_ci_u32_e64 v55, null, s5, v55, s1
	v_add_co_u32 v4, s1, s4, v57
	v_add_co_ci_u32_e64 v57, null, s5, v61, s1
	v_mad_u64_u32 v[66:67], null, 0xd2, v60, v[90:91]
	v_add_co_u32 v56, s1, 0x80, v4
	v_add_co_ci_u32_e64 v57, null, 0, v57, s1
	v_add_co_u32 v4, s1, v58, v99
	v_add_co_ci_u32_e64 v59, null, 0, v59, s1
	v_add_co_u32 v61, s1, v62, v96
	v_add_co_ci_u32_e64 v65, null, 0, v63, s1
	v_add_co_u32 v58, s1, s4, v4
	v_add_co_ci_u32_e64 v59, null, s5, v59, s1
	v_add_co_u32 v4, s1, s4, v61
	v_add_co_ci_u32_e64 v61, null, s5, v65, s1
	v_mad_u64_u32 v[70:71], null, 0xd2, v64, v[90:91]
	v_add_co_u32 v60, s1, 0x80, v4
	v_add_co_ci_u32_e64 v61, null, 0, v61, s1
	v_add_co_u32 v4, s1, v62, v99
	v_add_co_ci_u32_e64 v63, null, 0, v63, s1
	v_add_co_u32 v65, s1, v66, v96
	v_add_co_ci_u32_e64 v69, null, 0, v67, s1
	v_add_co_u32 v62, s1, s4, v4
	v_add_co_ci_u32_e64 v63, null, s5, v63, s1
	v_add_co_u32 v4, s1, s4, v65
	v_add_co_ci_u32_e64 v65, null, s5, v69, s1
	v_mad_u64_u32 v[74:75], null, 0xd2, v68, v[90:91]
	v_add_co_u32 v64, s1, 0x80, v4
	v_add_co_ci_u32_e64 v65, null, 0, v65, s1
	v_add_co_u32 v4, s1, v66, v99
	v_add_co_ci_u32_e64 v67, null, 0, v67, s1
	v_add_co_u32 v69, s1, v70, v96
	v_add_co_ci_u32_e64 v73, null, 0, v71, s1
	v_add_co_u32 v66, s1, s4, v4
	v_add_co_ci_u32_e64 v67, null, s5, v67, s1
	v_add_co_u32 v4, s1, s4, v69
	v_add_co_ci_u32_e64 v69, null, s5, v73, s1
	v_mad_u64_u32 v[78:79], null, 0xd2, v72, v[90:91]
	v_add_co_u32 v68, s1, 0x80, v4
	v_add_co_ci_u32_e64 v69, null, 0, v69, s1
	v_add_co_u32 v4, s1, v70, v99
	v_add_co_ci_u32_e64 v71, null, 0, v71, s1
	v_add_co_u32 v73, s1, v74, v96
	v_add_co_ci_u32_e64 v77, null, 0, v75, s1
	v_add_co_u32 v70, s1, s4, v4
	v_add_co_ci_u32_e64 v71, null, s5, v71, s1
	v_add_co_u32 v4, s1, s4, v73
	v_add_co_ci_u32_e64 v73, null, s5, v77, s1
	v_mad_u64_u32 v[82:83], null, 0xd2, v76, v[90:91]
	v_add_co_u32 v72, s1, 0x80, v4
	v_add_co_ci_u32_e64 v73, null, 0, v73, s1
	v_add_co_u32 v4, s1, v74, v99
	v_add_co_ci_u32_e64 v75, null, 0, v75, s1
	v_add_co_u32 v77, s1, v78, v96
	v_add_co_ci_u32_e64 v81, null, 0, v79, s1
	v_add_co_u32 v74, s1, s4, v4
	v_add_co_ci_u32_e64 v75, null, s5, v75, s1
	v_add_co_u32 v4, s1, s4, v77
	v_add_co_ci_u32_e64 v77, null, s5, v81, s1
	v_mad_u64_u32 v[86:87], null, 0xd2, v80, v[90:91]
	v_add_co_u32 v76, s1, 0x80, v4
	v_add_co_ci_u32_e64 v77, null, 0, v77, s1
	v_add_co_u32 v4, s1, v78, v99
	v_add_co_ci_u32_e64 v79, null, 0, v79, s1
	v_add_co_u32 v81, s1, v82, v96
	v_add_co_ci_u32_e64 v85, null, 0, v83, s1
	v_add_co_u32 v78, s1, s4, v4
	v_add_co_ci_u32_e64 v79, null, s5, v79, s1
	v_add_co_u32 v4, s1, s4, v81
	v_add_co_ci_u32_e64 v81, null, s5, v85, s1
	v_mad_u64_u32 v[92:93], null, 0xd2, v84, v[90:91]
	v_add_co_u32 v80, s1, 0x80, v4
	v_add_co_ci_u32_e64 v81, null, 0, v81, s1
	v_add_co_u32 v4, s1, v82, v99
	v_add_co_ci_u32_e64 v83, null, 0, v83, s1
	v_add_co_u32 v85, s1, v86, v96
	v_add_co_ci_u32_e64 v89, null, 0, v87, s1
	v_add_co_u32 v82, s1, s4, v4
	v_add_co_ci_u32_e64 v83, null, s5, v83, s1
	v_add_co_u32 v4, s1, s4, v85
	v_add_co_ci_u32_e64 v85, null, s5, v89, s1
	v_xor_b32_e32 v22, 64, v18
	v_add_co_u32 v84, s1, 0x80, v4
	v_add_co_ci_u32_e64 v85, null, 0, v85, s1
	v_add_co_u32 v4, s1, v86, v99
	v_add_co_ci_u32_e64 v87, null, 0, v87, s1
	;; [unrolled: 2-line block ×4, first 2 shown]
	v_add_co_u32 v4, s1, s4, v89
	v_mul_i32_i24_e32 v102, s17, v18
	v_lshrrev_b32_e32 v18, 1, v22
	v_add_co_ci_u32_e64 v89, null, s5, v94, s1
	v_mad_u64_u32 v[94:95], null, 0xd2, v88, v[90:91]
	v_add_co_u32 v88, s1, 0x80, v4
	v_lshl_or_b32 v20, v22, 4, v106
	v_and_b32_e32 v18, 60, v18
	v_add_co_ci_u32_e64 v89, null, 0, v89, s1
	v_add_co_u32 v4, s1, v92, v99
	v_add_co_ci_u32_e64 v92, null, 0, v93, s1
	s_mul_i32 s20, s17, 0x78
	v_add_co_u32 v93, s1, v94, v96
	v_mul_u32_u24_e32 v8, 0x41, v1
	v_and_b32_e32 v12, 0xfe, v15
	v_add3_u32 v18, v20, v18, 0x8200
	v_lshl_add_u32 v20, v1, 7, 0x8a40
	v_lshlrev_b32_e32 v24, 4, v1
	v_add_co_ci_u32_e64 v97, null, 0, v95, s1
	v_mad_i32_i24 v1, s17, v1, s20
	v_add_co_u32 v93, s1, s4, v93
	v_and_b32_e32 v7, 15, v0
	v_sub_nc_u32_e32 v12, v14, v12
	v_add_co_ci_u32_e64 v101, null, s5, v97, s1
	v_mad_u64_u32 v[97:98], null, 0xd2, v1, v[90:91]
	v_add_co_u32 v1, s1, s4, v4
	v_lshlrev_b32_e32 v7, 2, v7
	v_lshlrev_b32_e32 v8, 2, v8
	;; [unrolled: 1-line block ×3, first 2 shown]
	v_add_co_ci_u32_e64 v90, null, s5, v92, s1
	v_add_co_u32 v91, s1, 0x80, v93
	v_add_co_ci_u32_e64 v92, null, 0, v101, s1
	v_add_co_u32 v4, s1, v97, v96
	v_add3_u32 v7, v11, v7, v8
	v_cndmask_b32_e64 v8, 0, 2, vcc_lo
	v_cmp_gt_u32_e32 vcc_lo, 4, v0
	v_add_co_ci_u32_e64 v93, null, 0, v98, s1
	v_add_co_u32 v94, s1, v94, v99
	v_add_co_ci_u32_e64 v95, null, 0, v95, s1
	v_add_co_u32 v4, s1, s4, v4
	s_ashr_i32 s18, s12, 31
	s_and_b32 s19, vcc_lo, s0
	v_add_co_ci_u32_e64 v96, null, s5, v93, s1
	v_add_co_u32 v93, s1, s4, v94
	s_add_u32 s20, s4, s14
	s_addc_u32 s21, s5, s15
	v_mul_i32_i24_e32 v104, s17, v22
	v_add_co_ci_u32_e64 v94, null, s5, v95, s1
	v_add_co_u32 v95, s1, 0x80, v4
	v_mad_u64_u32 v[100:101], null, 0xd2, v100, s[20:21]
	v_add_co_ci_u32_e64 v96, null, 0, v96, s1
	v_add_co_u32 v4, s1, v97, v99
	v_mad_u64_u32 v[102:103], null, 0xd2, v102, 0
	v_add_co_ci_u32_e64 v98, null, 0, v98, s1
	v_mad_u64_u32 v[104:105], null, 0xd2, v104, 0
	v_add_co_u32 v97, s1, s4, v4
	v_add_co_ci_u32_e64 v98, null, s5, v98, s1
	v_add_co_u32 v100, s1, 0xd0, v100
	v_add_co_ci_u32_e64 v101, null, 0, v101, s1
	v_add_co_u32 v4, s1, s14, v102
	v_add_nc_u32_e32 v22, v20, v99
	v_add_co_ci_u32_e64 v99, null, s15, v103, s1
	v_add_co_u32 v102, s1, s14, v104
	v_add_co_ci_u32_e64 v103, null, s15, v105, s1
	v_add_co_u32 v4, s1, v4, v106
	;; [unrolled: 2-line block ×3, first 2 shown]
	v_lshrrev_b32_e32 v21, 3, v0
	v_add_co_ci_u32_e64 v103, null, 0, v103, s1
	v_add_co_u32 v4, s1, s4, v4
	v_add_co_ci_u32_e64 v99, null, s5, v99, s1
	v_add_co_u32 v102, s1, s4, v102
	v_add_nc_u32_e32 v9, 0x30c0, v7
	v_lshlrev_b32_e32 v25, 2, v21
	v_lshlrev_b32_e32 v26, 4, v0
	v_add_co_ci_u32_e64 v106, null, s5, v103, s1
	v_add_co_u32 v103, s1, 0xc0, v4
	v_add_co_ci_u32_e64 v104, null, 0, v99, s1
	v_add_co_u32 v105, s1, 0xc0, v102
	v_mov_b32_e32 v6, 0
	v_add_nc_u32_e32 v10, 0x5140, v7
	v_add_nc_u32_e32 v11, 0x5960, v7
	;; [unrolled: 1-line block ×6, first 2 shown]
	v_add3_u32 v25, v26, v25, 0x8200
	v_mul_u32_u24_e32 v26, 0x104, v0
	v_ashrrev_i32_e32 v35, 31, v34
	v_add_co_ci_u32_e64 v106, null, 0, v106, s1
	v_add_nc_u32_e32 v107, 0x800, v7
	v_add_nc_u32_e32 v108, 0x1000, v7
	;; [unrolled: 1-line block ×8, first 2 shown]
	v_mov_b32_e32 v115, v0
	v_mov_b32_e32 v102, 0
	;; [unrolled: 1-line block ×4, first 2 shown]
	s_movk_i32 s4, 0x80
	s_branch .LBB195_6
.LBB195_4:                              ;   in Loop: Header=BB195_6 Depth=1
	s_or_b32 exec_lo, exec_lo, s5
	s_waitcnt lgkmcnt(0)
	s_barrier
	buffer_gl0_inv
	ds_read2_b32 v[116:117], v26 offset0:44 offset1:45
	ds_read_b128 v[127:130], v20 offset:48
	ds_read_b128 v[131:134], v20 offset:32
	ds_read2_b32 v[118:119], v26 offset0:36 offset1:37
	ds_read2_b32 v[120:121], v26 offset0:40 offset1:41
	ds_read_b128 v[135:138], v20 offset:16
	ds_read_b128 v[139:142], v20
	ds_read2_b32 v[122:123], v26 offset0:46 offset1:47
	ds_read2_b32 v[143:144], v26 offset0:42 offset1:43
	;; [unrolled: 1-line block ×5, first 2 shown]
	v_mov_b32_e32 v126, 0
	v_add_nc_u32_e32 v124, 0x2130, v26
	v_mov_b32_e32 v125, 0
	v_mov_b32_e32 v177, 0
	v_add_nc_u32_e32 v153, 0x2110, v26
	v_mov_b32_e32 v178, 0
	ds_read2_b32 v[151:152], v124 offset1:1
	v_add_nc_u32_e32 v124, 0x4198, v26
	v_add_nc_u32_e32 v165, 0x41b8, v26
	s_waitcnt lgkmcnt(11)
	v_dot4c_i32_i8 v126, v116, v127
	v_add_nc_u32_e32 v116, 0x2108, v26
	v_mov_b32_e32 v179, 0
	s_waitcnt lgkmcnt(8)
	v_dot4c_i32_i8 v125, v120, v131
	s_waitcnt lgkmcnt(7)
	v_dot4c_i32_i8 v177, v118, v135
	v_dot4c_i32_i8 v126, v117, v128
	v_add_nc_u32_e32 v117, 0x2100, v26
	v_add_nc_u32_e32 v118, 0x2138, v26
	v_dot4c_i32_i8 v125, v121, v132
	v_dot4c_i32_i8 v177, v119, v136
	s_waitcnt lgkmcnt(5)
	v_dot4c_i32_i8 v126, v122, v129
	ds_read2_b32 v[121:122], v153 offset1:1
	ds_read2_b32 v[153:154], v116 offset1:1
	;; [unrolled: 1-line block ×4, first 2 shown]
	v_mov_b32_e32 v116, 0
	s_waitcnt lgkmcnt(5)
	v_dot4c_i32_i8 v178, v149, v139
	v_add_nc_u32_e32 v119, 0x2128, v26
	v_dot4c_i32_i8 v126, v123, v130
	v_dot4c_i32_i8 v125, v143, v133
	s_waitcnt lgkmcnt(4)
	v_dot4c_i32_i8 v116, v151, v127
	v_dot4c_i32_i8 v178, v150, v140
	v_add_nc_u32_e32 v123, 0x2118, v26
	v_add_nc_u32_e32 v120, 0x2120, v26
	v_dot4c_i32_i8 v177, v145, v137
	v_dot4c_i32_i8 v116, v152, v128
	;; [unrolled: 1-line block ×3, first 2 shown]
	ds_read2_b32 v[149:150], v119 offset1:1
	ds_read2_b32 v[119:120], v120 offset1:1
	;; [unrolled: 1-line block ×3, first 2 shown]
	v_dot4c_i32_i8 v125, v144, v134
	ds_read2_b32 v[143:144], v123 offset1:1
	v_add_nc_u32_e32 v123, 0x41a8, v26
	v_add_nc_u32_e32 v124, 0x41a0, v26
	v_dot4c_i32_i8 v177, v146, v138
	v_dot4c_i32_i8 v178, v148, v142
	s_waitcnt lgkmcnt(4)
	v_dot4c_i32_i8 v116, v117, v129
	v_add_nc_u32_e32 v117, 0x41b0, v26
	ds_read2_b32 v[145:146], v117 offset1:1
	ds_read2_b32 v[147:148], v123 offset1:1
	;; [unrolled: 1-line block ×3, first 2 shown]
	v_dot4c_i32_i8 v116, v118, v130
	v_mov_b32_e32 v118, 0
	v_add_nc_u32_e32 v117, 0x4190, v26
	v_add_nc_u32_e32 v123, 0x4188, v26
	;; [unrolled: 1-line block ×3, first 2 shown]
	ds_read2_b32 v[159:160], v117 offset1:1
	ds_read2_b32 v[161:162], v123 offset1:1
	;; [unrolled: 1-line block ×4, first 2 shown]
	s_waitcnt lgkmcnt(9)
	v_dot4c_i32_i8 v118, v119, v131
	v_mov_b32_e32 v124, 0
	v_mov_b32_e32 v119, 0
	v_add_nc_u32_e32 v117, 0x6218, v26
	v_mov_b32_e32 v123, 0
	v_dot4c_i32_i8 v118, v120, v132
	v_dot4c_i32_i8 v124, v121, v135
	v_mov_b32_e32 v120, 0
	ds_read2_b32 v[167:168], v117 offset1:1
	ds_read_b32 v117, v33 offset:384
	v_mov_b32_e32 v121, 0
	s_waitcnt lgkmcnt(6)
	v_dot4c_i32_i8 v119, v151, v131
	v_dot4c_i32_i8 v124, v122, v136
	;; [unrolled: 1-line block ×3, first 2 shown]
	v_add_nc_u32_e32 v145, 0x6220, v26
	v_dot4c_i32_i8 v123, v155, v139
	v_dot4c_i32_i8 v119, v152, v132
	;; [unrolled: 1-line block ×3, first 2 shown]
	v_add_nc_u32_e32 v143, 0x6230, v26
	v_dot4c_i32_i8 v120, v146, v128
	s_waitcnt lgkmcnt(5)
	v_dot4c_i32_i8 v121, v159, v135
	v_dot4c_i32_i8 v119, v147, v133
	v_add_nc_u32_e32 v147, 0x6210, v26
	v_dot4c_i32_i8 v124, v144, v138
	v_mov_b32_e32 v122, 0
	v_dot4c_i32_i8 v118, v149, v133
	v_dot4c_i32_i8 v119, v148, v134
	ds_read2_b32 v[143:144], v143 offset1:1
	ds_read2_b32 v[145:146], v145 offset1:1
	;; [unrolled: 1-line block ×3, first 2 shown]
	v_dot4c_i32_i8 v123, v156, v140
	v_dot4c_i32_i8 v121, v160, v136
	s_waitcnt lgkmcnt(6)
	v_dot4c_i32_i8 v122, v163, v139
	v_add_nc_u32_e32 v149, 0x6208, v26
	v_mov_b32_e32 v180, 0
	v_mov_b32_e32 v181, 0
	v_dot4c_i32_i8 v118, v150, v134
	v_add_nc_u32_e32 v150, 0x6200, v26
	v_add_nc_u32_e32 v151, 0x6238, v26
	v_dot4c_i32_i8 v123, v153, v141
	s_waitcnt lgkmcnt(5)
	v_dot4c_i32_i8 v120, v165, v129
	v_dot4c_i32_i8 v121, v157, v137
	;; [unrolled: 1-line block ×3, first 2 shown]
	ds_read2_b32 v[155:156], v149 offset1:1
	ds_read2_b32 v[159:160], v150 offset1:1
	;; [unrolled: 1-line block ×3, first 2 shown]
	v_add_nc_u32_e32 v149, 0x6228, v26
	v_add_nc_u32_e32 v150, 0x6258, v26
	v_dot4c_i32_i8 v123, v154, v142
	s_waitcnt lgkmcnt(5)
	v_dot4c_i32_i8 v179, v143, v127
	s_waitcnt lgkmcnt(4)
	;; [unrolled: 2-line block ×3, first 2 shown]
	v_dot4c_i32_i8 v181, v147, v135
	v_dot4c_i32_i8 v120, v166, v130
	ds_read2_b32 v[165:166], v149 offset1:1
	ds_read2_b32 v[169:170], v150 offset1:1
	v_dot4c_i32_i8 v121, v158, v138
	v_dot4c_i32_i8 v179, v144, v128
	;; [unrolled: 1-line block ×4, first 2 shown]
	ds_read_b128 v[143:146], v20 offset:80
	ds_read_b128 v[147:150], v20 offset:64
	ds_read2_b32 v[131:132], v26 offset0:52 offset1:53
	ds_read_b128 v[151:154], v20 offset:112
	ds_read2_b32 v[135:136], v26 offset0:62 offset1:63
	ds_read2_b32 v[157:158], v26 offset0:60 offset1:61
	;; [unrolled: 1-line block ×5, first 2 shown]
	v_mov_b32_e32 v182, 0
	v_mov_b32_e32 v183, 0
	v_dot4c_i32_i8 v122, v161, v141
	v_dot4c_i32_i8 v181, v167, v137
	v_mov_b32_e32 v167, 0
	s_waitcnt lgkmcnt(12)
	v_dot4c_i32_i8 v182, v159, v139
	v_add_nc_u32_e32 v139, 0x6240, v26
	s_waitcnt lgkmcnt(11)
	v_dot4c_i32_i8 v179, v163, v129
	v_dot4c_i32_i8 v181, v168, v138
	v_mov_b32_e32 v168, 0
	v_dot4c_i32_i8 v182, v160, v140
	v_dot4c_i32_i8 v122, v162, v142
	;; [unrolled: 1-line block ×3, first 2 shown]
	s_waitcnt lgkmcnt(6)
	v_dot4c_i32_i8 v167, v131, v143
	v_add_nc_u32_e32 v131, 0x6250, v26
	v_dot4c_i32_i8 v180, v165, v133
	s_waitcnt lgkmcnt(3)
	v_dot4c_i32_i8 v168, v157, v151
	v_add_nc_u32_e32 v133, 0x6270, v26
	v_dot4c_i32_i8 v167, v132, v144
	ds_read2_b32 v[131:132], v131 offset1:1
	ds_read2_b32 v[139:140], v139 offset1:1
	v_dot4c_i32_i8 v168, v158, v152
	v_dot4c_i32_i8 v180, v166, v134
	;; [unrolled: 1-line block ×3, first 2 shown]
	s_waitcnt lgkmcnt(2)
	v_dot4c_i32_i8 v183, v175, v147
	v_add_nc_u32_e32 v157, 0x6278, v26
	v_dot4c_i32_i8 v168, v135, v153
	ds_read2_b32 v[134:135], v133 offset1:1
	v_add_nc_u32_e32 v133, 0x6248, v26
	ds_read_b128 v[127:130], v20 offset:96
	ds_read2_b32 v[137:138], v26 offset0:58 offset1:59
	v_dot4c_i32_i8 v182, v156, v142
	v_dot4c_i32_i8 v167, v171, v145
	v_dot4c_i32_i8 v183, v176, v148
	ds_read_b32 v171, v31 offset:256
	ds_read2_b32 v[141:142], v32 offset0:2 offset1:3
	ds_read2_b32 v[155:156], v133 offset1:1
	ds_read2_b32 v[157:158], v157 offset1:1
	v_mov_b32_e32 v165, 0
	v_add_nc_u32_e32 v159, 0x6260, v26
	v_dot4c_i32_i8 v167, v172, v146
	v_dot4c_i32_i8 v183, v173, v149
	v_mov_b32_e32 v173, 0
	s_waitcnt lgkmcnt(8)
	v_dot4c_i32_i8 v165, v131, v143
	v_mov_b32_e32 v172, 0
	ds_read2_b32 v[159:160], v159 offset1:1
	v_add_nc_u32_e32 v131, 0x6268, v26
	s_waitcnt lgkmcnt(8)
	v_dot4c_i32_i8 v173, v139, v147
	v_dot4c_i32_i8 v165, v132, v144
	v_add_nc_u32_e32 v133, 0x2158, v26
	s_waitcnt lgkmcnt(7)
	v_dot4c_i32_i8 v172, v134, v151
	ds_read2_b32 v[161:162], v131 offset1:1
	ds_read2_b32 v[163:164], v133 offset1:1
	v_dot4c_i32_i8 v173, v140, v148
	v_dot4c_i32_i8 v165, v169, v145
	;; [unrolled: 1-line block ×3, first 2 shown]
	s_waitcnt lgkmcnt(5)
	v_bfe_i32 v135, v141, 8, 8
	v_bfe_i32 v139, v142, 8, 8
	s_waitcnt lgkmcnt(4)
	v_dot4c_i32_i8 v173, v155, v149
	v_dot4c_i32_i8 v165, v170, v146
	ds_read_b128 v[131:134], v24 offset:36944
	v_mul_lo_u32 v135, v181, v135
	v_mov_b32_e32 v169, 0
	v_dot4c_i32_i8 v173, v156, v150
	ds_read2_b32 v[155:156], v25 offset0:2 offset1:3
	v_bfe_i32 v140, v141, 0, 8
	v_mul_lo_u32 v139, v165, v139
	s_waitcnt lgkmcnt(5)
	v_dot4c_i32_i8 v172, v157, v153
	s_waitcnt lgkmcnt(4)
	v_dot4c_i32_i8 v169, v159, v127
	v_bfe_i32 v157, v142, 0, 8
	v_mad_u64_u32 v[165:166], null, v182, v140, v[135:136]
	v_ashrrev_i32_e32 v135, 24, v141
	v_dot4c_i32_i8 v169, v160, v128
	ds_read2_b32 v[159:160], v26 offset0:56 offset1:57
	v_mad_u64_u32 v[139:140], null, v173, v157, v[139:140]
	v_mul_lo_u32 v135, v179, v135
	v_dot4c_i32_i8 v172, v158, v154
	v_cvt_f32_i32_e32 v140, v165
	v_ashrrev_i32_e32 v157, 24, v142
	v_bfe_i32 v141, v141, 16, 8
	s_waitcnt lgkmcnt(4)
	v_dot4c_i32_i8 v169, v161, v129
	v_cvt_f32_i32_e32 v158, v139
	s_waitcnt lgkmcnt(2)
	v_fma_f32 v170, v131, v140, 0
	v_mul_lo_u32 v139, v172, v157
	v_mad_u64_u32 v[140:141], null, v180, v141, v[135:136]
	s_waitcnt lgkmcnt(1)
	v_bfe_i32 v135, v155, 8, 8
	v_dot4c_i32_i8 v169, v162, v130
	v_bfe_i32 v141, v142, 16, 8
	v_mov_b32_e32 v161, 0
	v_bfe_i32 v157, v156, 8, 8
	v_mul_lo_u32 v135, v177, v135
	v_fma_f32 v172, v133, v158, 0
	v_mad_u64_u32 v[141:142], null, v169, v141, v[139:140]
	v_cvt_f32_i32_e32 v142, v140
	v_bfe_i32 v140, v155, 0, 8
	s_waitcnt lgkmcnt(0)
	v_dot4c_i32_i8 v161, v159, v127
	v_mul_lo_u32 v139, v167, v157
	v_dot4c_i32_i8 v168, v136, v154
	v_dot4c_i32_i8 v183, v174, v150
	v_mad_u64_u32 v[157:158], null, v178, v140, v[135:136]
	v_dot4c_i32_i8 v161, v160, v128
	v_cvt_f32_i32_e32 v135, v141
	v_ashrrev_i32_e32 v136, 24, v156
	v_bfe_i32 v159, v156, 0, 8
	v_bfe_i32 v156, v156, 16, 8
	v_dot4c_i32_i8 v161, v137, v129
	v_fmac_f32_e32 v172, v134, v135
	v_cvt_f32_i32_e32 v135, v157
	v_add_nc_u32_e32 v137, 0x2150, v26
	v_mad_u64_u32 v[139:140], null, v183, v159, v[139:140]
	v_dot4c_i32_i8 v161, v138, v130
	v_fma_f32 v173, v131, v135, 0
	v_mul_lo_u32 v135, v168, v136
	ds_read2_b32 v[136:137], v137 offset1:1
	v_ashrrev_i32_e32 v138, 24, v155
	v_bfe_i32 v157, v155, 16, 8
	v_fmac_f32_e32 v170, v132, v142
	v_cvt_f32_i32_e32 v142, v139
	v_add_nc_u32_e32 v139, 0x2148, v26
	v_mul_lo_u32 v126, v126, v138
	v_add_nc_u32_e32 v140, 0x2140, v26
	ds_read2_b32 v[138:139], v139 offset1:1
	ds_read2_b32 v[140:141], v140 offset1:1
	v_mov_b32_e32 v162, 0
	v_mov_b32_e32 v165, 0
	v_mad_u64_u32 v[125:126], null, v125, v157, v[126:127]
	v_add_nc_u32_e32 v126, 0x2178, v26
	v_fma_f32 v142, v133, v142, 0
	v_mov_b32_e32 v176, 0
	v_mov_b32_e32 v177, 0
	s_waitcnt lgkmcnt(2)
	v_mad_u64_u32 v[155:156], null, v161, v156, v[135:136]
	ds_read_b32 v174, v27
	ds_read_b32 v175, v29 offset:128
	ds_read2_b32 v[156:157], v30 offset0:2 offset1:3
	ds_read2_b32 v[158:159], v28 offset0:2 offset1:3
	ds_read2_b32 v[160:161], v126 offset1:1
	v_add_nc_u32_e32 v135, 0x2170, v26
	v_dot4c_i32_i8 v162, v136, v143
	v_add_nc_u32_e32 v126, 0x2160, v26
	v_add_nc_u32_e32 v166, 0x41c8, v26
	;; [unrolled: 1-line block ×3, first 2 shown]
	ds_read2_b32 v[135:136], v135 offset1:1
	v_dot4c_i32_i8 v162, v137, v144
	v_cvt_f32_i32_e32 v137, v155
	v_cvt_f32_i32_e32 v155, v125
	ds_read2_b32 v[125:126], v126 offset1:1
	s_waitcnt lgkmcnt(7)
	v_dot4c_i32_i8 v165, v140, v147
	v_dot4c_i32_i8 v162, v163, v145
	v_fmac_f32_e32 v142, v134, v137
	v_add_nc_u32_e32 v137, 0x2168, v26
	v_add_nc_u32_e32 v140, 0x41d8, v26
	v_dot4c_i32_i8 v165, v141, v148
	v_dot4c_i32_i8 v162, v164, v146
	v_fmac_f32_e32 v173, v132, v155
	s_waitcnt lgkmcnt(3)
	v_bfe_i32 v163, v158, 8, 8
	v_bfe_i32 v164, v159, 8, 8
	v_dot4c_i32_i8 v165, v138, v149
	ds_read2_b32 v[137:138], v137 offset1:1
	ds_read2_b32 v[140:141], v140 offset1:1
	v_add_nc_u32_e32 v155, 0x41e0, v26
	v_mul_lo_u32 v124, v124, v163
	v_mov_b32_e32 v178, 0
	s_waitcnt lgkmcnt(3)
	v_dot4c_i32_i8 v176, v135, v151
	v_mul_lo_u32 v135, v162, v164
	v_bfe_i32 v162, v158, 0, 8
	v_dot4c_i32_i8 v165, v139, v150
	v_bfe_i32 v139, v159, 0, 8
	s_waitcnt lgkmcnt(2)
	v_dot4c_i32_i8 v177, v125, v127
	v_dot4c_i32_i8 v176, v136, v152
	v_mad_u64_u32 v[123:124], null, v123, v162, v[124:125]
	v_add_nc_u32_e32 v124, 0x41d0, v26
	v_add_nc_u32_e32 v125, 0x41f0, v26
	v_mad_u64_u32 v[135:136], null, v165, v139, v[135:136]
	v_dot4c_i32_i8 v177, v126, v128
	v_dot4c_i32_i8 v176, v160, v153
	v_cvt_f32_i32_e32 v139, v123
	ds_read2_b32 v[123:124], v124 offset1:1
	ds_read2_b32 v[125:126], v125 offset1:1
	v_add_nc_u32_e32 v160, 0x41c0, v26
	s_waitcnt lgkmcnt(3)
	v_dot4c_i32_i8 v177, v137, v129
	v_cvt_f32_i32_e32 v137, v135
	v_add_nc_u32_e32 v135, 0x41e8, v26
	ds_read2_b32 v[135:136], v135 offset1:1
	ds_read2_b32 v[162:163], v155 offset1:1
	;; [unrolled: 1-line block ×5, first 2 shown]
	v_dot4c_i32_i8 v177, v138, v130
	v_fma_f32 v138, v131, v139, 0
	v_mov_b32_e32 v139, 0
	v_bfe_i32 v155, v158, 16, 8
	v_ashrrev_i32_e32 v158, 24, v158
	v_dot4c_i32_i8 v176, v161, v154
	v_mov_b32_e32 v161, 0
	v_bfe_i32 v160, v159, 16, 8
	v_ashrrev_i32_e32 v159, 24, v159
	v_mul_lo_u32 v116, v116, v158
	s_waitcnt lgkmcnt(5)
	v_dot4c_i32_i8 v139, v125, v151
	v_mov_b32_e32 v151, 0
	v_fma_f32 v137, v133, v137, 0
	v_fmac_f32_e32 v6, v174, v173
	v_fmac_f32_e32 v4, v117, v170
	v_dot4c_i32_i8 v139, v126, v152
	v_dot4c_i32_i8 v151, v123, v143
	s_waitcnt lgkmcnt(2)
	v_dot4c_i32_i8 v178, v164, v147
	v_dot4c_i32_i8 v161, v162, v127
	v_ashrrev_i32_e32 v127, 24, v157
	s_waitcnt lgkmcnt(0)
	v_dot4c_i32_i8 v139, v168, v153
	v_dot4c_i32_i8 v151, v124, v144
	v_mad_u64_u32 v[124:125], null, v118, v155, v[116:117]
	v_bfe_i32 v116, v156, 8, 8
	v_dot4c_i32_i8 v178, v165, v148
	v_dot4c_i32_i8 v151, v140, v145
	v_bfe_i32 v118, v157, 8, 8
	v_bfe_i32 v125, v156, 0, 8
	v_mul_lo_u32 v116, v121, v116
	v_ashrrev_i32_e32 v121, 24, v156
	v_dot4c_i32_i8 v151, v141, v146
	v_dot4c_i32_i8 v178, v166, v149
	;; [unrolled: 1-line block ×4, first 2 shown]
	v_mul_lo_u32 v120, v120, v121
	v_mul_lo_u32 v118, v151, v118
	v_mad_u64_u32 v[121:122], null, v122, v125, v[116:117]
	v_dot4c_i32_i8 v178, v167, v150
	v_bfe_i32 v126, v157, 0, 8
	v_dot4c_i32_i8 v161, v135, v129
	v_bfe_i32 v122, v156, 16, 8
	v_mul_lo_u32 v123, v176, v159
	v_mul_lo_u32 v116, v139, v127
	v_mad_u64_u32 v[125:126], null, v178, v126, v[118:119]
	v_dot4c_i32_i8 v161, v136, v130
	v_bfe_i32 v126, v157, 16, 8
	v_mad_u64_u32 v[118:119], null, v119, v122, v[120:121]
	v_cvt_f32_i32_e32 v122, v121
	v_mad_u64_u32 v[119:120], null, v177, v160, v[123:124]
	v_mad_u64_u32 v[120:121], null, v161, v126, v[116:117]
	v_cvt_f32_i32_e32 v116, v124
	v_cvt_f32_i32_e32 v121, v125
	v_fma_f32 v122, v131, v122, 0
	v_cvt_f32_i32_e32 v118, v118
	v_cvt_f32_i32_e32 v119, v119
	v_fmac_f32_e32 v138, v132, v116
	v_fma_f32 v116, v133, v121, 0
	v_cvt_f32_i32_e32 v120, v120
	v_fmac_f32_e32 v122, v132, v118
	v_fmac_f32_e32 v137, v134, v119
	;; [unrolled: 1-line block ×8, first 2 shown]
	s_barrier
	v_fmac_f32_e32 v99, v171, v116
	buffer_gl0_inv
.LBB195_5:                              ;   in Loop: Header=BB195_6 Depth=1
	v_add_co_u32 v36, s1, 0xd2, v36
	v_add_co_ci_u32_e64 v37, null, 0, v37, s1
	v_add_co_u32 v38, s1, 0xd2, v38
	v_add_co_ci_u32_e64 v39, null, 0, v39, s1
	;; [unrolled: 2-line block ×34, first 2 shown]
	v_add_co_u32 v105, s1, 0xd2, v105
	v_add_nc_u32_e32 v23, 8, v23
	v_add_nc_u32_e32 v21, 8, v21
	v_add_nc_u32_e32 v115, 8, v115
	v_add_co_ci_u32_e64 v106, null, 0, v106, s1
	s_add_i32 s17, s17, -1
	s_addk_i32 s4, 0x100
	s_cmp_eq_u32 s17, 0
	s_cbranch_scc1 .LBB195_17
.LBB195_6:                              ; =>This Inner Loop Header: Depth=1
	v_add_co_u32 v116, s1, v38, s12
	v_add_co_ci_u32_e64 v117, null, s18, v39, s1
	global_load_dword v118, v[116:117], off
	v_add_co_u32 v116, s1, v36, s12
	v_add_co_ci_u32_e64 v117, null, s18, v37, s1
	v_add_co_u32 v119, s1, v42, s12
	v_add_co_ci_u32_e64 v120, null, s18, v43, s1
	v_add_co_u32 v121, s1, v40, s12
	v_add_co_ci_u32_e64 v122, null, s18, v41, s1
	v_add_co_u32 v123, s1, v46, s12
	v_add_co_ci_u32_e64 v124, null, s18, v47, s1
	v_add_co_u32 v130, s1, v44, s12
	v_add_co_ci_u32_e64 v131, null, s18, v45, s1
	global_load_dword v129, v[116:117], off
	global_load_dword v127, v[119:120], off
	;; [unrolled: 1-line block ×5, first 2 shown]
	v_add_co_u32 v116, s1, v50, s12
	v_add_co_ci_u32_e64 v117, null, s18, v51, s1
	v_add_co_u32 v119, s1, v48, s12
	v_add_co_ci_u32_e64 v120, null, s18, v49, s1
	v_add_co_u32 v121, s1, v54, s12
	v_add_co_ci_u32_e64 v122, null, s18, v55, s1
	v_add_co_u32 v123, s1, v52, s12
	v_add_co_ci_u32_e64 v124, null, s18, v53, s1
	v_add_co_u32 v131, s1, v58, s12
	v_add_co_ci_u32_e64 v132, null, s18, v59, s1
	global_load_dword v142, v[116:117], off
	global_load_dword v143, v[119:120], off
	;; [unrolled: 1-line block ×5, first 2 shown]
	v_add_co_u32 v116, s1, v56, s12
	v_add_co_ci_u32_e64 v117, null, s18, v57, s1
	v_add_co_u32 v119, s1, v62, s12
	v_add_co_ci_u32_e64 v120, null, s18, v63, s1
	;; [unrolled: 2-line block ×3, first 2 shown]
	global_load_dword v163, v[116:117], off
	global_load_dword v164, v[119:120], off
	;; [unrolled: 1-line block ×3, first 2 shown]
	v_add_co_u32 v116, s1, v64, s12
	v_add_co_ci_u32_e64 v117, null, s18, v65, s1
	v_add_co_u32 v119, s1, v66, s12
	v_add_co_ci_u32_e64 v120, null, s18, v67, s1
	global_load_dword v117, v[116:117], off
	global_load_dword v116, v[119:120], off
	v_add_co_u32 v119, s1, v68, s12
	v_add_co_ci_u32_e64 v120, null, s18, v69, s1
	v_add_co_u32 v121, s1, v70, s12
	v_add_co_ci_u32_e64 v122, null, s18, v71, s1
	global_load_dword v139, v[119:120], off
	v_add_co_u32 v123, s1, v74, s12
	global_load_dword v138, v[121:122], off
	v_add_co_ci_u32_e64 v124, null, s18, v75, s1
	v_add_co_u32 v131, s1, v72, s12
	v_add_co_ci_u32_e64 v132, null, s18, v73, s1
	v_add_co_u32 v133, s1, v78, s12
	;; [unrolled: 2-line block ×5, first 2 shown]
	global_load_dword v137, v[131:132], off
	v_add_co_ci_u32_e64 v150, null, s18, v81, s1
	v_add_co_u32 v119, s1, v86, s12
	v_add_co_ci_u32_e64 v120, null, s18, v87, s1
	v_add_co_u32 v121, s1, v84, s12
	;; [unrolled: 2-line block ×8, first 2 shown]
	v_add_co_ci_u32_e64 v162, null, s18, v96, s1
	global_load_dword v136, v[123:124], off
	global_load_dword v134, v[133:134], off
	;; [unrolled: 1-line block ×13, first 2 shown]
	s_waitcnt vmcnt(31)
	v_and_b32_e32 v145, 0xf0f0f0f, v118
	v_lshrrev_b32_e32 v118, 4, v118
	v_and_b32_e32 v118, 0xf0f0f0f, v118
	s_waitcnt vmcnt(30)
	v_ashrrev_i32_e32 v129, v8, v129
	s_waitcnt vmcnt(29)
	v_and_b32_e32 v146, 0xf0f0f0f, v127
	v_lshrrev_b32_e32 v127, 4, v127
	s_waitcnt vmcnt(28)
	v_ashrrev_i32_e32 v128, v8, v128
	s_waitcnt vmcnt(27)
	v_and_b32_e32 v147, 0xf0f0f0f, v126
	v_lshrrev_b32_e32 v126, 4, v126
	s_waitcnt vmcnt(26)
	v_ashrrev_i32_e32 v130, v8, v130
	v_lshlrev_b32_e32 v155, 4, v129
	v_and_b32_e32 v127, 0xf0f0f0f, v127
	v_lshlrev_b32_e32 v156, 4, v128
	v_and_b32_e32 v126, 0xf0f0f0f, v126
	v_lshlrev_b32_e32 v157, 4, v130
	v_and_or_b32 v145, 0x30303030, v155, v145
	v_and_or_b32 v118, 0x30303030, v129, v118
	v_and_or_b32 v129, 0x30303030, v156, v146
	v_and_or_b32 v127, 0x30303030, v128, v127
	v_and_or_b32 v128, 0x30303030, v157, v147
	v_and_or_b32 v126, 0x30303030, v130, v126
	v_and_b32_e32 v155, 0x3f00, v127
	s_waitcnt vmcnt(25)
	v_and_b32_e32 v148, 0xf0f0f0f, v142
	v_lshrrev_b32_e32 v142, 4, v142
	s_waitcnt vmcnt(24)
	v_ashrrev_i32_e32 v143, v8, v143
	s_waitcnt vmcnt(23)
	v_and_b32_e32 v149, 0xf0f0f0f, v140
	v_lshrrev_b32_e32 v140, 4, v140
	s_waitcnt vmcnt(22)
	v_ashrrev_i32_e32 v141, v8, v141
	s_waitcnt vmcnt(21)
	v_and_b32_e32 v150, 0xf0f0f0f, v144
	v_lshrrev_b32_e32 v144, 4, v144
	v_and_b32_e32 v142, 0xf0f0f0f, v142
	v_lshlrev_b32_e32 v158, 4, v143
	v_and_b32_e32 v140, 0xf0f0f0f, v140
	v_lshlrev_b32_e32 v159, 4, v141
	v_and_b32_e32 v144, 0xf0f0f0f, v144
	v_and_or_b32 v142, 0x30303030, v143, v142
	v_and_or_b32 v130, 0x30303030, v158, v148
	;; [unrolled: 1-line block ×3, first 2 shown]
	s_waitcnt vmcnt(20)
	v_ashrrev_i32_e32 v151, v8, v163
	s_waitcnt vmcnt(19)
	v_lshrrev_b32_e32 v153, 4, v164
	s_waitcnt vmcnt(18)
	v_ashrrev_i32_e32 v154, v8, v165
	v_and_b32_e32 v152, 0xf0f0f0f, v164
	v_and_or_b32 v143, 0x30303030, v159, v149
	v_lshlrev_b32_e32 v160, 4, v151
	v_and_b32_e32 v153, 0xf0f0f0f, v153
	v_lshlrev_b32_e32 v161, 4, v154
	v_and_or_b32 v144, 0x30303030, v151, v144
	v_lshrrev_b32_e32 v148, 16, v145
	v_and_or_b32 v141, 0x30303030, v160, v150
	v_and_b32_e32 v149, 0x3f00, v145
	v_lshlrev_b16 v145, 8, v145
	v_lshrrev_b32_e32 v150, 16, v118
	v_and_or_b32 v146, 0x30303030, v161, v152
	v_and_or_b32 v147, 0x30303030, v154, v153
	v_and_b32_e32 v151, 0x3f00, v118
	v_lshlrev_b16 v118, 8, v118
	v_lshrrev_b32_e32 v152, 16, v129
	v_lshrrev_b32_e32 v154, 16, v127
	v_and_b32_e32 v153, 0x3f00, v129
	v_lshlrev_b16 v129, 8, v129
	v_lshrrev_b32_e32 v156, 16, v128
	v_lshrrev_b32_e32 v158, 16, v126
	v_lshlrev_b16 v127, 8, v127
	v_lshrrev_b32_e32 v160, 16, v130
	v_lshrrev_b32_e32 v162, 16, v142
	v_and_b32_e32 v157, 0x3f00, v128
	v_lshlrev_b16 v128, 8, v128
	v_lshrrev_b32_e32 v164, 16, v143
	v_lshrrev_b32_e32 v166, 16, v140
	v_and_b32_e32 v159, 0x3f00, v126
	v_lshlrev_b16 v126, 8, v126
	v_lshrrev_b32_e32 v168, 16, v141
	v_lshrrev_b32_e32 v170, 16, v144
	v_add_nc_u16 v145, 0xe000, v145
	v_and_b32_e32 v174, 0x3f00, v148
	v_lshlrev_b16 v148, 8, v148
	v_and_b32_e32 v175, 0x3f00, v150
	v_lshlrev_b16 v150, 8, v150
	v_add_nc_u16 v118, 0xe000, v118
	v_and_b32_e32 v176, 0x3f00, v152
	v_lshlrev_b16 v152, 8, v152
	v_and_b32_e32 v177, 0x3f00, v154
	v_lshlrev_b16 v154, 8, v154
	;; [unrolled: 5-line block ×6, first 2 shown]
	v_or_b32_sdwa v145, v149, v145 dst_sel:DWORD dst_unused:UNUSED_PAD src0_sel:DWORD src1_sel:BYTE_1
	v_add_nc_u16 v148, 0xe000, v148
	v_add_nc_u16 v149, 0xe000, v150
	v_or_b32_sdwa v118, v151, v118 dst_sel:DWORD dst_unused:UNUSED_PAD src0_sel:DWORD src1_sel:BYTE_1
	v_add_nc_u16 v150, 0xe000, v152
	v_add_nc_u16 v151, 0xe000, v154
	;; [unrolled: 3-line block ×3, first 2 shown]
	v_and_b32_e32 v161, 0x3f00, v130
	v_lshlrev_b16 v130, 8, v130
	v_and_b32_e32 v163, 0x3f00, v142
	v_lshlrev_b16 v142, 8, v142
	v_or_b32_sdwa v127, v155, v127 dst_sel:DWORD dst_unused:UNUSED_PAD src0_sel:DWORD src1_sel:BYTE_1
	v_add_nc_u16 v154, 0xe000, v160
	v_add_nc_u16 v155, 0xe000, v162
	v_and_b32_e32 v165, 0x3f00, v143
	v_lshlrev_b16 v143, 8, v143
	v_and_b32_e32 v167, 0x3f00, v140
	v_lshlrev_b16 v140, 8, v140
	v_or_b32_sdwa v128, v157, v128 dst_sel:DWORD dst_unused:UNUSED_PAD src0_sel:DWORD src1_sel:BYTE_1
	v_add_nc_u16 v156, 0xe000, v164
	v_add_nc_u16 v157, 0xe000, v166
	;; [unrolled: 7-line block ×3, first 2 shown]
	v_or_b32_sdwa v148, v174, v148 dst_sel:DWORD dst_unused:UNUSED_PAD src0_sel:DWORD src1_sel:BYTE_1
	v_or_b32_sdwa v149, v175, v149 dst_sel:DWORD dst_unused:UNUSED_PAD src0_sel:DWORD src1_sel:BYTE_1
	;; [unrolled: 1-line block ×6, first 2 shown]
	v_add_nc_u16 v130, 0xe000, v130
	v_add_nc_u16 v142, 0xe000, v142
	v_or_b32_sdwa v154, v180, v154 dst_sel:DWORD dst_unused:UNUSED_PAD src0_sel:DWORD src1_sel:BYTE_1
	v_or_b32_sdwa v155, v181, v155 dst_sel:DWORD dst_unused:UNUSED_PAD src0_sel:DWORD src1_sel:BYTE_1
	v_add_nc_u16 v143, 0xe000, v143
	v_add_nc_u16 v140, 0xe000, v140
	v_or_b32_sdwa v156, v182, v156 dst_sel:DWORD dst_unused:UNUSED_PAD src0_sel:DWORD src1_sel:BYTE_1
	v_or_b32_sdwa v157, v183, v157 dst_sel:DWORD dst_unused:UNUSED_PAD src0_sel:DWORD src1_sel:BYTE_1
	;; [unrolled: 4-line block ×3, first 2 shown]
	v_add_nc_u16 v148, 0xe000, v148
	v_add_nc_u16 v149, 0xe000, v149
	;; [unrolled: 1-line block ×6, first 2 shown]
	v_or_b32_sdwa v130, v161, v130 dst_sel:DWORD dst_unused:UNUSED_PAD src0_sel:DWORD src1_sel:BYTE_1
	v_or_b32_sdwa v142, v163, v142 dst_sel:DWORD dst_unused:UNUSED_PAD src0_sel:DWORD src1_sel:BYTE_1
	v_add_nc_u16 v154, 0xe000, v154
	v_add_nc_u16 v155, 0xe000, v155
	v_or_b32_sdwa v143, v165, v143 dst_sel:DWORD dst_unused:UNUSED_PAD src0_sel:DWORD src1_sel:BYTE_1
	v_or_b32_sdwa v140, v167, v140 dst_sel:DWORD dst_unused:UNUSED_PAD src0_sel:DWORD src1_sel:BYTE_1
	v_add_nc_u16 v156, 0xe000, v156
	v_add_nc_u16 v157, 0xe000, v157
	;; [unrolled: 4-line block ×3, first 2 shown]
	v_add_nc_u16 v158, 0xe000, v158
	v_add_nc_u16 v159, 0xe000, v159
	v_lshlrev_b32_e32 v148, 16, v148
	v_lshlrev_b32_e32 v149, 16, v149
	v_add_nc_u16 v129, 0xe000, v129
	v_add_nc_u16 v127, 0xe000, v127
	v_lshlrev_b32_e32 v150, 16, v150
	v_lshlrev_b32_e32 v151, 16, v151
	;; [unrolled: 4-line block ×6, first 2 shown]
	v_or_b32_sdwa v145, v145, v148 dst_sel:DWORD dst_unused:UNUSED_PAD src0_sel:WORD_0 src1_sel:DWORD
	v_or_b32_sdwa v118, v118, v149 dst_sel:DWORD dst_unused:UNUSED_PAD src0_sel:WORD_0 src1_sel:DWORD
	;; [unrolled: 1-line block ×12, first 2 shown]
	ds_write2_b32 v7, v145, v118 offset1:16
	ds_write2_b32 v107, v129, v127 offset0:8 offset1:24
	ds_write2_b32 v108, v128, v126 offset0:16 offset1:32
	;; [unrolled: 1-line block ×5, first 2 shown]
	v_add_co_u32 v126, s1, v100, s12
	v_lshlrev_b16 v118, 8, v147
	v_add_co_ci_u32_e64 v127, null, s18, v101, s1
	s_waitcnt vmcnt(17)
	v_ashrrev_i32_e32 v143, v8, v117
	v_add_co_u32 v117, s1, v103, s12
	v_add_nc_u16 v141, 0xe000, v118
	global_load_ushort v144, v[126:127], off
	v_add_co_ci_u32_e64 v118, null, s18, v104, s1
	v_add_co_u32 v126, s1, v105, s12
	v_add_co_ci_u32_e64 v127, null, s18, v106, s1
	global_load_dword v117, v[117:118], off
	global_load_dword v118, v[126:127], off
	v_lshrrev_b32_e32 v172, 16, v146
	v_and_b32_e32 v173, 0x3f00, v146
	v_lshlrev_b16 v146, 8, v146
	v_lshrrev_b32_e32 v130, 16, v147
	s_waitcnt vmcnt(19)
	v_and_b32_e32 v145, 0xf0f0f0f, v116
	v_and_b32_e32 v186, 0x3f00, v172
	v_lshlrev_b16 v172, 8, v172
	v_add_nc_u16 v146, 0xe000, v146
	v_lshlrev_b16 v142, 8, v130
	v_and_b32_e32 v130, 0x3f00, v130
	v_lshrrev_b32_e32 v116, 4, v116
	v_add_nc_u16 v160, 0xe000, v172
	v_or_b32_sdwa v128, v173, v146 dst_sel:DWORD dst_unused:UNUSED_PAD src0_sel:DWORD src1_sel:BYTE_1
	v_lshlrev_b32_e32 v146, 4, v143
	v_add_nc_u16 v126, 0xe000, v142
	v_and_b32_e32 v140, 0x3f00, v147
	v_or_b32_sdwa v160, v186, v160 dst_sel:DWORD dst_unused:UNUSED_PAD src0_sel:DWORD src1_sel:BYTE_1
	v_and_b32_e32 v116, 0xf0f0f0f, v116
	v_and_or_b32 v127, 0x30303030, v146, v145
	v_or_b32_sdwa v126, v130, v126 dst_sel:DWORD dst_unused:UNUSED_PAD src0_sel:DWORD src1_sel:BYTE_1
	v_add_nc_u16 v128, 0xe000, v128
	v_add_nc_u16 v129, 0xe000, v160
	v_or_b32_sdwa v140, v140, v141 dst_sel:DWORD dst_unused:UNUSED_PAD src0_sel:DWORD src1_sel:BYTE_1
	v_lshrrev_b32_e32 v130, 16, v127
	v_lshlrev_b16 v141, 8, v127
	v_and_or_b32 v116, 0x30303030, v143, v116
	v_lshlrev_b32_e32 v129, 16, v129
	v_add_nc_u16 v126, 0xe000, v126
	v_lshlrev_b16 v142, 8, v130
	v_and_b32_e32 v130, 0x3f00, v130
	v_and_b32_e32 v127, 0x3f00, v127
	v_add_nc_u16 v141, 0xe000, v141
	v_or_b32_sdwa v128, v128, v129 dst_sel:DWORD dst_unused:UNUSED_PAD src0_sel:WORD_0 src1_sel:DWORD
	v_add_nc_u16 v142, 0xe000, v142
	v_add_nc_u16 v140, 0xe000, v140
	v_lshlrev_b32_e32 v126, 16, v126
	v_or_b32_sdwa v127, v127, v141 dst_sel:DWORD dst_unused:UNUSED_PAD src0_sel:DWORD src1_sel:BYTE_1
	s_waitcnt vmcnt(18)
	v_ashrrev_i32_e32 v139, v8, v139
	v_or_b32_sdwa v129, v130, v142 dst_sel:DWORD dst_unused:UNUSED_PAD src0_sel:DWORD src1_sel:BYTE_1
	v_lshrrev_b32_e32 v130, 16, v116
	v_or_b32_sdwa v126, v140, v126 dst_sel:DWORD dst_unused:UNUSED_PAD src0_sel:WORD_0 src1_sel:DWORD
	v_lshlrev_b16 v140, 8, v116
	v_add_nc_u16 v127, 0xe000, v127
	v_add_nc_u16 v129, 0xe000, v129
	v_lshlrev_b16 v141, 8, v130
	v_and_b32_e32 v130, 0x3f00, v130
	v_and_b32_e32 v116, 0x3f00, v116
	v_add_nc_u16 v140, 0xe000, v140
	s_waitcnt vmcnt(17)
	v_and_b32_e32 v142, 0xf0f0f0f, v138
	v_add_nc_u16 v141, 0xe000, v141
	v_lshlrev_b32_e32 v143, 4, v139
	v_lshlrev_b32_e32 v129, 16, v129
	ds_write2_b32 v9, v128, v126 offset1:16
	v_or_b32_sdwa v116, v116, v140 dst_sel:DWORD dst_unused:UNUSED_PAD src0_sel:DWORD src1_sel:BYTE_1
	v_or_b32_sdwa v126, v130, v141 dst_sel:DWORD dst_unused:UNUSED_PAD src0_sel:DWORD src1_sel:BYTE_1
	v_and_or_b32 v128, 0x30303030, v143, v142
	v_or_b32_sdwa v127, v127, v129 dst_sel:DWORD dst_unused:UNUSED_PAD src0_sel:WORD_0 src1_sel:DWORD
	v_lshrrev_b32_e32 v129, 4, v138
	v_add_nc_u16 v116, 0xe000, v116
	v_add_nc_u16 v126, 0xe000, v126
	v_lshrrev_b32_e32 v130, 16, v128
	v_lshlrev_b16 v138, 8, v128
	v_and_b32_e32 v129, 0xf0f0f0f, v129
	v_and_b32_e32 v128, 0x3f00, v128
	v_lshlrev_b32_e32 v126, 16, v126
	v_lshlrev_b16 v140, 8, v130
	v_add_nc_u16 v138, 0xe000, v138
	v_and_or_b32 v129, 0x30303030, v139, v129
	s_waitcnt vmcnt(13)
	v_ashrrev_i32_e32 v135, v8, v135
	v_or_b32_sdwa v116, v116, v126 dst_sel:DWORD dst_unused:UNUSED_PAD src0_sel:WORD_0 src1_sel:DWORD
	v_and_b32_e32 v126, 0x3f00, v130
	v_add_nc_u16 v130, 0xe000, v140
	v_or_b32_sdwa v128, v128, v138 dst_sel:DWORD dst_unused:UNUSED_PAD src0_sel:DWORD src1_sel:BYTE_1
	v_lshrrev_b32_e32 v138, 16, v129
	ds_write2_b32 v112, v127, v116 offset0:8 offset1:24
	v_ashrrev_i32_e32 v116, v8, v137
	v_or_b32_sdwa v126, v126, v130 dst_sel:DWORD dst_unused:UNUSED_PAD src0_sel:DWORD src1_sel:BYTE_1
	v_add_nc_u16 v127, 0xe000, v128
	v_lshlrev_b16 v128, 8, v138
	v_and_b32_e32 v130, 0xf0f0f0f, v136
	v_lshlrev_b32_e32 v137, 4, v116
	v_lshlrev_b16 v139, 8, v129
	v_and_b32_e32 v138, 0x3f00, v138
	v_add_nc_u16 v128, 0xe000, v128
	v_and_b32_e32 v129, 0x3f00, v129
	v_and_or_b32 v130, 0x30303030, v137, v130
	v_add_nc_u16 v137, 0xe000, v139
	v_lshrrev_b32_e32 v136, 4, v136
	v_or_b32_sdwa v128, v138, v128 dst_sel:DWORD dst_unused:UNUSED_PAD src0_sel:DWORD src1_sel:BYTE_1
	v_add_nc_u16 v126, 0xe000, v126
	v_lshrrev_b32_e32 v138, 16, v130
	v_or_b32_sdwa v129, v129, v137 dst_sel:DWORD dst_unused:UNUSED_PAD src0_sel:DWORD src1_sel:BYTE_1
	v_lshlrev_b16 v137, 8, v130
	v_and_b32_e32 v136, 0xf0f0f0f, v136
	v_add_nc_u16 v128, 0xe000, v128
	v_lshlrev_b16 v139, 8, v138
	v_and_b32_e32 v130, 0x3f00, v130
	v_add_nc_u16 v137, 0xe000, v137
	v_and_or_b32 v116, 0x30303030, v116, v136
	v_lshlrev_b32_e32 v126, 16, v126
	v_and_b32_e32 v138, 0x3f00, v138
	v_add_nc_u16 v139, 0xe000, v139
	v_add_nc_u16 v129, 0xe000, v129
	v_lshlrev_b32_e32 v128, 16, v128
	v_or_b32_sdwa v130, v130, v137 dst_sel:DWORD dst_unused:UNUSED_PAD src0_sel:DWORD src1_sel:BYTE_1
	v_lshrrev_b32_e32 v137, 16, v116
	v_or_b32_sdwa v136, v138, v139 dst_sel:DWORD dst_unused:UNUSED_PAD src0_sel:DWORD src1_sel:BYTE_1
	v_or_b32_sdwa v126, v127, v126 dst_sel:DWORD dst_unused:UNUSED_PAD src0_sel:WORD_0 src1_sel:DWORD
	v_or_b32_sdwa v127, v129, v128 dst_sel:DWORD dst_unused:UNUSED_PAD src0_sel:WORD_0 src1_sel:DWORD
	v_add_nc_u16 v128, 0xe000, v130
	v_lshlrev_b16 v130, 8, v137
	v_add_nc_u16 v129, 0xe000, v136
	v_lshlrev_b16 v136, 8, v116
	v_and_b32_e32 v137, 0x3f00, v137
	v_and_b32_e32 v116, 0x3f00, v116
	v_add_nc_u16 v130, 0xe000, v130
	v_and_b32_e32 v138, 0xf0f0f0f, v134
	v_add_nc_u16 v136, 0xe000, v136
	v_lshlrev_b32_e32 v139, 4, v135
	v_lshlrev_b32_e32 v129, 16, v129
	v_or_b32_sdwa v130, v137, v130 dst_sel:DWORD dst_unused:UNUSED_PAD src0_sel:DWORD src1_sel:BYTE_1
	v_lshrrev_b32_e32 v134, 4, v134
	v_or_b32_sdwa v116, v116, v136 dst_sel:DWORD dst_unused:UNUSED_PAD src0_sel:DWORD src1_sel:BYTE_1
	v_and_or_b32 v136, 0x30303030, v139, v138
	v_or_b32_sdwa v128, v128, v129 dst_sel:DWORD dst_unused:UNUSED_PAD src0_sel:WORD_0 src1_sel:DWORD
	v_add_nc_u16 v129, 0xe000, v130
	v_and_b32_e32 v130, 0xf0f0f0f, v134
	v_add_nc_u16 v116, 0xe000, v116
	v_lshrrev_b32_e32 v134, 16, v136
	v_lshlrev_b16 v137, 8, v136
	v_lshlrev_b32_e32 v129, 16, v129
	v_and_or_b32 v130, 0x30303030, v135, v130
	v_and_b32_e32 v136, 0x3f00, v136
	v_lshlrev_b16 v135, 8, v134
	v_add_nc_u16 v137, 0xe000, v137
	v_or_b32_sdwa v116, v116, v129 dst_sel:DWORD dst_unused:UNUSED_PAD src0_sel:WORD_0 src1_sel:DWORD
	v_and_b32_e32 v129, 0x3f00, v134
	v_lshrrev_b32_e32 v134, 16, v130
	v_add_nc_u16 v135, 0xe000, v135
	ds_write2_b32 v113, v126, v127 offset0:16 offset1:32
	ds_write2_b32 v114, v128, v116 offset0:24 offset1:40
	v_lshlrev_b16 v128, 8, v130
	s_waitcnt vmcnt(11)
	v_ashrrev_i32_e32 v133, v8, v133
	v_lshlrev_b16 v116, 8, v134
	v_or_b32_sdwa v126, v129, v135 dst_sel:DWORD dst_unused:UNUSED_PAD src0_sel:DWORD src1_sel:BYTE_1
	v_and_b32_e32 v129, 0x3f00, v134
	v_or_b32_sdwa v136, v136, v137 dst_sel:DWORD dst_unused:UNUSED_PAD src0_sel:DWORD src1_sel:BYTE_1
	v_and_b32_e32 v130, 0x3f00, v130
	v_add_nc_u16 v116, 0xe000, v116
	v_add_nc_u16 v126, 0xe000, v126
	;; [unrolled: 1-line block ×3, first 2 shown]
	v_lshlrev_b32_e32 v134, 4, v133
	v_add_nc_u16 v127, 0xe000, v136
	v_or_b32_sdwa v116, v129, v116 dst_sel:DWORD dst_unused:UNUSED_PAD src0_sel:DWORD src1_sel:BYTE_1
	v_and_b32_e32 v129, 0xf0f0f0f, v132
	v_lshrrev_b32_e32 v132, 4, v132
	v_or_b32_sdwa v128, v130, v128 dst_sel:DWORD dst_unused:UNUSED_PAD src0_sel:DWORD src1_sel:BYTE_1
	v_lshlrev_b32_e32 v126, 16, v126
	v_add_nc_u16 v116, 0xe000, v116
	v_and_or_b32 v129, 0x30303030, v134, v129
	v_and_b32_e32 v130, 0xf0f0f0f, v132
	v_add_nc_u16 v128, 0xe000, v128
	v_or_b32_sdwa v126, v127, v126 dst_sel:DWORD dst_unused:UNUSED_PAD src0_sel:WORD_0 src1_sel:DWORD
	v_lshlrev_b32_e32 v116, 16, v116
	v_lshlrev_b16 v132, 8, v129
	v_and_or_b32 v127, 0x30303030, v133, v130
	v_lshrrev_b32_e32 v130, 16, v129
	s_waitcnt vmcnt(7)
	v_ashrrev_i32_e32 v124, v8, v124
	v_or_b32_sdwa v116, v128, v116 dst_sel:DWORD dst_unused:UNUSED_PAD src0_sel:WORD_0 src1_sel:DWORD
	v_and_b32_e32 v128, 0x3f00, v129
	v_lshrrev_b32_e32 v129, 16, v127
	v_lshlrev_b16 v133, 8, v130
	v_add_nc_u16 v132, 0xe000, v132
	ds_write2_b32 v10, v126, v116 offset1:16
	v_and_b32_e32 v116, 0x3f00, v130
	v_lshlrev_b16 v126, 8, v129
	v_add_nc_u16 v130, 0xe000, v133
	v_or_b32_sdwa v128, v128, v132 dst_sel:DWORD dst_unused:UNUSED_PAD src0_sel:DWORD src1_sel:BYTE_1
	v_lshlrev_b16 v132, 8, v127
	v_and_b32_e32 v129, 0x3f00, v129
	v_add_nc_u16 v126, 0xe000, v126
	v_or_b32_sdwa v116, v116, v130 dst_sel:DWORD dst_unused:UNUSED_PAD src0_sel:DWORD src1_sel:BYTE_1
	v_ashrrev_i32_e32 v130, v8, v131
	v_and_b32_e32 v127, 0x3f00, v127
	v_add_nc_u16 v131, 0xe000, v132
	v_or_b32_sdwa v126, v129, v126 dst_sel:DWORD dst_unused:UNUSED_PAD src0_sel:DWORD src1_sel:BYTE_1
	v_and_b32_e32 v129, 0xf0f0f0f, v125
	v_lshlrev_b32_e32 v132, 4, v130
	v_add_nc_u16 v116, 0xe000, v116
	v_or_b32_sdwa v127, v127, v131 dst_sel:DWORD dst_unused:UNUSED_PAD src0_sel:DWORD src1_sel:BYTE_1
	v_add_nc_u16 v126, 0xe000, v126
	v_lshrrev_b32_e32 v125, 4, v125
	v_and_or_b32 v129, 0x30303030, v132, v129
	v_add_nc_u16 v128, 0xe000, v128
	v_lshlrev_b32_e32 v116, 16, v116
	v_add_nc_u16 v127, 0xe000, v127
	v_lshlrev_b32_e32 v126, 16, v126
	v_lshrrev_b32_e32 v131, 16, v129
	v_and_b32_e32 v125, 0xf0f0f0f, v125
	v_or_b32_sdwa v116, v128, v116 dst_sel:DWORD dst_unused:UNUSED_PAD src0_sel:WORD_0 src1_sel:DWORD
	v_lshlrev_b16 v128, 8, v129
	v_or_b32_sdwa v126, v127, v126 dst_sel:DWORD dst_unused:UNUSED_PAD src0_sel:WORD_0 src1_sel:DWORD
	v_lshlrev_b16 v127, 8, v131
	v_and_or_b32 v125, 0x30303030, v130, v125
	v_and_b32_e32 v129, 0x3f00, v129
	v_add_nc_u16 v128, 0xe000, v128
	v_and_b32_e32 v130, 0x3f00, v131
	v_add_nc_u16 v127, 0xe000, v127
	ds_write2_b32 v11, v116, v126 offset1:16
	v_lshrrev_b32_e32 v116, 16, v125
	v_or_b32_sdwa v126, v129, v128 dst_sel:DWORD dst_unused:UNUSED_PAD src0_sel:DWORD src1_sel:BYTE_1
	v_lshlrev_b16 v128, 8, v125
	v_or_b32_sdwa v127, v130, v127 dst_sel:DWORD dst_unused:UNUSED_PAD src0_sel:DWORD src1_sel:BYTE_1
	v_and_b32_e32 v130, 0xf0f0f0f, v123
	v_lshlrev_b16 v129, 8, v116
	v_lshlrev_b32_e32 v131, 4, v124
	v_and_b32_e32 v125, 0x3f00, v125
	v_add_nc_u16 v128, 0xe000, v128
	v_and_b32_e32 v116, 0x3f00, v116
	v_add_nc_u16 v129, 0xe000, v129
	v_and_or_b32 v130, 0x30303030, v131, v130
	v_lshrrev_b32_e32 v123, 4, v123
	v_or_b32_sdwa v125, v125, v128 dst_sel:DWORD dst_unused:UNUSED_PAD src0_sel:DWORD src1_sel:BYTE_1
	v_add_nc_u16 v127, 0xe000, v127
	v_or_b32_sdwa v116, v116, v129 dst_sel:DWORD dst_unused:UNUSED_PAD src0_sel:DWORD src1_sel:BYTE_1
	v_lshrrev_b32_e32 v128, 16, v130
	v_and_b32_e32 v123, 0xf0f0f0f, v123
	v_add_nc_u16 v125, 0xe000, v125
	v_lshlrev_b16 v131, 8, v130
	v_add_nc_u16 v116, 0xe000, v116
	v_lshlrev_b16 v129, 8, v128
	v_and_b32_e32 v128, 0x3f00, v128
	v_and_or_b32 v123, 0x30303030, v124, v123
	v_add_nc_u16 v126, 0xe000, v126
	v_lshlrev_b32_e32 v116, 16, v116
	v_add_nc_u16 v129, 0xe000, v129
	v_lshlrev_b32_e32 v127, 16, v127
	v_and_b32_e32 v130, 0x3f00, v130
	v_add_nc_u16 v131, 0xe000, v131
	v_or_b32_sdwa v116, v125, v116 dst_sel:DWORD dst_unused:UNUSED_PAD src0_sel:WORD_0 src1_sel:DWORD
	v_or_b32_sdwa v124, v128, v129 dst_sel:DWORD dst_unused:UNUSED_PAD src0_sel:DWORD src1_sel:BYTE_1
	s_waitcnt vmcnt(5)
	v_ashrrev_i32_e32 v122, v8, v122
	v_lshrrev_b32_e32 v125, 16, v123
	v_or_b32_sdwa v126, v126, v127 dst_sel:DWORD dst_unused:UNUSED_PAD src0_sel:WORD_0 src1_sel:DWORD
	v_or_b32_sdwa v127, v130, v131 dst_sel:DWORD dst_unused:UNUSED_PAD src0_sel:DWORD src1_sel:BYTE_1
	v_add_nc_u16 v124, 0xe000, v124
	v_and_b32_e32 v128, 0xf0f0f0f, v121
	v_lshlrev_b32_e32 v129, 4, v122
	v_lshlrev_b16 v130, 8, v125
	v_add_nc_u16 v127, 0xe000, v127
	v_lshlrev_b32_e32 v124, 16, v124
	v_lshlrev_b16 v131, 8, v123
	v_and_b32_e32 v125, 0x3f00, v125
	v_and_or_b32 v128, 0x30303030, v129, v128
	v_add_nc_u16 v129, 0xe000, v130
	v_or_b32_sdwa v124, v127, v124 dst_sel:DWORD dst_unused:UNUSED_PAD src0_sel:WORD_0 src1_sel:DWORD
	v_and_b32_e32 v123, 0x3f00, v123
	v_add_nc_u16 v127, 0xe000, v131
	v_lshlrev_b16 v130, 8, v128
	v_or_b32_sdwa v125, v125, v129 dst_sel:DWORD dst_unused:UNUSED_PAD src0_sel:DWORD src1_sel:BYTE_1
	v_lshrrev_b32_e32 v129, 16, v128
	v_lshrrev_b32_e32 v121, 4, v121
	v_and_b32_e32 v128, 0x3f00, v128
	v_add_nc_u16 v130, 0xe000, v130
	v_or_b32_sdwa v123, v123, v127 dst_sel:DWORD dst_unused:UNUSED_PAD src0_sel:DWORD src1_sel:BYTE_1
	v_lshlrev_b16 v127, 8, v129
	v_and_b32_e32 v121, 0xf0f0f0f, v121
	v_add_nc_u16 v125, 0xe000, v125
	v_or_b32_sdwa v128, v128, v130 dst_sel:DWORD dst_unused:UNUSED_PAD src0_sel:DWORD src1_sel:BYTE_1
	v_and_b32_e32 v129, 0x3f00, v129
	v_add_nc_u16 v127, 0xe000, v127
	v_and_or_b32 v121, 0x30303030, v122, v121
	s_waitcnt vmcnt(3)
	v_ashrrev_i32_e32 v120, v8, v120
	v_lshrrev_b32_e32 v130, 4, v119
	v_add_nc_u16 v122, 0xe000, v123
	v_lshlrev_b32_e32 v123, 16, v125
	v_add_nc_u16 v125, 0xe000, v128
	v_or_b32_sdwa v127, v129, v127 dst_sel:DWORD dst_unused:UNUSED_PAD src0_sel:DWORD src1_sel:BYTE_1
	v_lshrrev_b32_e32 v128, 16, v121
	v_lshlrev_b16 v129, 8, v121
	v_and_b32_e32 v119, 0xf0f0f0f, v119
	v_lshlrev_b32_e32 v131, 4, v120
	v_and_b32_e32 v130, 0xf0f0f0f, v130
	v_and_b32_e32 v121, 0x3f00, v121
	v_add_nc_u16 v129, 0xe000, v129
	v_lshlrev_b16 v132, 8, v128
	v_and_or_b32 v119, 0x30303030, v131, v119
	v_and_or_b32 v120, 0x30303030, v120, v130
	v_and_b32_e32 v128, 0x3f00, v128
	v_or_b32_sdwa v121, v121, v129 dst_sel:DWORD dst_unused:UNUSED_PAD src0_sel:DWORD src1_sel:BYTE_1
	v_add_nc_u16 v129, 0xe000, v132
	v_lshrrev_b32_e32 v130, 16, v119
	v_lshrrev_b32_e32 v131, 16, v120
	v_and_b32_e32 v132, 0x3f00, v119
	v_lshlrev_b16 v119, 8, v119
	v_or_b32_sdwa v128, v128, v129 dst_sel:DWORD dst_unused:UNUSED_PAD src0_sel:DWORD src1_sel:BYTE_1
	v_lshlrev_b16 v129, 8, v130
	v_lshlrev_b16 v133, 8, v131
	v_and_b32_e32 v130, 0x3f00, v130
	v_lshlrev_b16 v134, 8, v120
	v_and_b32_e32 v131, 0x3f00, v131
	v_add_nc_u16 v129, 0xe000, v129
	v_add_nc_u16 v133, 0xe000, v133
	;; [unrolled: 1-line block ×3, first 2 shown]
	v_and_b32_e32 v120, 0x3f00, v120
	v_add_nc_u16 v127, 0xe000, v127
	v_or_b32_sdwa v129, v130, v129 dst_sel:DWORD dst_unused:UNUSED_PAD src0_sel:DWORD src1_sel:BYTE_1
	v_add_nc_u16 v130, 0xe000, v134
	v_or_b32_sdwa v131, v131, v133 dst_sel:DWORD dst_unused:UNUSED_PAD src0_sel:DWORD src1_sel:BYTE_1
	v_add_nc_u16 v128, 0xe000, v128
	v_or_b32_sdwa v119, v132, v119 dst_sel:DWORD dst_unused:UNUSED_PAD src0_sel:DWORD src1_sel:BYTE_1
	v_add_nc_u16 v129, 0xe000, v129
	v_or_b32_sdwa v120, v120, v130 dst_sel:DWORD dst_unused:UNUSED_PAD src0_sel:DWORD src1_sel:BYTE_1
	v_add_nc_u16 v130, 0xe000, v131
	v_lshlrev_b32_e32 v127, 16, v127
	v_add_nc_u16 v121, 0xe000, v121
	v_lshlrev_b32_e32 v128, 16, v128
	;; [unrolled: 2-line block ×4, first 2 shown]
	v_or_b32_sdwa v122, v122, v123 dst_sel:DWORD dst_unused:UNUSED_PAD src0_sel:WORD_0 src1_sel:DWORD
	ds_write2_b32 v12, v126, v116 offset1:16
	s_waitcnt vmcnt(2)
	v_cvt_f32_f16_e32 v116, v144
	v_or_b32_sdwa v123, v125, v127 dst_sel:DWORD dst_unused:UNUSED_PAD src0_sel:WORD_0 src1_sel:DWORD
	v_or_b32_sdwa v121, v121, v128 dst_sel:DWORD dst_unused:UNUSED_PAD src0_sel:WORD_0 src1_sel:DWORD
	s_add_i32 s1, s4, 0xffffff80
	v_or_b32_sdwa v119, v119, v129 dst_sel:DWORD dst_unused:UNUSED_PAD src0_sel:WORD_0 src1_sel:DWORD
	v_or_b32_sdwa v120, v120, v130 dst_sel:DWORD dst_unused:UNUSED_PAD src0_sel:WORD_0 src1_sel:DWORD
	s_cmp_lt_i32 s1, s13
	ds_write2_b32 v13, v124, v122 offset1:16
	ds_write2_b32 v14, v123, v121 offset1:16
	;; [unrolled: 1-line block ×3, first 2 shown]
	ds_write_b32 v16, v116
	s_waitcnt vmcnt(1)
	ds_write_b32 v17, v117
	s_waitcnt vmcnt(0)
	ds_write_b32 v18, v118
	s_cbranch_scc0 .LBB195_5
; %bb.7:                                ;   in Loop: Header=BB195_6 Depth=1
	v_cmp_gt_i32_e64 s1, s9, v21
	s_and_b32 s5, s0, s1
	s_and_saveexec_b32 s1, s5
	s_cbranch_execz .LBB195_9
; %bb.8:                                ;   in Loop: Header=BB195_6 Depth=1
	v_add_nc_u32_e32 v116, v34, v21
	v_mad_i64_i32 v[116:117], null, v116, 36, v[2:3]
	global_load_dword v116, v[116:117], off offset:4
	s_waitcnt vmcnt(0)
	ds_write_b32 v22, v116
.LBB195_9:                              ;   in Loop: Header=BB195_6 Depth=1
	s_or_b32 exec_lo, exec_lo, s1
	v_cmp_gt_i32_e64 s1, s9, v115
	s_and_b32 s5, s19, s1
	s_and_saveexec_b32 s1, s5
	s_cbranch_execz .LBB195_11
; %bb.10:                               ;   in Loop: Header=BB195_6 Depth=1
	v_add_nc_u32_e32 v116, v34, v115
	v_mad_i64_i32 v[116:117], null, v116, 36, s[6:7]
	global_load_dword v116, v[116:117], off
	v_add_nc_u32_e32 v117, v19, v24
	s_waitcnt vmcnt(0)
	v_cvt_f32_f16_e32 v116, v116
	ds_write_b32 v117, v116
.LBB195_11:                             ;   in Loop: Header=BB195_6 Depth=1
	s_or_b32 exec_lo, exec_lo, s1
	s_waitcnt lgkmcnt(0)
	s_barrier
	buffer_gl0_inv
	ds_read2_b32 v[116:117], v26 offset0:12 offset1:13
	ds_read_b128 v[127:130], v20 offset:48
	ds_read_b128 v[131:134], v20 offset:32
	ds_read2_b32 v[118:119], v26 offset0:4 offset1:5
	ds_read2_b32 v[120:121], v26 offset0:8 offset1:9
	ds_read_b128 v[135:138], v20 offset:16
	ds_read_b128 v[139:142], v20
	ds_read2_b32 v[122:123], v26 offset0:14 offset1:15
	ds_read2_b32 v[143:144], v26 offset0:10 offset1:11
	;; [unrolled: 1-line block ×4, first 2 shown]
	ds_read2_b32 v[149:150], v26 offset1:1
	v_mov_b32_e32 v126, 0
	v_add_nc_u32_e32 v124, 0x20b0, v26
	v_mov_b32_e32 v125, 0
	v_mov_b32_e32 v177, 0
	v_add_nc_u32_e32 v153, 0x2090, v26
	v_mov_b32_e32 v178, 0
	ds_read2_b32 v[151:152], v124 offset1:1
	v_add_nc_u32_e32 v124, 0x4118, v26
	v_add_nc_u32_e32 v165, 0x4138, v26
	s_waitcnt lgkmcnt(11)
	v_dot4c_i32_i8 v126, v116, v127
	v_add_nc_u32_e32 v116, 0x2088, v26
	v_mov_b32_e32 v179, 0
	s_waitcnt lgkmcnt(8)
	v_dot4c_i32_i8 v125, v120, v131
	s_waitcnt lgkmcnt(7)
	v_dot4c_i32_i8 v177, v118, v135
	v_dot4c_i32_i8 v126, v117, v128
	v_add_nc_u32_e32 v117, 0x2080, v26
	v_add_nc_u32_e32 v118, 0x20b8, v26
	v_dot4c_i32_i8 v125, v121, v132
	v_dot4c_i32_i8 v177, v119, v136
	s_waitcnt lgkmcnt(5)
	v_dot4c_i32_i8 v126, v122, v129
	ds_read2_b32 v[121:122], v153 offset1:1
	ds_read2_b32 v[153:154], v116 offset1:1
	;; [unrolled: 1-line block ×4, first 2 shown]
	v_mov_b32_e32 v116, 0
	s_waitcnt lgkmcnt(5)
	v_dot4c_i32_i8 v178, v149, v139
	v_add_nc_u32_e32 v119, 0x20a8, v26
	v_dot4c_i32_i8 v126, v123, v130
	v_dot4c_i32_i8 v125, v143, v133
	s_waitcnt lgkmcnt(4)
	v_dot4c_i32_i8 v116, v151, v127
	v_dot4c_i32_i8 v178, v150, v140
	v_add_nc_u32_e32 v123, 0x2098, v26
	v_add_nc_u32_e32 v120, 0x20a0, v26
	v_dot4c_i32_i8 v177, v145, v137
	v_dot4c_i32_i8 v116, v152, v128
	;; [unrolled: 1-line block ×3, first 2 shown]
	ds_read2_b32 v[149:150], v119 offset1:1
	ds_read2_b32 v[119:120], v120 offset1:1
	;; [unrolled: 1-line block ×3, first 2 shown]
	v_dot4c_i32_i8 v125, v144, v134
	ds_read2_b32 v[143:144], v123 offset1:1
	v_add_nc_u32_e32 v123, 0x4128, v26
	v_add_nc_u32_e32 v124, 0x4120, v26
	v_dot4c_i32_i8 v177, v146, v138
	v_dot4c_i32_i8 v178, v148, v142
	s_waitcnt lgkmcnt(4)
	v_dot4c_i32_i8 v116, v117, v129
	v_add_nc_u32_e32 v117, 0x4130, v26
	ds_read2_b32 v[145:146], v117 offset1:1
	ds_read2_b32 v[147:148], v123 offset1:1
	ds_read2_b32 v[151:152], v124 offset1:1
	v_dot4c_i32_i8 v116, v118, v130
	v_mov_b32_e32 v118, 0
	v_add_nc_u32_e32 v117, 0x4110, v26
	v_add_nc_u32_e32 v123, 0x4108, v26
	;; [unrolled: 1-line block ×3, first 2 shown]
	ds_read2_b32 v[159:160], v117 offset1:1
	ds_read2_b32 v[161:162], v123 offset1:1
	;; [unrolled: 1-line block ×4, first 2 shown]
	s_waitcnt lgkmcnt(9)
	v_dot4c_i32_i8 v118, v119, v131
	v_mov_b32_e32 v124, 0
	v_mov_b32_e32 v119, 0
	v_add_nc_u32_e32 v117, 0x6198, v26
	v_mov_b32_e32 v123, 0
	v_dot4c_i32_i8 v118, v120, v132
	v_dot4c_i32_i8 v124, v121, v135
	v_mov_b32_e32 v120, 0
	ds_read2_b32 v[167:168], v117 offset1:1
	ds_read_b32 v117, v33 offset:384
	v_mov_b32_e32 v121, 0
	s_waitcnt lgkmcnt(6)
	v_dot4c_i32_i8 v119, v151, v131
	v_dot4c_i32_i8 v124, v122, v136
	;; [unrolled: 1-line block ×3, first 2 shown]
	v_add_nc_u32_e32 v145, 0x61a0, v26
	v_dot4c_i32_i8 v123, v155, v139
	v_dot4c_i32_i8 v119, v152, v132
	;; [unrolled: 1-line block ×3, first 2 shown]
	v_add_nc_u32_e32 v143, 0x61b0, v26
	v_dot4c_i32_i8 v120, v146, v128
	s_waitcnt lgkmcnt(5)
	v_dot4c_i32_i8 v121, v159, v135
	v_dot4c_i32_i8 v119, v147, v133
	v_add_nc_u32_e32 v147, 0x6190, v26
	v_dot4c_i32_i8 v124, v144, v138
	v_mov_b32_e32 v122, 0
	v_dot4c_i32_i8 v118, v149, v133
	v_dot4c_i32_i8 v119, v148, v134
	ds_read2_b32 v[143:144], v143 offset1:1
	ds_read2_b32 v[145:146], v145 offset1:1
	;; [unrolled: 1-line block ×3, first 2 shown]
	v_dot4c_i32_i8 v123, v156, v140
	v_dot4c_i32_i8 v121, v160, v136
	s_waitcnt lgkmcnt(6)
	v_dot4c_i32_i8 v122, v163, v139
	v_add_nc_u32_e32 v149, 0x6188, v26
	v_mov_b32_e32 v180, 0
	v_mov_b32_e32 v181, 0
	v_dot4c_i32_i8 v118, v150, v134
	v_add_nc_u32_e32 v150, 0x6180, v26
	v_add_nc_u32_e32 v151, 0x61b8, v26
	v_dot4c_i32_i8 v123, v153, v141
	s_waitcnt lgkmcnt(5)
	v_dot4c_i32_i8 v120, v165, v129
	v_dot4c_i32_i8 v121, v157, v137
	;; [unrolled: 1-line block ×3, first 2 shown]
	ds_read2_b32 v[155:156], v149 offset1:1
	ds_read2_b32 v[159:160], v150 offset1:1
	;; [unrolled: 1-line block ×3, first 2 shown]
	v_add_nc_u32_e32 v149, 0x61a8, v26
	v_add_nc_u32_e32 v150, 0x61d8, v26
	v_dot4c_i32_i8 v123, v154, v142
	s_waitcnt lgkmcnt(5)
	v_dot4c_i32_i8 v179, v143, v127
	s_waitcnt lgkmcnt(4)
	;; [unrolled: 2-line block ×3, first 2 shown]
	v_dot4c_i32_i8 v181, v147, v135
	v_dot4c_i32_i8 v120, v166, v130
	ds_read2_b32 v[165:166], v149 offset1:1
	ds_read2_b32 v[169:170], v150 offset1:1
	v_dot4c_i32_i8 v121, v158, v138
	v_dot4c_i32_i8 v179, v144, v128
	;; [unrolled: 1-line block ×4, first 2 shown]
	ds_read_b128 v[143:146], v20 offset:80
	ds_read_b128 v[147:150], v20 offset:64
	ds_read2_b32 v[131:132], v26 offset0:20 offset1:21
	ds_read_b128 v[151:154], v20 offset:112
	ds_read2_b32 v[135:136], v26 offset0:30 offset1:31
	ds_read2_b32 v[157:158], v26 offset0:28 offset1:29
	ds_read2_b32 v[171:172], v26 offset0:22 offset1:23
	ds_read2_b32 v[173:174], v26 offset0:18 offset1:19
	ds_read2_b32 v[175:176], v26 offset0:16 offset1:17
	v_mov_b32_e32 v182, 0
	v_mov_b32_e32 v183, 0
	v_dot4c_i32_i8 v122, v161, v141
	v_dot4c_i32_i8 v181, v167, v137
	v_mov_b32_e32 v167, 0
	s_waitcnt lgkmcnt(12)
	v_dot4c_i32_i8 v182, v159, v139
	v_add_nc_u32_e32 v139, 0x61c0, v26
	s_waitcnt lgkmcnt(11)
	v_dot4c_i32_i8 v179, v163, v129
	v_dot4c_i32_i8 v181, v168, v138
	v_mov_b32_e32 v168, 0
	v_dot4c_i32_i8 v182, v160, v140
	v_dot4c_i32_i8 v122, v162, v142
	;; [unrolled: 1-line block ×3, first 2 shown]
	s_waitcnt lgkmcnt(6)
	v_dot4c_i32_i8 v167, v131, v143
	v_add_nc_u32_e32 v131, 0x61d0, v26
	v_dot4c_i32_i8 v180, v165, v133
	s_waitcnt lgkmcnt(3)
	v_dot4c_i32_i8 v168, v157, v151
	v_add_nc_u32_e32 v133, 0x61f0, v26
	v_dot4c_i32_i8 v167, v132, v144
	ds_read2_b32 v[131:132], v131 offset1:1
	ds_read2_b32 v[139:140], v139 offset1:1
	v_dot4c_i32_i8 v168, v158, v152
	v_dot4c_i32_i8 v180, v166, v134
	;; [unrolled: 1-line block ×3, first 2 shown]
	s_waitcnt lgkmcnt(2)
	v_dot4c_i32_i8 v183, v175, v147
	v_add_nc_u32_e32 v157, 0x61f8, v26
	v_dot4c_i32_i8 v168, v135, v153
	ds_read2_b32 v[134:135], v133 offset1:1
	v_add_nc_u32_e32 v133, 0x61c8, v26
	ds_read_b128 v[127:130], v20 offset:96
	ds_read2_b32 v[137:138], v26 offset0:26 offset1:27
	v_dot4c_i32_i8 v182, v156, v142
	v_dot4c_i32_i8 v167, v171, v145
	;; [unrolled: 1-line block ×3, first 2 shown]
	ds_read_b32 v171, v31 offset:256
	ds_read2_b32 v[141:142], v32 offset1:1
	ds_read2_b32 v[155:156], v133 offset1:1
	;; [unrolled: 1-line block ×3, first 2 shown]
	v_mov_b32_e32 v165, 0
	v_add_nc_u32_e32 v159, 0x61e0, v26
	v_dot4c_i32_i8 v167, v172, v146
	v_dot4c_i32_i8 v183, v173, v149
	v_mov_b32_e32 v173, 0
	s_waitcnt lgkmcnt(8)
	v_dot4c_i32_i8 v165, v131, v143
	v_mov_b32_e32 v172, 0
	ds_read2_b32 v[159:160], v159 offset1:1
	v_add_nc_u32_e32 v131, 0x61e8, v26
	s_waitcnt lgkmcnt(8)
	v_dot4c_i32_i8 v173, v139, v147
	v_dot4c_i32_i8 v165, v132, v144
	v_add_nc_u32_e32 v133, 0x20d8, v26
	s_waitcnt lgkmcnt(7)
	v_dot4c_i32_i8 v172, v134, v151
	ds_read2_b32 v[161:162], v131 offset1:1
	ds_read2_b32 v[163:164], v133 offset1:1
	v_dot4c_i32_i8 v173, v140, v148
	v_dot4c_i32_i8 v165, v169, v145
	;; [unrolled: 1-line block ×3, first 2 shown]
	s_waitcnt lgkmcnt(5)
	v_bfe_i32 v135, v141, 8, 8
	v_bfe_i32 v139, v142, 8, 8
	s_waitcnt lgkmcnt(4)
	v_dot4c_i32_i8 v173, v155, v149
	v_dot4c_i32_i8 v165, v170, v146
	ds_read_b128 v[131:134], v24 offset:36944
	v_mul_lo_u32 v135, v181, v135
	v_mov_b32_e32 v169, 0
	v_dot4c_i32_i8 v173, v156, v150
	ds_read2_b32 v[155:156], v25 offset1:1
	v_bfe_i32 v140, v141, 0, 8
	v_mul_lo_u32 v139, v165, v139
	s_waitcnt lgkmcnt(5)
	v_dot4c_i32_i8 v172, v157, v153
	s_waitcnt lgkmcnt(4)
	v_dot4c_i32_i8 v169, v159, v127
	v_bfe_i32 v157, v142, 0, 8
	v_mad_u64_u32 v[165:166], null, v182, v140, v[135:136]
	v_ashrrev_i32_e32 v135, 24, v141
	v_dot4c_i32_i8 v169, v160, v128
	ds_read2_b32 v[159:160], v26 offset0:24 offset1:25
	v_mad_u64_u32 v[139:140], null, v173, v157, v[139:140]
	v_mul_lo_u32 v135, v179, v135
	v_dot4c_i32_i8 v172, v158, v154
	v_cvt_f32_i32_e32 v140, v165
	v_ashrrev_i32_e32 v157, 24, v142
	v_bfe_i32 v141, v141, 16, 8
	s_waitcnt lgkmcnt(4)
	v_dot4c_i32_i8 v169, v161, v129
	v_cvt_f32_i32_e32 v158, v139
	s_waitcnt lgkmcnt(2)
	v_fma_f32 v170, v131, v140, 0
	v_mul_lo_u32 v139, v172, v157
	v_mad_u64_u32 v[140:141], null, v180, v141, v[135:136]
	s_waitcnt lgkmcnt(1)
	v_bfe_i32 v135, v155, 8, 8
	v_dot4c_i32_i8 v169, v162, v130
	v_bfe_i32 v141, v142, 16, 8
	v_mov_b32_e32 v161, 0
	v_bfe_i32 v157, v156, 8, 8
	v_mul_lo_u32 v135, v177, v135
	v_fma_f32 v172, v133, v158, 0
	v_mad_u64_u32 v[141:142], null, v169, v141, v[139:140]
	v_cvt_f32_i32_e32 v142, v140
	v_bfe_i32 v140, v155, 0, 8
	s_waitcnt lgkmcnt(0)
	v_dot4c_i32_i8 v161, v159, v127
	v_mul_lo_u32 v139, v167, v157
	v_dot4c_i32_i8 v168, v136, v154
	v_dot4c_i32_i8 v183, v174, v150
	v_mad_u64_u32 v[157:158], null, v178, v140, v[135:136]
	v_dot4c_i32_i8 v161, v160, v128
	v_cvt_f32_i32_e32 v135, v141
	v_ashrrev_i32_e32 v136, 24, v156
	v_bfe_i32 v159, v156, 0, 8
	v_bfe_i32 v156, v156, 16, 8
	v_dot4c_i32_i8 v161, v137, v129
	v_fmac_f32_e32 v172, v134, v135
	v_cvt_f32_i32_e32 v135, v157
	v_add_nc_u32_e32 v137, 0x20d0, v26
	v_mad_u64_u32 v[139:140], null, v183, v159, v[139:140]
	v_dot4c_i32_i8 v161, v138, v130
	v_fma_f32 v173, v131, v135, 0
	v_mul_lo_u32 v135, v168, v136
	ds_read2_b32 v[136:137], v137 offset1:1
	v_ashrrev_i32_e32 v138, 24, v155
	v_bfe_i32 v157, v155, 16, 8
	v_fmac_f32_e32 v170, v132, v142
	v_cvt_f32_i32_e32 v142, v139
	v_add_nc_u32_e32 v139, 0x20c8, v26
	v_mul_lo_u32 v126, v126, v138
	v_add_nc_u32_e32 v140, 0x20c0, v26
	ds_read2_b32 v[138:139], v139 offset1:1
	ds_read2_b32 v[140:141], v140 offset1:1
	v_mov_b32_e32 v162, 0
	v_mov_b32_e32 v165, 0
	v_mad_u64_u32 v[125:126], null, v125, v157, v[126:127]
	v_add_nc_u32_e32 v126, 0x20f8, v26
	v_fma_f32 v142, v133, v142, 0
	v_mov_b32_e32 v176, 0
	v_mov_b32_e32 v177, 0
	s_waitcnt lgkmcnt(2)
	v_mad_u64_u32 v[155:156], null, v161, v156, v[135:136]
	ds_read_b32 v174, v27
	ds_read_b32 v175, v29 offset:128
	ds_read2_b32 v[156:157], v30 offset1:1
	ds_read2_b32 v[158:159], v28 offset1:1
	;; [unrolled: 1-line block ×3, first 2 shown]
	v_add_nc_u32_e32 v135, 0x20f0, v26
	v_dot4c_i32_i8 v162, v136, v143
	v_add_nc_u32_e32 v126, 0x20e0, v26
	v_add_nc_u32_e32 v166, 0x4148, v26
	;; [unrolled: 1-line block ×3, first 2 shown]
	ds_read2_b32 v[135:136], v135 offset1:1
	v_dot4c_i32_i8 v162, v137, v144
	v_cvt_f32_i32_e32 v137, v155
	v_cvt_f32_i32_e32 v155, v125
	ds_read2_b32 v[125:126], v126 offset1:1
	s_waitcnt lgkmcnt(7)
	v_dot4c_i32_i8 v165, v140, v147
	v_dot4c_i32_i8 v162, v163, v145
	v_fmac_f32_e32 v142, v134, v137
	v_add_nc_u32_e32 v137, 0x20e8, v26
	v_add_nc_u32_e32 v140, 0x4158, v26
	v_dot4c_i32_i8 v165, v141, v148
	v_dot4c_i32_i8 v162, v164, v146
	v_fmac_f32_e32 v173, v132, v155
	s_waitcnt lgkmcnt(3)
	v_bfe_i32 v163, v158, 8, 8
	v_bfe_i32 v164, v159, 8, 8
	v_dot4c_i32_i8 v165, v138, v149
	ds_read2_b32 v[137:138], v137 offset1:1
	ds_read2_b32 v[140:141], v140 offset1:1
	v_add_nc_u32_e32 v155, 0x4160, v26
	v_mul_lo_u32 v124, v124, v163
	v_mov_b32_e32 v178, 0
	s_waitcnt lgkmcnt(3)
	v_dot4c_i32_i8 v176, v135, v151
	v_mul_lo_u32 v135, v162, v164
	v_bfe_i32 v162, v158, 0, 8
	v_dot4c_i32_i8 v165, v139, v150
	v_bfe_i32 v139, v159, 0, 8
	s_waitcnt lgkmcnt(2)
	v_dot4c_i32_i8 v177, v125, v127
	v_dot4c_i32_i8 v176, v136, v152
	v_mad_u64_u32 v[123:124], null, v123, v162, v[124:125]
	v_add_nc_u32_e32 v124, 0x4150, v26
	v_add_nc_u32_e32 v125, 0x4170, v26
	v_mad_u64_u32 v[135:136], null, v165, v139, v[135:136]
	v_dot4c_i32_i8 v177, v126, v128
	v_dot4c_i32_i8 v176, v160, v153
	v_cvt_f32_i32_e32 v139, v123
	ds_read2_b32 v[123:124], v124 offset1:1
	ds_read2_b32 v[125:126], v125 offset1:1
	v_add_nc_u32_e32 v160, 0x4140, v26
	s_waitcnt lgkmcnt(3)
	v_dot4c_i32_i8 v177, v137, v129
	v_cvt_f32_i32_e32 v137, v135
	v_add_nc_u32_e32 v135, 0x4168, v26
	ds_read2_b32 v[135:136], v135 offset1:1
	ds_read2_b32 v[162:163], v155 offset1:1
	;; [unrolled: 1-line block ×5, first 2 shown]
	v_dot4c_i32_i8 v177, v138, v130
	v_fma_f32 v138, v131, v139, 0
	v_mov_b32_e32 v139, 0
	v_bfe_i32 v155, v158, 16, 8
	v_ashrrev_i32_e32 v158, 24, v158
	v_dot4c_i32_i8 v176, v161, v154
	v_mov_b32_e32 v161, 0
	v_bfe_i32 v160, v159, 16, 8
	v_ashrrev_i32_e32 v159, 24, v159
	v_mul_lo_u32 v116, v116, v158
	s_waitcnt lgkmcnt(5)
	v_dot4c_i32_i8 v139, v125, v151
	v_mov_b32_e32 v151, 0
	v_fma_f32 v137, v133, v137, 0
	v_fmac_f32_e32 v6, v174, v173
	v_fmac_f32_e32 v4, v117, v170
	v_dot4c_i32_i8 v139, v126, v152
	v_dot4c_i32_i8 v151, v123, v143
	s_waitcnt lgkmcnt(2)
	v_dot4c_i32_i8 v178, v164, v147
	v_dot4c_i32_i8 v161, v162, v127
	v_ashrrev_i32_e32 v127, 24, v157
	s_waitcnt lgkmcnt(0)
	v_dot4c_i32_i8 v139, v168, v153
	v_dot4c_i32_i8 v151, v124, v144
	v_mad_u64_u32 v[124:125], null, v118, v155, v[116:117]
	v_bfe_i32 v116, v156, 8, 8
	v_dot4c_i32_i8 v178, v165, v148
	v_dot4c_i32_i8 v151, v140, v145
	v_bfe_i32 v118, v157, 8, 8
	v_bfe_i32 v125, v156, 0, 8
	v_mul_lo_u32 v116, v121, v116
	v_ashrrev_i32_e32 v121, 24, v156
	v_dot4c_i32_i8 v151, v141, v146
	v_dot4c_i32_i8 v178, v166, v149
	;; [unrolled: 1-line block ×4, first 2 shown]
	v_mul_lo_u32 v120, v120, v121
	v_mul_lo_u32 v118, v151, v118
	v_mad_u64_u32 v[121:122], null, v122, v125, v[116:117]
	v_dot4c_i32_i8 v178, v167, v150
	v_bfe_i32 v126, v157, 0, 8
	v_dot4c_i32_i8 v161, v135, v129
	v_bfe_i32 v122, v156, 16, 8
	v_mul_lo_u32 v123, v176, v159
	v_mul_lo_u32 v116, v139, v127
	v_mad_u64_u32 v[125:126], null, v178, v126, v[118:119]
	v_dot4c_i32_i8 v161, v136, v130
	v_bfe_i32 v126, v157, 16, 8
	v_mad_u64_u32 v[118:119], null, v119, v122, v[120:121]
	v_cvt_f32_i32_e32 v122, v121
	v_mad_u64_u32 v[119:120], null, v177, v160, v[123:124]
	v_mad_u64_u32 v[120:121], null, v161, v126, v[116:117]
	v_cvt_f32_i32_e32 v116, v124
	v_cvt_f32_i32_e32 v121, v125
	v_fma_f32 v122, v131, v122, 0
	v_cvt_f32_i32_e32 v118, v118
	v_cvt_f32_i32_e32 v119, v119
	v_fmac_f32_e32 v138, v132, v116
	v_fma_f32 v116, v133, v121, 0
	v_cvt_f32_i32_e32 v120, v120
	v_fmac_f32_e32 v122, v132, v118
	v_fmac_f32_e32 v137, v134, v119
	;; [unrolled: 1-line block ×8, first 2 shown]
	s_cmp_ge_i32 s4, s13
	v_fmac_f32_e32 v99, v171, v116
	s_barrier
	buffer_gl0_inv
	s_cbranch_scc1 .LBB195_5
; %bb.12:                               ;   in Loop: Header=BB195_6 Depth=1
	v_cmp_gt_i32_e64 s1, s9, v23
	s_and_b32 s5, s0, s1
	s_and_saveexec_b32 s1, s5
	s_cbranch_execz .LBB195_14
; %bb.13:                               ;   in Loop: Header=BB195_6 Depth=1
	v_add_nc_u32_e32 v116, v34, v23
	v_mad_i64_i32 v[116:117], null, v116, 36, v[2:3]
	global_load_dword v116, v[116:117], off offset:4
	s_waitcnt vmcnt(0)
	ds_write_b32 v22, v116
.LBB195_14:                             ;   in Loop: Header=BB195_6 Depth=1
	s_or_b32 exec_lo, exec_lo, s1
	s_and_saveexec_b32 s5, vcc_lo
	s_cbranch_execz .LBB195_4
; %bb.15:                               ;   in Loop: Header=BB195_6 Depth=1
	v_add_nc_u32_e32 v116, 4, v115
	v_cmp_gt_i32_e64 s1, s9, v116
	s_and_b32 s1, s0, s1
	s_and_b32 exec_lo, exec_lo, s1
	s_cbranch_execz .LBB195_4
; %bb.16:                               ;   in Loop: Header=BB195_6 Depth=1
	v_ashrrev_i32_e32 v116, 31, v115
	v_add_co_u32 v117, s1, v34, v115
	v_add_co_ci_u32_e64 v118, null, v35, v116, s1
	v_mad_u64_u32 v[116:117], null, v117, 36, s[6:7]
	v_mad_i32_i24 v117, v118, 36, v117
	global_load_dword v116, v[116:117], off offset:144
	v_add_nc_u32_e32 v117, v19, v24
	s_waitcnt vmcnt(0)
	v_cvt_f32_f16_e32 v116, v116
	ds_write_b32 v117, v116
	s_branch .LBB195_4
.LBB195_17:
	s_mul_i32 s0, s11, s8
	s_waitcnt vmcnt(0)
	v_cmp_gt_i32_e32 vcc_lo, s0, v5
	s_and_saveexec_b32 s0, vcc_lo
	s_cbranch_execz .LBB195_26
; %bb.18:
	v_add_nc_u32_e32 v1, s16, v0
	v_mul_lo_u32 v0, v5, s10
	s_mov_b32 s0, exec_lo
	v_cmpx_gt_u32_e64 s10, v1
	s_cbranch_execz .LBB195_20
; %bb.19:
	v_add_nc_u32_e32 v2, v0, v1
	v_mov_b32_e32 v3, 0
	v_lshlrev_b64 v[2:3], 2, v[2:3]
	v_add_co_u32 v2, vcc_lo, s2, v2
	v_add_co_ci_u32_e64 v3, null, s3, v3, vcc_lo
	global_store_dword v[2:3], v6, off
.LBB195_20:
	s_or_b32 exec_lo, exec_lo, s0
	v_add_nc_u32_e32 v2, 32, v1
	s_mov_b32 s0, exec_lo
	v_cmpx_gt_u32_e64 s10, v2
	s_cbranch_execz .LBB195_22
; %bb.21:
	v_add_nc_u32_e32 v2, v0, v2
	v_mov_b32_e32 v3, 0
	v_lshlrev_b64 v[2:3], 2, v[2:3]
	v_add_co_u32 v2, vcc_lo, s2, v2
	v_add_co_ci_u32_e64 v3, null, s3, v3, vcc_lo
	global_store_dword v[2:3], v102, off
.LBB195_22:
	s_or_b32 exec_lo, exec_lo, s0
	v_add_nc_u32_e32 v2, 64, v1
	;; [unrolled: 13-line block ×3, first 2 shown]
	v_cmp_gt_u32_e32 vcc_lo, s10, v1
	s_and_b32 exec_lo, exec_lo, vcc_lo
	s_cbranch_execz .LBB195_26
; %bb.25:
	v_add_nc_u32_e32 v0, v0, v1
	v_mov_b32_e32 v1, 0
	v_lshlrev_b64 v[0:1], 2, v[0:1]
	v_add_co_u32 v0, vcc_lo, s2, v0
	v_add_co_ci_u32_e64 v1, null, s3, v1, vcc_lo
	global_store_dword v[0:1], v4, off
.LBB195_26:
	s_endpgm
	.section	.rodata,"a",@progbits
	.p2align	6, 0x0
	.amdhsa_kernel _ZL8moe_q6_KIfLb0EEvPKvS1_PT_PKiS5_S5_iiiiiii
		.amdhsa_group_segment_fixed_size 37072
		.amdhsa_private_segment_fixed_size 0
		.amdhsa_kernarg_size 76
		.amdhsa_user_sgpr_count 6
		.amdhsa_user_sgpr_private_segment_buffer 1
		.amdhsa_user_sgpr_dispatch_ptr 0
		.amdhsa_user_sgpr_queue_ptr 0
		.amdhsa_user_sgpr_kernarg_segment_ptr 1
		.amdhsa_user_sgpr_dispatch_id 0
		.amdhsa_user_sgpr_flat_scratch_init 0
		.amdhsa_user_sgpr_private_segment_size 0
		.amdhsa_wavefront_size32 1
		.amdhsa_uses_dynamic_stack 0
		.amdhsa_system_sgpr_private_segment_wavefront_offset 0
		.amdhsa_system_sgpr_workgroup_id_x 1
		.amdhsa_system_sgpr_workgroup_id_y 1
		.amdhsa_system_sgpr_workgroup_id_z 0
		.amdhsa_system_sgpr_workgroup_info 0
		.amdhsa_system_vgpr_workitem_id 1
		.amdhsa_next_free_vgpr 187
		.amdhsa_next_free_sgpr 22
		.amdhsa_reserve_vcc 1
		.amdhsa_reserve_flat_scratch 0
		.amdhsa_float_round_mode_32 0
		.amdhsa_float_round_mode_16_64 0
		.amdhsa_float_denorm_mode_32 3
		.amdhsa_float_denorm_mode_16_64 3
		.amdhsa_dx10_clamp 1
		.amdhsa_ieee_mode 1
		.amdhsa_fp16_overflow 0
		.amdhsa_workgroup_processor_mode 1
		.amdhsa_memory_ordered 1
		.amdhsa_forward_progress 1
		.amdhsa_shared_vgpr_count 0
		.amdhsa_exception_fp_ieee_invalid_op 0
		.amdhsa_exception_fp_denorm_src 0
		.amdhsa_exception_fp_ieee_div_zero 0
		.amdhsa_exception_fp_ieee_overflow 0
		.amdhsa_exception_fp_ieee_underflow 0
		.amdhsa_exception_fp_ieee_inexact 0
		.amdhsa_exception_int_div_zero 0
	.end_amdhsa_kernel
	.section	.text._ZL8moe_q6_KIfLb0EEvPKvS1_PT_PKiS5_S5_iiiiiii,"axG",@progbits,_ZL8moe_q6_KIfLb0EEvPKvS1_PT_PKiS5_S5_iiiiiii,comdat
.Lfunc_end195:
	.size	_ZL8moe_q6_KIfLb0EEvPKvS1_PT_PKiS5_S5_iiiiiii, .Lfunc_end195-_ZL8moe_q6_KIfLb0EEvPKvS1_PT_PKiS5_S5_iiiiiii
                                        ; -- End function
	.set _ZL8moe_q6_KIfLb0EEvPKvS1_PT_PKiS5_S5_iiiiiii.num_vgpr, 187
	.set _ZL8moe_q6_KIfLb0EEvPKvS1_PT_PKiS5_S5_iiiiiii.num_agpr, 0
	.set _ZL8moe_q6_KIfLb0EEvPKvS1_PT_PKiS5_S5_iiiiiii.numbered_sgpr, 22
	.set _ZL8moe_q6_KIfLb0EEvPKvS1_PT_PKiS5_S5_iiiiiii.num_named_barrier, 0
	.set _ZL8moe_q6_KIfLb0EEvPKvS1_PT_PKiS5_S5_iiiiiii.private_seg_size, 0
	.set _ZL8moe_q6_KIfLb0EEvPKvS1_PT_PKiS5_S5_iiiiiii.uses_vcc, 1
	.set _ZL8moe_q6_KIfLb0EEvPKvS1_PT_PKiS5_S5_iiiiiii.uses_flat_scratch, 0
	.set _ZL8moe_q6_KIfLb0EEvPKvS1_PT_PKiS5_S5_iiiiiii.has_dyn_sized_stack, 0
	.set _ZL8moe_q6_KIfLb0EEvPKvS1_PT_PKiS5_S5_iiiiiii.has_recursion, 0
	.set _ZL8moe_q6_KIfLb0EEvPKvS1_PT_PKiS5_S5_iiiiiii.has_indirect_call, 0
	.section	.AMDGPU.csdata,"",@progbits
; Kernel info:
; codeLenInByte = 14816
; TotalNumSgprs: 24
; NumVgprs: 187
; ScratchSize: 0
; MemoryBound: 0
; FloatMode: 240
; IeeeMode: 1
; LDSByteSize: 37072 bytes/workgroup (compile time only)
; SGPRBlocks: 0
; VGPRBlocks: 23
; NumSGPRsForWavesPerEU: 24
; NumVGPRsForWavesPerEU: 187
; Occupancy: 5
; WaveLimiterHint : 1
; COMPUTE_PGM_RSRC2:SCRATCH_EN: 0
; COMPUTE_PGM_RSRC2:USER_SGPR: 6
; COMPUTE_PGM_RSRC2:TRAP_HANDLER: 0
; COMPUTE_PGM_RSRC2:TGID_X_EN: 1
; COMPUTE_PGM_RSRC2:TGID_Y_EN: 1
; COMPUTE_PGM_RSRC2:TGID_Z_EN: 0
; COMPUTE_PGM_RSRC2:TIDIG_COMP_CNT: 1
	.section	.text._ZL8moe_q6_KIfLb1EEvPKvS1_PT_PKiS5_S5_iiiiiii,"axG",@progbits,_ZL8moe_q6_KIfLb1EEvPKvS1_PT_PKiS5_S5_iiiiiii,comdat
	.globl	_ZL8moe_q6_KIfLb1EEvPKvS1_PT_PKiS5_S5_iiiiiii ; -- Begin function _ZL8moe_q6_KIfLb1EEvPKvS1_PT_PKiS5_S5_iiiiiii
	.p2align	8
	.type	_ZL8moe_q6_KIfLb1EEvPKvS1_PT_PKiS5_S5_iiiiiii,@function
_ZL8moe_q6_KIfLb1EEvPKvS1_PT_PKiS5_S5_iiiiiii: ; @_ZL8moe_q6_KIfLb1EEvPKvS1_PT_PKiS5_S5_iiiiiii
; %bb.0:
	s_load_dwordx4 s[0:3], s[4:5], 0x18
	s_mov_b32 s8, s7
	s_mov_b32 s9, 0
	s_lshl_b64 s[10:11], s[8:9], 2
	s_waitcnt lgkmcnt(0)
	s_add_u32 s2, s2, s10
	s_addc_u32 s3, s3, s11
	s_load_dword s16, s[2:3], 0x0
	s_waitcnt lgkmcnt(0)
	s_cmpk_gt_u32 s16, 0xff
	s_cbranch_scc1 .LBB196_26
; %bb.1:
	s_load_dwordx2 s[2:3], s[4:5], 0x28
	s_waitcnt lgkmcnt(0)
	s_load_dword s3, s[2:3], 0x0
	s_lshl_b32 s2, s8, 3
	s_waitcnt lgkmcnt(0)
	s_cmp_gt_u32 s2, s3
	s_cbranch_scc1 .LBB196_26
; %bb.2:
	v_add_nc_u32_e32 v19, s2, v1
	v_mov_b32_e32 v20, 0
	v_lshlrev_b64 v[2:3], 2, v[19:20]
	v_mov_b32_e32 v103, v20
	v_mov_b32_e32 v106, v20
	;; [unrolled: 1-line block ×3, first 2 shown]
	v_add_co_u32 v2, vcc_lo, s0, v2
	v_add_co_ci_u32_e64 v3, null, s1, v3, vcc_lo
	global_load_dword v21, v[2:3], off
	s_clause 0x1
	s_load_dwordx8 s[8:15], s[4:5], 0x30
	s_load_dwordx2 s[2:3], s[4:5], 0x10
	s_waitcnt lgkmcnt(0)
	s_lshl_b32 s15, s6, 7
	s_cmpk_lt_i32 s9, 0x100
	s_cbranch_scc1 .LBB196_17
; %bb.3:
	v_and_b32_e32 v2, 31, v0
	s_ashr_i32 s0, s9, 31
	s_ashr_i32 s1, s12, 31
	s_lshr_b32 s0, s0, 24
	s_lshr_b32 s1, s1, 27
	v_lshlrev_b32_e32 v3, 1, v2
	v_cmp_gt_u32_e32 vcc_lo, 16, v2
	v_add_nc_u16 v4, v2, -16
	s_add_i32 s0, s9, s0
	v_lshlrev_b32_e32 v20, 2, v2
	v_add_nc_u32_e32 v5, 0xe0, v3
	s_add_i32 s1, s12, s1
	v_cndmask_b32_e32 v4, v4, v2, vcc_lo
	s_ashr_i32 s12, s0, 8
	s_not_b32 s0, s15
	v_cndmask_b32_e32 v5, v5, v3, vcc_lo
	v_add_nc_u32_e32 v6, 8, v1
	s_add_i32 s0, s10, s0
	v_lshrrev_b32_e32 v19, 5, v0
	v_cmp_lt_u16_e32 vcc_lo, 7, v4
	v_and_b32_e32 v5, 0xfe, v5
	v_add_nc_u32_e32 v4, 16, v1
	v_min_i32_e32 v6, s0, v6
	v_add_nc_u32_e32 v7, 24, v1
	v_lshl_add_u32 v17, v1, 5, v0
	v_sub_nc_u32_e32 v2, v3, v5
	v_and_b32_e32 v3, 15, v0
	v_min_i32_e32 v5, s0, v1
	v_mul_lo_u32 v40, v6, s12
	v_add_nc_u32_e32 v8, 40, v1
	v_add_nc_u32_e32 v9, 48, v1
	v_add_lshl_u32 v18, v2, v3, 2
	v_mul_lo_u32 v39, v5, s12
	v_add_nc_u32_e32 v10, 56, v1
	v_add_nc_u32_e32 v11, 64, v1
	;; [unrolled: 1-line block ×3, first 2 shown]
	v_mad_u64_u32 v[2:3], null, 0x104, v5, v[18:19]
	v_min_i32_e32 v5, s0, v4
	v_mad_u64_u32 v[3:4], null, 0x104, v6, v[18:19]
	v_min_i32_e32 v6, s0, v7
	v_add_nc_u32_e32 v7, 32, v1
	v_and_b32_e32 v17, 0x7f, v17
	v_lshrrev_b32_e32 v25, 2, v0
	v_min_i32_e32 v8, s0, v8
	v_add_nc_u32_e32 v13, 0x50, v1
	v_min_i32_e32 v7, s0, v7
	v_min_i32_e32 v9, s0, v9
	v_add_nc_u32_e32 v14, 0x58, v1
	v_mul_lo_u32 v45, v5, s12
	v_mad_u64_u32 v[4:5], null, 0x104, v5, v[18:19]
	v_min_i32_e32 v10, s0, v10
	v_add_nc_u32_e32 v15, 0x60, v1
	v_mul_lo_u32 v49, v6, s12
	v_mad_u64_u32 v[5:6], null, 0x104, v6, v[18:19]
	;; [unrolled: 4-line block ×3, first 2 shown]
	v_min_i32_e32 v12, s0, v12
	v_add_nc_u32_e32 v24, 0x70, v1
	v_min_i32_e32 v26, s0, v17
	v_lshl_add_u32 v17, v1, 3, v25
	v_mul_lo_u32 v57, v8, s12
	v_mad_u64_u32 v[7:8], null, 0x104, v8, v[18:19]
	v_min_i32_e32 v13, s0, v13
	v_mul_lo_u32 v61, v9, s12
	v_mad_u64_u32 v[8:9], null, 0x104, v9, v[18:19]
	v_min_i32_e32 v14, s0, v14
	v_mul_lo_u32 v65, v10, s12
	v_mad_u64_u32 v[9:10], null, 0x104, v10, v[18:19]
	v_min_i32_e32 v15, s0, v15
	v_mul_lo_u32 v69, v11, s12
	v_mad_u64_u32 v[10:11], null, 0x104, v11, v[18:19]
	v_min_i32_e32 v16, s0, v16
	v_mul_lo_u32 v73, v12, s12
	v_mad_u64_u32 v[11:12], null, 0x104, v12, v[18:19]
	v_min_i32_e32 v24, s0, v24
	v_ashrrev_i32_e32 v25, 31, v26
	v_and_b32_e32 v27, 0x7f, v17
	v_mul_lo_u32 v77, v13, s12
	v_mad_u64_u32 v[12:13], null, 0x104, v13, v[18:19]
	v_mul_lo_u32 v81, v14, s12
	v_mad_u64_u32 v[13:14], null, 0x104, v14, v[18:19]
	s_abs_i32 s10, s14
	v_mul_lo_u32 v85, v15, s12
	v_mad_u64_u32 v[14:15], null, 0x104, v15, v[18:19]
	v_mul_lo_u32 v89, v16, s12
	v_mad_u64_u32 v[15:16], null, 0x104, v16, v[18:19]
	v_cvt_f32_u32_e32 v28, s10
	v_mul_lo_u32 v93, v24, s12
	v_mad_u64_u32 v[16:17], null, 0x104, v24, v[18:19]
	v_lshrrev_b32_e32 v24, 27, v25
	v_min_i32_e32 v25, s0, v27
	v_xor_b32_e32 v27, 64, v27
	v_add_nc_u32_e32 v17, 0x78, v1
	v_rcp_iflag_f32_e32 v28, v28
	v_lshlrev_b32_e32 v41, 2, v0
	v_ashrrev_i32_e32 v29, 31, v25
	v_min_i32_e32 v27, s0, v27
	v_min_i32_e32 v17, s0, v17
	s_sub_i32 s0, 0, s10
	v_lshlrev_b32_e32 v32, 4, v0
	v_lshrrev_b32_e32 v29, 29, v29
	v_ashrrev_i32_e32 v30, 31, v27
	v_mul_lo_u32 v101, v17, s12
	v_mad_u64_u32 v[17:18], null, 0x104, v17, v[18:19]
	v_mul_f32_e32 v28, 0x4f7ffffe, v28
	v_add_nc_u32_e32 v18, v25, v29
	v_lshrrev_b32_e32 v29, 29, v30
	v_and_b32_e32 v30, 3, v0
	v_lshlrev_b32_e32 v33, 2, v19
	v_cvt_u32_f32_e32 v28, v28
	v_ashrrev_i32_e32 v18, 3, v18
	v_add_nc_u32_e32 v29, v27, v29
	v_lshlrev_b32_e32 v106, 2, v30
	v_add_nc_u32_e32 v36, 64, v0
	v_mul_lo_u32 v30, s0, v28
	v_lshlrev_b32_e32 v18, 2, v18
	v_ashrrev_i32_e32 v29, 3, v29
	s_load_dwordx4 s[4:7], s[4:5], 0x0
	v_lshrrev_b32_e32 v44, 3, v36
	v_lshlrev_b32_e32 v36, 4, v36
	v_add3_u32 v113, v18, v106, 0x8200
	v_lshlrev_b32_e32 v18, 2, v29
	v_mul_hi_u32 v29, v28, v30
	v_add_nc_u32_e32 v30, 32, v0
	s_ashr_i32 s18, s1, 5
	s_mul_i32 s1, s12, s15
	v_add3_u32 v115, v18, v106, 0x8200
	s_waitcnt vmcnt(0)
	v_sub_nc_u32_e32 v18, 0, v21
	v_lshlrev_b32_e32 v43, 4, v30
	s_mul_i32 s8, s16, s8
	v_add_nc_u32_e32 v29, v28, v29
	v_lshrrev_b32_e32 v28, 3, v0
	v_max_i32_e32 v18, v21, v18
	s_mul_hi_i32 s17, s1, 0xd2
	s_mul_i32 s16, s1, 0xd2
	v_and_b32_e32 v38, 7, v0
	v_lshlrev_b32_e32 v31, 2, v28
	v_mul_hi_u32 v35, v18, v29
	v_lshrrev_b32_e32 v29, 3, v30
	v_mad_u64_u32 v[95:96], null, 0xd2, v19, s[16:17]
	v_add3_u32 v30, v32, v31, 0x8200
	v_add3_u32 v32, v41, v33, 0x8e40
	v_lshlrev_b32_e32 v34, 2, v29
	v_lshlrev_b32_e32 v19, 2, v38
	v_mul_lo_u32 v37, v35, s10
	v_and_b32_e32 v42, 28, v41
	v_mul_lo_u32 v109, v25, s12
	v_add3_u32 v33, v43, v34, 0x8200
	v_add_nc_u32_e32 v43, 1, v35
	v_and_b32_e32 v34, 60, v29
	v_lshlrev_b32_e32 v114, 4, v25
	v_add_nc_u32_e32 v25, 0x9050, v41
	v_sub_nc_u32_e32 v18, v18, v37
	v_lshlrev_b32_e32 v37, 2, v44
	v_and_b32_e32 v44, 60, v44
	v_add3_u32 v34, v41, v34, 0x8e40
	v_mad_i64_i32 v[51:52], null, 0xd2, v45, v[95:96]
	v_subrev_nc_u32_e32 v46, s10, v18
	v_cmp_le_u32_e64 s0, s10, v18
	v_mad_i64_i32 v[55:56], null, 0xd2, v49, v[95:96]
	v_mad_i64_i32 v[59:60], null, 0xd2, v53, v[95:96]
	v_cndmask_b32_e64 v43, v35, v43, s0
	v_cndmask_b32_e64 v18, v18, v46, s0
	v_add3_u32 v35, v36, v37, 0x8200
	v_xor_b32_e32 v36, s14, v21
	v_add_nc_u32_e32 v37, 0x60, v0
	v_add_nc_u32_e32 v46, 1, v43
	v_cmp_le_u32_e64 s0, s10, v18
	v_mad_i64_i32 v[63:64], null, 0xd2, v57, v[95:96]
	v_ashrrev_i32_e32 v48, 31, v36
	v_lshrrev_b32_e32 v47, 3, v37
	v_cndmask_b32_e64 v18, v43, v46, s0
	v_add3_u32 v36, v41, v44, 0x8e40
	v_lshlrev_b32_e32 v37, 4, v37
	v_mad_i64_i32 v[67:68], null, 0xd2, v61, v[95:96]
	v_xor_b32_e32 v18, v18, v48
	v_lshlrev_b32_e32 v43, 2, v47
	v_and_b32_e32 v44, 60, v47
	v_mad_i64_i32 v[71:72], null, 0xd2, v65, v[95:96]
	v_sub_nc_u32_e32 v46, v18, v48
	v_lshlrev_b32_e32 v18, 1, v0
	v_add3_u32 v37, v37, v43, 0x8200
	v_add3_u32 v38, v41, v44, 0x8e40
	v_mad_i64_i32 v[43:44], null, 0xd2, v39, v[95:96]
	v_and_or_b32 v102, v18, 32, v19
	s_waitcnt lgkmcnt(0)
	v_add_co_u32 v18, s1, s6, v42
	v_add_co_ci_u32_e64 v19, null, s7, 0, s1
	v_mad_i64_i32 v[47:48], null, 0xd2, v40, v[95:96]
	v_add_co_u32 v41, s1, v43, v102
	v_add_co_ci_u32_e64 v42, null, 0, v44, s1
	v_cmp_gt_i32_e64 s0, s11, v46
	v_add_co_u32 v41, s1, s4, v41
	v_add_co_ci_u32_e64 v42, null, s5, v42, s1
	v_mul_lo_u32 v39, v46, s18
	v_add_co_u32 v41, s1, 0x80, v41
	v_add_co_ci_u32_e64 v42, null, 0, v42, s1
	v_add_co_u32 v46, s1, v47, v102
	v_add_co_ci_u32_e64 v50, null, 0, v48, s1
	;; [unrolled: 2-line block ×32, first 2 shown]
	v_add_co_u32 v67, s1, v67, v20
	v_mad_i64_i32 v[75:76], null, 0xd2, v69, v[95:96]
	v_add_co_ci_u32_e64 v68, null, 0, v68, s1
	v_add_co_u32 v70, s1, s4, v70
	v_add_co_ci_u32_e64 v74, null, s5, v74, s1
	v_add_co_u32 v67, s1, s4, v67
	v_add_co_ci_u32_e64 v68, null, s5, v68, s1
	v_add_co_u32 v69, s1, 0x80, v70
	v_add_co_ci_u32_e64 v70, null, 0, v74, s1
	v_add_co_u32 v74, s1, v75, v102
	v_add_co_ci_u32_e64 v78, null, 0, v76, s1
	v_add_co_u32 v71, s1, v71, v20
	v_mad_i64_i32 v[79:80], null, 0xd2, v73, v[95:96]
	v_add_co_ci_u32_e64 v72, null, 0, v72, s1
	v_add_co_u32 v74, s1, s4, v74
	v_add_co_ci_u32_e64 v78, null, s5, v78, s1
	v_add_co_u32 v71, s1, s4, v71
	v_add_co_ci_u32_e64 v72, null, s5, v72, s1
	v_add_co_u32 v73, s1, 0x80, v74
	v_add_co_ci_u32_e64 v74, null, 0, v78, s1
	v_add_co_u32 v78, s1, v79, v102
	v_add_co_ci_u32_e64 v82, null, 0, v80, s1
	;; [unrolled: 11-line block ×6, first 2 shown]
	v_add_co_u32 v91, s1, v91, v20
	v_add_co_ci_u32_e64 v92, null, 0, v92, s1
	v_add_co_u32 v94, s1, s4, v94
	v_add_co_ci_u32_e64 v103, null, s5, v99, s1
	v_mad_i64_i32 v[99:100], null, 0xd2, v93, v[95:96]
	v_add_co_u32 v91, s1, s4, v91
	v_add_co_ci_u32_e64 v92, null, s5, v92, s1
	v_add_co_u32 v93, s1, 0x80, v94
	v_add_co_ci_u32_e64 v94, null, 0, v103, s1
	;; [unrolled: 2-line block ×4, first 2 shown]
	v_add_co_u32 v107, s1, s4, v103
	v_add_nc_u32_e32 v24, v26, v24
	v_add_co_ci_u32_e64 v108, null, s5, v104, s1
	v_mad_i64_i32 v[103:104], null, 0xd2, v101, v[95:96]
	v_add_co_u32 v95, s1, s4, v97
	v_ashrrev_i32_e32 v24, 5, v24
	v_add_co_ci_u32_e64 v96, null, s5, v98, s1
	v_add_co_u32 v97, s1, 0x80, v107
	v_add_co_ci_u32_e64 v98, null, 0, v108, s1
	v_add_co_u32 v101, s1, v103, v102
	v_cndmask_b32_e64 v23, 0, 2, vcc_lo
	v_mul_lo_u32 v105, v26, s12
	v_lshlrev_b32_e32 v24, 2, v24
	v_lshlrev_b32_e32 v26, 2, v26
	v_cmp_gt_u32_e32 vcc_lo, 4, v0
	v_add_co_ci_u32_e64 v102, null, 0, v104, s1
	v_add_co_u32 v99, s1, v99, v20
	v_add_co_ci_u32_e64 v100, null, 0, v100, s1
	v_add_co_u32 v101, s1, s4, v101
	s_ashr_i32 s19, s8, 31
	v_add3_u32 v24, v24, v26, 0x8e40
	v_mul_lo_u32 v111, v27, s12
	v_lshl_add_u32 v26, v1, 7, 0x8a40
	s_and_b32 s10, vcc_lo, s0
	v_add_co_ci_u32_e64 v102, null, s5, v102, s1
	v_add_co_u32 v99, s1, s4, v99
	s_add_u32 s20, s4, s16
	s_addc_u32 s21, s5, s17
	v_add_co_ci_u32_e64 v100, null, s5, v100, s1
	v_add_co_u32 v101, s1, 0x80, v101
	v_mad_i64_i32 v[107:108], null, 0xd2, v105, s[20:21]
	v_lshlrev_b32_e32 v116, 4, v27
	v_add_nc_u32_e32 v27, v26, v20
	v_add_co_ci_u32_e64 v102, null, 0, v102, s1
	v_add_co_u32 v20, s1, v103, v20
	v_mad_i64_i32 v[109:110], null, 0xd2, v109, 0
	v_add_co_ci_u32_e64 v103, null, 0, v104, s1
	v_mad_i64_i32 v[111:112], null, 0xd2, v111, 0
	v_add_co_u32 v104, s1, s4, v20
	v_add_co_ci_u32_e64 v105, null, s5, v103, s1
	v_add_co_u32 v107, s1, 0xd0, v107
	v_add_co_ci_u32_e64 v108, null, 0, v108, s1
	;; [unrolled: 2-line block ×9, first 2 shown]
	v_add_co_u32 v111, s1, 0xc0, v106
	v_mov_b32_e32 v22, 0
	v_lshlrev_b32_e32 v1, 4, v1
	v_mul_u32_u24_e32 v31, 0x104, v0
	v_ashrrev_i32_e32 v40, 31, v39
	v_add_co_ci_u32_e64 v112, null, 0, v112, s1
	v_add_nc_u32_e32 v113, v113, v114
	v_add_nc_u32_e32 v114, v115, v116
	v_mov_b32_e32 v115, v0
	v_mov_b32_e32 v106, 0
	;; [unrolled: 1-line block ×4, first 2 shown]
	s_movk_i32 s4, 0x80
	s_branch .LBB196_6
.LBB196_4:                              ;   in Loop: Header=BB196_6 Depth=1
	s_or_b32 exec_lo, exec_lo, s5
	s_waitcnt lgkmcnt(0)
	s_barrier
	buffer_gl0_inv
	ds_read2_b32 v[116:117], v31 offset0:44 offset1:45
	ds_read_b128 v[127:130], v26 offset:48
	ds_read_b128 v[131:134], v26 offset:32
	ds_read2_b32 v[118:119], v31 offset0:36 offset1:37
	ds_read2_b32 v[120:121], v31 offset0:40 offset1:41
	ds_read_b128 v[135:138], v26 offset:16
	ds_read_b128 v[139:142], v26
	ds_read2_b32 v[122:123], v31 offset0:46 offset1:47
	ds_read2_b32 v[143:144], v31 offset0:42 offset1:43
	;; [unrolled: 1-line block ×5, first 2 shown]
	v_mov_b32_e32 v126, 0
	v_add_nc_u32_e32 v124, 0x2130, v31
	v_mov_b32_e32 v125, 0
	v_mov_b32_e32 v177, 0
	v_add_nc_u32_e32 v153, 0x2110, v31
	v_mov_b32_e32 v178, 0
	ds_read2_b32 v[151:152], v124 offset1:1
	v_add_nc_u32_e32 v124, 0x4198, v31
	v_add_nc_u32_e32 v165, 0x41b8, v31
	s_waitcnt lgkmcnt(11)
	v_dot4c_i32_i8 v126, v116, v127
	v_add_nc_u32_e32 v116, 0x2108, v31
	v_mov_b32_e32 v179, 0
	s_waitcnt lgkmcnt(8)
	v_dot4c_i32_i8 v125, v120, v131
	s_waitcnt lgkmcnt(7)
	v_dot4c_i32_i8 v177, v118, v135
	v_dot4c_i32_i8 v126, v117, v128
	v_add_nc_u32_e32 v117, 0x2100, v31
	v_add_nc_u32_e32 v118, 0x2138, v31
	v_dot4c_i32_i8 v125, v121, v132
	v_dot4c_i32_i8 v177, v119, v136
	s_waitcnt lgkmcnt(5)
	v_dot4c_i32_i8 v126, v122, v129
	ds_read2_b32 v[121:122], v153 offset1:1
	ds_read2_b32 v[153:154], v116 offset1:1
	;; [unrolled: 1-line block ×4, first 2 shown]
	v_mov_b32_e32 v116, 0
	s_waitcnt lgkmcnt(5)
	v_dot4c_i32_i8 v178, v149, v139
	v_add_nc_u32_e32 v119, 0x2128, v31
	v_dot4c_i32_i8 v126, v123, v130
	v_dot4c_i32_i8 v125, v143, v133
	s_waitcnt lgkmcnt(4)
	v_dot4c_i32_i8 v116, v151, v127
	v_dot4c_i32_i8 v178, v150, v140
	v_add_nc_u32_e32 v123, 0x2118, v31
	v_add_nc_u32_e32 v120, 0x2120, v31
	v_dot4c_i32_i8 v177, v145, v137
	v_dot4c_i32_i8 v116, v152, v128
	;; [unrolled: 1-line block ×3, first 2 shown]
	ds_read2_b32 v[149:150], v119 offset1:1
	ds_read2_b32 v[119:120], v120 offset1:1
	;; [unrolled: 1-line block ×3, first 2 shown]
	v_dot4c_i32_i8 v125, v144, v134
	ds_read2_b32 v[143:144], v123 offset1:1
	v_add_nc_u32_e32 v123, 0x41a8, v31
	v_add_nc_u32_e32 v124, 0x41a0, v31
	v_dot4c_i32_i8 v177, v146, v138
	v_dot4c_i32_i8 v178, v148, v142
	s_waitcnt lgkmcnt(4)
	v_dot4c_i32_i8 v116, v117, v129
	v_add_nc_u32_e32 v117, 0x41b0, v31
	ds_read2_b32 v[145:146], v117 offset1:1
	ds_read2_b32 v[147:148], v123 offset1:1
	;; [unrolled: 1-line block ×3, first 2 shown]
	v_dot4c_i32_i8 v116, v118, v130
	v_mov_b32_e32 v118, 0
	v_add_nc_u32_e32 v117, 0x4190, v31
	v_add_nc_u32_e32 v123, 0x4188, v31
	;; [unrolled: 1-line block ×3, first 2 shown]
	ds_read2_b32 v[159:160], v117 offset1:1
	ds_read2_b32 v[161:162], v123 offset1:1
	ds_read2_b32 v[163:164], v124 offset1:1
	ds_read2_b32 v[165:166], v165 offset1:1
	s_waitcnt lgkmcnt(9)
	v_dot4c_i32_i8 v118, v119, v131
	v_mov_b32_e32 v124, 0
	v_mov_b32_e32 v119, 0
	v_add_nc_u32_e32 v117, 0x6218, v31
	v_mov_b32_e32 v123, 0
	v_dot4c_i32_i8 v118, v120, v132
	v_dot4c_i32_i8 v124, v121, v135
	v_mov_b32_e32 v120, 0
	ds_read2_b32 v[167:168], v117 offset1:1
	ds_read_b32 v117, v38 offset:384
	v_mov_b32_e32 v121, 0
	s_waitcnt lgkmcnt(6)
	v_dot4c_i32_i8 v119, v151, v131
	v_dot4c_i32_i8 v124, v122, v136
	;; [unrolled: 1-line block ×3, first 2 shown]
	v_add_nc_u32_e32 v145, 0x6220, v31
	v_dot4c_i32_i8 v123, v155, v139
	v_dot4c_i32_i8 v119, v152, v132
	;; [unrolled: 1-line block ×3, first 2 shown]
	v_add_nc_u32_e32 v143, 0x6230, v31
	v_dot4c_i32_i8 v120, v146, v128
	s_waitcnt lgkmcnt(5)
	v_dot4c_i32_i8 v121, v159, v135
	v_dot4c_i32_i8 v119, v147, v133
	v_add_nc_u32_e32 v147, 0x6210, v31
	v_dot4c_i32_i8 v124, v144, v138
	v_mov_b32_e32 v122, 0
	v_dot4c_i32_i8 v118, v149, v133
	v_dot4c_i32_i8 v119, v148, v134
	ds_read2_b32 v[143:144], v143 offset1:1
	ds_read2_b32 v[145:146], v145 offset1:1
	;; [unrolled: 1-line block ×3, first 2 shown]
	v_dot4c_i32_i8 v123, v156, v140
	v_dot4c_i32_i8 v121, v160, v136
	s_waitcnt lgkmcnt(6)
	v_dot4c_i32_i8 v122, v163, v139
	v_add_nc_u32_e32 v149, 0x6208, v31
	v_mov_b32_e32 v180, 0
	v_mov_b32_e32 v181, 0
	v_dot4c_i32_i8 v118, v150, v134
	v_add_nc_u32_e32 v150, 0x6200, v31
	v_add_nc_u32_e32 v151, 0x6238, v31
	v_dot4c_i32_i8 v123, v153, v141
	s_waitcnt lgkmcnt(5)
	v_dot4c_i32_i8 v120, v165, v129
	v_dot4c_i32_i8 v121, v157, v137
	v_dot4c_i32_i8 v122, v164, v140
	ds_read2_b32 v[155:156], v149 offset1:1
	ds_read2_b32 v[159:160], v150 offset1:1
	;; [unrolled: 1-line block ×3, first 2 shown]
	v_add_nc_u32_e32 v149, 0x6228, v31
	v_add_nc_u32_e32 v150, 0x6258, v31
	v_dot4c_i32_i8 v123, v154, v142
	s_waitcnt lgkmcnt(5)
	v_dot4c_i32_i8 v179, v143, v127
	s_waitcnt lgkmcnt(4)
	;; [unrolled: 2-line block ×3, first 2 shown]
	v_dot4c_i32_i8 v181, v147, v135
	v_dot4c_i32_i8 v120, v166, v130
	ds_read2_b32 v[165:166], v149 offset1:1
	ds_read2_b32 v[169:170], v150 offset1:1
	v_dot4c_i32_i8 v121, v158, v138
	v_dot4c_i32_i8 v179, v144, v128
	;; [unrolled: 1-line block ×4, first 2 shown]
	ds_read_b128 v[143:146], v26 offset:80
	ds_read_b128 v[147:150], v26 offset:64
	ds_read2_b32 v[131:132], v31 offset0:52 offset1:53
	ds_read_b128 v[151:154], v26 offset:112
	ds_read2_b32 v[135:136], v31 offset0:62 offset1:63
	ds_read2_b32 v[157:158], v31 offset0:60 offset1:61
	;; [unrolled: 1-line block ×5, first 2 shown]
	v_mov_b32_e32 v182, 0
	v_mov_b32_e32 v183, 0
	v_dot4c_i32_i8 v122, v161, v141
	v_dot4c_i32_i8 v181, v167, v137
	v_mov_b32_e32 v167, 0
	s_waitcnt lgkmcnt(12)
	v_dot4c_i32_i8 v182, v159, v139
	v_add_nc_u32_e32 v139, 0x6240, v31
	s_waitcnt lgkmcnt(11)
	v_dot4c_i32_i8 v179, v163, v129
	v_dot4c_i32_i8 v181, v168, v138
	v_mov_b32_e32 v168, 0
	v_dot4c_i32_i8 v182, v160, v140
	v_dot4c_i32_i8 v122, v162, v142
	;; [unrolled: 1-line block ×3, first 2 shown]
	s_waitcnt lgkmcnt(6)
	v_dot4c_i32_i8 v167, v131, v143
	v_add_nc_u32_e32 v131, 0x6250, v31
	v_dot4c_i32_i8 v180, v165, v133
	s_waitcnt lgkmcnt(3)
	v_dot4c_i32_i8 v168, v157, v151
	v_add_nc_u32_e32 v133, 0x6270, v31
	v_dot4c_i32_i8 v167, v132, v144
	ds_read2_b32 v[131:132], v131 offset1:1
	ds_read2_b32 v[139:140], v139 offset1:1
	v_dot4c_i32_i8 v168, v158, v152
	v_dot4c_i32_i8 v180, v166, v134
	;; [unrolled: 1-line block ×3, first 2 shown]
	s_waitcnt lgkmcnt(2)
	v_dot4c_i32_i8 v183, v175, v147
	v_add_nc_u32_e32 v157, 0x6278, v31
	v_dot4c_i32_i8 v168, v135, v153
	ds_read2_b32 v[134:135], v133 offset1:1
	v_add_nc_u32_e32 v133, 0x6248, v31
	ds_read_b128 v[127:130], v26 offset:96
	ds_read2_b32 v[137:138], v31 offset0:58 offset1:59
	v_dot4c_i32_i8 v182, v156, v142
	v_dot4c_i32_i8 v167, v171, v145
	v_dot4c_i32_i8 v183, v176, v148
	ds_read_b32 v171, v36 offset:256
	ds_read2_b32 v[141:142], v37 offset0:2 offset1:3
	ds_read2_b32 v[155:156], v133 offset1:1
	ds_read2_b32 v[157:158], v157 offset1:1
	v_mov_b32_e32 v165, 0
	v_add_nc_u32_e32 v159, 0x6260, v31
	v_dot4c_i32_i8 v167, v172, v146
	v_dot4c_i32_i8 v183, v173, v149
	v_mov_b32_e32 v173, 0
	s_waitcnt lgkmcnt(8)
	v_dot4c_i32_i8 v165, v131, v143
	v_mov_b32_e32 v172, 0
	ds_read2_b32 v[159:160], v159 offset1:1
	v_add_nc_u32_e32 v131, 0x6268, v31
	s_waitcnt lgkmcnt(8)
	v_dot4c_i32_i8 v173, v139, v147
	v_dot4c_i32_i8 v165, v132, v144
	v_add_nc_u32_e32 v133, 0x2158, v31
	s_waitcnt lgkmcnt(7)
	v_dot4c_i32_i8 v172, v134, v151
	ds_read2_b32 v[161:162], v131 offset1:1
	ds_read2_b32 v[163:164], v133 offset1:1
	v_dot4c_i32_i8 v173, v140, v148
	v_dot4c_i32_i8 v165, v169, v145
	;; [unrolled: 1-line block ×3, first 2 shown]
	s_waitcnt lgkmcnt(5)
	v_bfe_i32 v135, v141, 8, 8
	v_bfe_i32 v139, v142, 8, 8
	s_waitcnt lgkmcnt(4)
	v_dot4c_i32_i8 v173, v155, v149
	v_dot4c_i32_i8 v165, v170, v146
	ds_read_b128 v[131:134], v1 offset:36944
	v_mul_lo_u32 v135, v181, v135
	v_mov_b32_e32 v169, 0
	v_dot4c_i32_i8 v173, v156, v150
	ds_read2_b32 v[155:156], v30 offset0:2 offset1:3
	v_bfe_i32 v140, v141, 0, 8
	v_mul_lo_u32 v139, v165, v139
	s_waitcnt lgkmcnt(5)
	v_dot4c_i32_i8 v172, v157, v153
	s_waitcnt lgkmcnt(4)
	v_dot4c_i32_i8 v169, v159, v127
	v_bfe_i32 v157, v142, 0, 8
	v_mad_u64_u32 v[165:166], null, v182, v140, v[135:136]
	v_ashrrev_i32_e32 v135, 24, v141
	v_dot4c_i32_i8 v169, v160, v128
	ds_read2_b32 v[159:160], v31 offset0:56 offset1:57
	v_mad_u64_u32 v[139:140], null, v173, v157, v[139:140]
	v_mul_lo_u32 v135, v179, v135
	v_dot4c_i32_i8 v172, v158, v154
	v_cvt_f32_i32_e32 v140, v165
	v_ashrrev_i32_e32 v157, 24, v142
	v_bfe_i32 v141, v141, 16, 8
	s_waitcnt lgkmcnt(4)
	v_dot4c_i32_i8 v169, v161, v129
	v_cvt_f32_i32_e32 v158, v139
	s_waitcnt lgkmcnt(2)
	v_fma_f32 v170, v131, v140, 0
	v_mul_lo_u32 v139, v172, v157
	v_mad_u64_u32 v[140:141], null, v180, v141, v[135:136]
	s_waitcnt lgkmcnt(1)
	v_bfe_i32 v135, v155, 8, 8
	v_dot4c_i32_i8 v169, v162, v130
	v_bfe_i32 v141, v142, 16, 8
	v_mov_b32_e32 v161, 0
	v_bfe_i32 v157, v156, 8, 8
	v_mul_lo_u32 v135, v177, v135
	v_fma_f32 v172, v133, v158, 0
	v_mad_u64_u32 v[141:142], null, v169, v141, v[139:140]
	v_cvt_f32_i32_e32 v142, v140
	v_bfe_i32 v140, v155, 0, 8
	s_waitcnt lgkmcnt(0)
	v_dot4c_i32_i8 v161, v159, v127
	v_mul_lo_u32 v139, v167, v157
	v_dot4c_i32_i8 v168, v136, v154
	v_dot4c_i32_i8 v183, v174, v150
	v_mad_u64_u32 v[157:158], null, v178, v140, v[135:136]
	v_dot4c_i32_i8 v161, v160, v128
	v_cvt_f32_i32_e32 v135, v141
	v_ashrrev_i32_e32 v136, 24, v156
	v_bfe_i32 v159, v156, 0, 8
	v_bfe_i32 v156, v156, 16, 8
	v_dot4c_i32_i8 v161, v137, v129
	v_fmac_f32_e32 v172, v134, v135
	v_cvt_f32_i32_e32 v135, v157
	v_add_nc_u32_e32 v137, 0x2150, v31
	v_mad_u64_u32 v[139:140], null, v183, v159, v[139:140]
	v_dot4c_i32_i8 v161, v138, v130
	v_fma_f32 v173, v131, v135, 0
	v_mul_lo_u32 v135, v168, v136
	ds_read2_b32 v[136:137], v137 offset1:1
	v_ashrrev_i32_e32 v138, 24, v155
	v_bfe_i32 v157, v155, 16, 8
	v_fmac_f32_e32 v170, v132, v142
	v_cvt_f32_i32_e32 v142, v139
	v_add_nc_u32_e32 v139, 0x2148, v31
	v_mul_lo_u32 v126, v126, v138
	v_add_nc_u32_e32 v140, 0x2140, v31
	ds_read2_b32 v[138:139], v139 offset1:1
	ds_read2_b32 v[140:141], v140 offset1:1
	v_mov_b32_e32 v162, 0
	v_mov_b32_e32 v165, 0
	v_mad_u64_u32 v[125:126], null, v125, v157, v[126:127]
	v_add_nc_u32_e32 v126, 0x2178, v31
	v_fma_f32 v142, v133, v142, 0
	v_mov_b32_e32 v176, 0
	v_mov_b32_e32 v177, 0
	s_waitcnt lgkmcnt(2)
	v_mad_u64_u32 v[155:156], null, v161, v156, v[135:136]
	ds_read_b32 v174, v32
	ds_read_b32 v175, v34 offset:128
	ds_read2_b32 v[156:157], v35 offset0:2 offset1:3
	ds_read2_b32 v[158:159], v33 offset0:2 offset1:3
	ds_read2_b32 v[160:161], v126 offset1:1
	v_add_nc_u32_e32 v135, 0x2170, v31
	v_dot4c_i32_i8 v162, v136, v143
	v_add_nc_u32_e32 v126, 0x2160, v31
	v_add_nc_u32_e32 v166, 0x41c8, v31
	v_add_nc_u32_e32 v168, 0x41f8, v31
	ds_read2_b32 v[135:136], v135 offset1:1
	v_dot4c_i32_i8 v162, v137, v144
	v_cvt_f32_i32_e32 v137, v155
	v_cvt_f32_i32_e32 v155, v125
	ds_read2_b32 v[125:126], v126 offset1:1
	s_waitcnt lgkmcnt(7)
	v_dot4c_i32_i8 v165, v140, v147
	v_dot4c_i32_i8 v162, v163, v145
	v_fmac_f32_e32 v142, v134, v137
	v_add_nc_u32_e32 v137, 0x2168, v31
	v_add_nc_u32_e32 v140, 0x41d8, v31
	v_dot4c_i32_i8 v165, v141, v148
	v_dot4c_i32_i8 v162, v164, v146
	v_fmac_f32_e32 v173, v132, v155
	s_waitcnt lgkmcnt(3)
	v_bfe_i32 v163, v158, 8, 8
	v_bfe_i32 v164, v159, 8, 8
	v_dot4c_i32_i8 v165, v138, v149
	ds_read2_b32 v[137:138], v137 offset1:1
	ds_read2_b32 v[140:141], v140 offset1:1
	v_add_nc_u32_e32 v155, 0x41e0, v31
	v_mul_lo_u32 v124, v124, v163
	v_mov_b32_e32 v178, 0
	s_waitcnt lgkmcnt(3)
	v_dot4c_i32_i8 v176, v135, v151
	v_mul_lo_u32 v135, v162, v164
	v_bfe_i32 v162, v158, 0, 8
	v_dot4c_i32_i8 v165, v139, v150
	v_bfe_i32 v139, v159, 0, 8
	s_waitcnt lgkmcnt(2)
	v_dot4c_i32_i8 v177, v125, v127
	v_dot4c_i32_i8 v176, v136, v152
	v_mad_u64_u32 v[123:124], null, v123, v162, v[124:125]
	v_add_nc_u32_e32 v124, 0x41d0, v31
	v_add_nc_u32_e32 v125, 0x41f0, v31
	v_mad_u64_u32 v[135:136], null, v165, v139, v[135:136]
	v_dot4c_i32_i8 v177, v126, v128
	v_dot4c_i32_i8 v176, v160, v153
	v_cvt_f32_i32_e32 v139, v123
	ds_read2_b32 v[123:124], v124 offset1:1
	ds_read2_b32 v[125:126], v125 offset1:1
	v_add_nc_u32_e32 v160, 0x41c0, v31
	s_waitcnt lgkmcnt(3)
	v_dot4c_i32_i8 v177, v137, v129
	v_cvt_f32_i32_e32 v137, v135
	v_add_nc_u32_e32 v135, 0x41e8, v31
	ds_read2_b32 v[135:136], v135 offset1:1
	ds_read2_b32 v[162:163], v155 offset1:1
	;; [unrolled: 1-line block ×5, first 2 shown]
	v_dot4c_i32_i8 v177, v138, v130
	v_fma_f32 v138, v131, v139, 0
	v_mov_b32_e32 v139, 0
	v_bfe_i32 v155, v158, 16, 8
	v_ashrrev_i32_e32 v158, 24, v158
	v_dot4c_i32_i8 v176, v161, v154
	v_mov_b32_e32 v161, 0
	v_bfe_i32 v160, v159, 16, 8
	v_ashrrev_i32_e32 v159, 24, v159
	v_mul_lo_u32 v116, v116, v158
	s_waitcnt lgkmcnt(5)
	v_dot4c_i32_i8 v139, v125, v151
	v_mov_b32_e32 v151, 0
	v_fma_f32 v137, v133, v137, 0
	v_fmac_f32_e32 v22, v174, v173
	v_fmac_f32_e32 v20, v117, v170
	v_dot4c_i32_i8 v139, v126, v152
	v_dot4c_i32_i8 v151, v123, v143
	s_waitcnt lgkmcnt(2)
	v_dot4c_i32_i8 v178, v164, v147
	v_dot4c_i32_i8 v161, v162, v127
	v_ashrrev_i32_e32 v127, 24, v157
	s_waitcnt lgkmcnt(0)
	v_dot4c_i32_i8 v139, v168, v153
	v_dot4c_i32_i8 v151, v124, v144
	v_mad_u64_u32 v[124:125], null, v118, v155, v[116:117]
	v_bfe_i32 v116, v156, 8, 8
	v_dot4c_i32_i8 v178, v165, v148
	v_dot4c_i32_i8 v151, v140, v145
	v_bfe_i32 v118, v157, 8, 8
	v_bfe_i32 v125, v156, 0, 8
	v_mul_lo_u32 v116, v121, v116
	v_ashrrev_i32_e32 v121, 24, v156
	v_dot4c_i32_i8 v151, v141, v146
	v_dot4c_i32_i8 v178, v166, v149
	;; [unrolled: 1-line block ×4, first 2 shown]
	v_mul_lo_u32 v120, v120, v121
	v_mul_lo_u32 v118, v151, v118
	v_mad_u64_u32 v[121:122], null, v122, v125, v[116:117]
	v_dot4c_i32_i8 v178, v167, v150
	v_bfe_i32 v126, v157, 0, 8
	v_dot4c_i32_i8 v161, v135, v129
	v_bfe_i32 v122, v156, 16, 8
	v_mul_lo_u32 v123, v176, v159
	v_mul_lo_u32 v116, v139, v127
	v_mad_u64_u32 v[125:126], null, v178, v126, v[118:119]
	v_dot4c_i32_i8 v161, v136, v130
	v_bfe_i32 v126, v157, 16, 8
	v_mad_u64_u32 v[118:119], null, v119, v122, v[120:121]
	v_cvt_f32_i32_e32 v122, v121
	v_mad_u64_u32 v[119:120], null, v177, v160, v[123:124]
	v_mad_u64_u32 v[120:121], null, v161, v126, v[116:117]
	v_cvt_f32_i32_e32 v116, v124
	v_cvt_f32_i32_e32 v121, v125
	v_fma_f32 v122, v131, v122, 0
	v_cvt_f32_i32_e32 v118, v118
	v_cvt_f32_i32_e32 v119, v119
	v_fmac_f32_e32 v138, v132, v116
	v_fma_f32 v116, v133, v121, 0
	v_cvt_f32_i32_e32 v120, v120
	v_fmac_f32_e32 v122, v132, v118
	v_fmac_f32_e32 v137, v134, v119
	v_fmac_f32_e32 v106, v175, v138
	v_fmac_f32_e32 v22, v174, v142
	v_fmac_f32_e32 v116, v134, v120
	v_fmac_f32_e32 v103, v171, v122
	v_fmac_f32_e32 v20, v117, v172
	v_fmac_f32_e32 v106, v175, v137
	s_barrier
	v_fmac_f32_e32 v103, v171, v116
	buffer_gl0_inv
.LBB196_5:                              ;   in Loop: Header=BB196_6 Depth=1
	v_add_co_u32 v41, s1, 0xd2, v41
	v_add_co_ci_u32_e64 v42, null, 0, v42, s1
	v_add_co_u32 v43, s1, 0xd2, v43
	v_add_co_ci_u32_e64 v44, null, 0, v44, s1
	;; [unrolled: 2-line block ×34, first 2 shown]
	v_add_co_u32 v111, s1, 0xd2, v111
	v_add_nc_u32_e32 v29, 8, v29
	v_add_nc_u32_e32 v28, 8, v28
	;; [unrolled: 1-line block ×3, first 2 shown]
	v_add_co_ci_u32_e64 v112, null, 0, v112, s1
	s_add_i32 s12, s12, -1
	s_addk_i32 s4, 0x100
	s_cmp_eq_u32 s12, 0
	s_cbranch_scc1 .LBB196_17
.LBB196_6:                              ; =>This Inner Loop Header: Depth=1
	v_add_co_u32 v116, s1, v43, s8
	v_add_co_ci_u32_e64 v117, null, s19, v44, s1
	global_load_dword v134, v[116:117], off
	v_add_co_u32 v116, s1, v41, s8
	v_add_co_ci_u32_e64 v117, null, s19, v42, s1
	v_add_co_u32 v118, s1, v47, s8
	v_add_co_ci_u32_e64 v119, null, s19, v48, s1
	;; [unrolled: 2-line block ×5, first 2 shown]
	global_load_dword v138, v[116:117], off
	global_load_dword v136, v[118:119], off
	;; [unrolled: 1-line block ×5, first 2 shown]
	v_add_co_u32 v116, s1, v55, s8
	v_add_co_ci_u32_e64 v117, null, s19, v56, s1
	v_add_co_u32 v118, s1, v53, s8
	v_add_co_ci_u32_e64 v119, null, s19, v54, s1
	;; [unrolled: 2-line block ×5, first 2 shown]
	global_load_dword v142, v[116:117], off
	global_load_dword v143, v[118:119], off
	;; [unrolled: 1-line block ×5, first 2 shown]
	v_add_co_u32 v116, s1, v61, s8
	v_add_co_ci_u32_e64 v117, null, s19, v62, s1
	v_add_co_u32 v118, s1, v67, s8
	v_add_co_ci_u32_e64 v119, null, s19, v68, s1
	v_add_co_u32 v120, s1, v65, s8
	v_add_co_ci_u32_e64 v121, null, s19, v66, s1
	global_load_dword v165, v[116:117], off
	global_load_dword v166, v[118:119], off
	;; [unrolled: 1-line block ×3, first 2 shown]
	v_add_co_u32 v116, s1, v69, s8
	v_add_co_ci_u32_e64 v117, null, s19, v70, s1
	v_add_co_u32 v118, s1, v71, s8
	v_add_co_ci_u32_e64 v119, null, s19, v72, s1
	global_load_dword v117, v[116:117], off
	global_load_dword v116, v[118:119], off
	v_add_co_u32 v118, s1, v75, s8
	v_add_co_ci_u32_e64 v119, null, s19, v76, s1
	v_add_co_u32 v120, s1, v73, s8
	v_add_co_ci_u32_e64 v121, null, s19, v74, s1
	global_load_dword v122, v[118:119], off
	v_add_co_u32 v123, s1, v79, s8
	global_load_dword v120, v[120:121], off
	v_add_co_ci_u32_e64 v124, null, s19, v80, s1
	v_add_co_u32 v125, s1, v77, s8
	v_add_co_ci_u32_e64 v126, null, s19, v78, s1
	v_add_co_u32 v127, s1, v83, s8
	;; [unrolled: 2-line block ×5, first 2 shown]
	global_load_dword v133, v[125:126], off
	v_add_co_ci_u32_e64 v150, null, s19, v86, s1
	v_add_co_u32 v151, s1, v91, s8
	v_add_co_ci_u32_e64 v152, null, s19, v92, s1
	v_add_co_u32 v118, s1, v89, s8
	;; [unrolled: 2-line block ×8, first 2 shown]
	v_add_co_ci_u32_e64 v164, null, s19, v102, s1
	global_load_dword v132, v[123:124], off
	global_load_dword v130, v[127:128], off
	;; [unrolled: 1-line block ×13, first 2 shown]
	s_waitcnt vmcnt(31)
	v_and_b32_e32 v145, 0xf0f0f0f, v134
	v_lshrrev_b32_e32 v134, 4, v134
	v_and_b32_e32 v134, 0xf0f0f0f, v134
	s_waitcnt vmcnt(30)
	v_ashrrev_i32_e32 v138, v23, v138
	s_waitcnt vmcnt(29)
	v_and_b32_e32 v146, 0xf0f0f0f, v136
	v_lshrrev_b32_e32 v136, 4, v136
	s_waitcnt vmcnt(28)
	v_ashrrev_i32_e32 v137, v23, v137
	s_waitcnt vmcnt(27)
	v_and_b32_e32 v147, 0xf0f0f0f, v135
	v_lshrrev_b32_e32 v135, 4, v135
	s_waitcnt vmcnt(26)
	v_ashrrev_i32_e32 v139, v23, v139
	v_lshlrev_b32_e32 v155, 4, v138
	v_and_b32_e32 v136, 0xf0f0f0f, v136
	v_lshlrev_b32_e32 v156, 4, v137
	v_and_b32_e32 v135, 0xf0f0f0f, v135
	v_lshlrev_b32_e32 v157, 4, v139
	v_and_or_b32 v145, 0x30303030, v155, v145
	v_and_or_b32 v134, 0x30303030, v138, v134
	;; [unrolled: 1-line block ×6, first 2 shown]
	v_lshrrev_b32_e32 v147, 16, v145
	v_lshrrev_b32_e32 v155, 16, v136
	s_waitcnt vmcnt(25)
	v_and_b32_e32 v148, 0xf0f0f0f, v142
	v_lshrrev_b32_e32 v142, 4, v142
	s_waitcnt vmcnt(24)
	v_ashrrev_i32_e32 v143, v23, v143
	s_waitcnt vmcnt(22)
	v_ashrrev_i32_e32 v141, v23, v141
	v_and_b32_e32 v149, 0xf0f0f0f, v140
	v_lshrrev_b32_e32 v140, 4, v140
	s_waitcnt vmcnt(21)
	v_and_b32_e32 v150, 0xf0f0f0f, v144
	v_lshrrev_b32_e32 v144, 4, v144
	v_and_b32_e32 v142, 0xf0f0f0f, v142
	v_lshlrev_b32_e32 v158, 4, v143
	v_lshlrev_b32_e32 v159, 4, v141
	v_and_b32_e32 v140, 0xf0f0f0f, v140
	v_and_b32_e32 v144, 0xf0f0f0f, v144
	v_and_or_b32 v142, 0x30303030, v143, v142
	v_and_or_b32 v139, 0x30303030, v158, v148
	;; [unrolled: 1-line block ×3, first 2 shown]
	s_waitcnt vmcnt(20)
	v_ashrrev_i32_e32 v151, v23, v165
	s_waitcnt vmcnt(19)
	v_and_b32_e32 v152, 0xf0f0f0f, v166
	s_waitcnt vmcnt(18)
	v_ashrrev_i32_e32 v154, v23, v167
	v_and_b32_e32 v148, 0x3f00, v145
	v_lshlrev_b16 v145, 8, v145
	v_lshlrev_b32_e32 v160, 4, v151
	v_lshrrev_b32_e32 v149, 16, v134
	v_lshlrev_b32_e32 v161, 4, v154
	v_and_or_b32 v140, 0x30303030, v141, v140
	v_and_or_b32 v144, 0x30303030, v151, v144
	;; [unrolled: 1-line block ×3, first 2 shown]
	v_and_b32_e32 v150, 0x3f00, v134
	v_lshlrev_b16 v134, 8, v134
	v_lshrrev_b32_e32 v151, 16, v138
	v_and_or_b32 v146, 0x30303030, v161, v152
	v_and_b32_e32 v152, 0x3f00, v138
	v_lshlrev_b16 v138, 8, v138
	v_lshrrev_b32_e32 v157, 16, v137
	v_lshrrev_b32_e32 v159, 16, v135
	v_and_b32_e32 v156, 0x3f00, v136
	v_lshlrev_b16 v136, 8, v136
	v_lshrrev_b32_e32 v161, 16, v139
	v_lshrrev_b32_e32 v163, 16, v142
	v_add_nc_u16 v145, 0xe000, v145
	v_and_b32_e32 v175, 0x3f00, v147
	v_lshlrev_b16 v147, 8, v147
	v_and_b32_e32 v176, 0x3f00, v149
	v_lshlrev_b16 v149, 8, v149
	v_and_b32_e32 v158, 0x3f00, v137
	v_lshlrev_b16 v137, 8, v137
	v_lshrrev_b32_e32 v165, 16, v143
	v_lshrrev_b32_e32 v167, 16, v140
	v_add_nc_u16 v134, 0xe000, v134
	v_and_b32_e32 v177, 0x3f00, v151
	v_lshlrev_b16 v151, 8, v151
	v_and_b32_e32 v178, 0x3f00, v155
	v_lshlrev_b16 v155, 8, v155
	;; [unrolled: 9-line block ×3, first 2 shown]
	v_add_nc_u16 v136, 0xe000, v136
	v_and_b32_e32 v181, 0x3f00, v161
	v_lshlrev_b16 v161, 8, v161
	v_and_b32_e32 v182, 0x3f00, v163
	v_lshlrev_b16 v163, 8, v163
	v_or_b32_sdwa v145, v148, v145 dst_sel:DWORD dst_unused:UNUSED_PAD src0_sel:DWORD src1_sel:BYTE_1
	v_add_nc_u16 v147, 0xe000, v147
	v_add_nc_u16 v148, 0xe000, v149
	;; [unrolled: 1-line block ×3, first 2 shown]
	v_and_b32_e32 v183, 0x3f00, v165
	v_lshlrev_b16 v165, 8, v165
	v_lshlrev_b16 v184, 8, v167
	v_or_b32_sdwa v134, v150, v134 dst_sel:DWORD dst_unused:UNUSED_PAD src0_sel:DWORD src1_sel:BYTE_1
	v_add_nc_u16 v149, 0xe000, v151
	v_add_nc_u16 v150, 0xe000, v155
	;; [unrolled: 1-line block ×3, first 2 shown]
	v_and_b32_e32 v185, 0x3f00, v169
	v_lshlrev_b16 v169, 8, v169
	v_and_b32_e32 v186, 0x3f00, v171
	v_lshlrev_b16 v171, 8, v171
	v_or_b32_sdwa v138, v152, v138 dst_sel:DWORD dst_unused:UNUSED_PAD src0_sel:DWORD src1_sel:BYTE_1
	v_add_nc_u16 v151, 0xe000, v157
	v_add_nc_u16 v152, 0xe000, v159
	v_and_b32_e32 v162, 0x3f00, v139
	v_lshlrev_b16 v139, 8, v139
	v_and_b32_e32 v164, 0x3f00, v142
	v_lshlrev_b16 v142, 8, v142
	v_or_b32_sdwa v136, v156, v136 dst_sel:DWORD dst_unused:UNUSED_PAD src0_sel:DWORD src1_sel:BYTE_1
	v_add_nc_u16 v155, 0xe000, v161
	v_add_nc_u16 v156, 0xe000, v163
	v_or_b32_sdwa v147, v175, v147 dst_sel:DWORD dst_unused:UNUSED_PAD src0_sel:DWORD src1_sel:BYTE_1
	v_or_b32_sdwa v148, v176, v148 dst_sel:DWORD dst_unused:UNUSED_PAD src0_sel:DWORD src1_sel:BYTE_1
	v_lshrrev_b32_e32 v153, 4, v166
	v_and_b32_e32 v166, 0x3f00, v143
	v_lshlrev_b16 v143, 8, v143
	v_and_b32_e32 v168, 0x3f00, v140
	v_lshlrev_b16 v140, 8, v140
	v_and_b32_e32 v167, 0x3f00, v167
	v_or_b32_sdwa v137, v158, v137 dst_sel:DWORD dst_unused:UNUSED_PAD src0_sel:DWORD src1_sel:BYTE_1
	v_add_nc_u16 v157, 0xe000, v165
	v_add_nc_u16 v158, 0xe000, v184
	v_or_b32_sdwa v149, v177, v149 dst_sel:DWORD dst_unused:UNUSED_PAD src0_sel:DWORD src1_sel:BYTE_1
	v_or_b32_sdwa v150, v178, v150 dst_sel:DWORD dst_unused:UNUSED_PAD src0_sel:DWORD src1_sel:BYTE_1
	v_and_b32_e32 v170, 0x3f00, v141
	v_lshlrev_b16 v141, 8, v141
	v_and_b32_e32 v172, 0x3f00, v144
	v_lshlrev_b16 v144, 8, v144
	v_or_b32_sdwa v135, v160, v135 dst_sel:DWORD dst_unused:UNUSED_PAD src0_sel:DWORD src1_sel:BYTE_1
	v_add_nc_u16 v159, 0xe000, v169
	v_add_nc_u16 v160, 0xe000, v171
	v_or_b32_sdwa v151, v179, v151 dst_sel:DWORD dst_unused:UNUSED_PAD src0_sel:DWORD src1_sel:BYTE_1
	v_or_b32_sdwa v152, v180, v152 dst_sel:DWORD dst_unused:UNUSED_PAD src0_sel:DWORD src1_sel:BYTE_1
	v_add_nc_u16 v139, 0xe000, v139
	v_add_nc_u16 v142, 0xe000, v142
	v_or_b32_sdwa v155, v181, v155 dst_sel:DWORD dst_unused:UNUSED_PAD src0_sel:DWORD src1_sel:BYTE_1
	v_or_b32_sdwa v156, v182, v156 dst_sel:DWORD dst_unused:UNUSED_PAD src0_sel:DWORD src1_sel:BYTE_1
	v_add_nc_u16 v147, 0xe000, v147
	v_add_nc_u16 v148, 0xe000, v148
	v_add_nc_u16 v143, 0xe000, v143
	v_add_nc_u16 v140, 0xe000, v140
	v_or_b32_sdwa v157, v183, v157 dst_sel:DWORD dst_unused:UNUSED_PAD src0_sel:DWORD src1_sel:BYTE_1
	v_or_b32_sdwa v158, v167, v158 dst_sel:DWORD dst_unused:UNUSED_PAD src0_sel:DWORD src1_sel:BYTE_1
	v_add_nc_u16 v149, 0xe000, v149
	v_add_nc_u16 v150, 0xe000, v150
	;; [unrolled: 6-line block ×3, first 2 shown]
	v_or_b32_sdwa v139, v162, v139 dst_sel:DWORD dst_unused:UNUSED_PAD src0_sel:DWORD src1_sel:BYTE_1
	v_or_b32_sdwa v142, v164, v142 dst_sel:DWORD dst_unused:UNUSED_PAD src0_sel:DWORD src1_sel:BYTE_1
	v_add_nc_u16 v155, 0xe000, v155
	v_add_nc_u16 v156, 0xe000, v156
	v_add_nc_u16 v145, 0xe000, v145
	v_add_nc_u16 v134, 0xe000, v134
	v_lshlrev_b32_e32 v147, 16, v147
	v_lshlrev_b32_e32 v148, 16, v148
	v_or_b32_sdwa v143, v166, v143 dst_sel:DWORD dst_unused:UNUSED_PAD src0_sel:DWORD src1_sel:BYTE_1
	v_or_b32_sdwa v140, v168, v140 dst_sel:DWORD dst_unused:UNUSED_PAD src0_sel:DWORD src1_sel:BYTE_1
	v_add_nc_u16 v138, 0xe000, v138
	v_add_nc_u16 v136, 0xe000, v136
	v_add_nc_u16 v157, 0xe000, v157
	v_add_nc_u16 v158, 0xe000, v158
	v_lshlrev_b32_e32 v149, 16, v149
	v_lshlrev_b32_e32 v150, 16, v150
	;; [unrolled: 8-line block ×3, first 2 shown]
	v_add_nc_u16 v139, 0xe000, v139
	v_add_nc_u16 v142, 0xe000, v142
	v_lshlrev_b32_e32 v155, 16, v155
	v_lshlrev_b32_e32 v156, 16, v156
	v_or_b32_sdwa v145, v145, v147 dst_sel:DWORD dst_unused:UNUSED_PAD src0_sel:WORD_0 src1_sel:DWORD
	v_or_b32_sdwa v134, v134, v148 dst_sel:DWORD dst_unused:UNUSED_PAD src0_sel:WORD_0 src1_sel:DWORD
	v_and_b32_e32 v153, 0xf0f0f0f, v153
	v_add_nc_u16 v143, 0xe000, v143
	v_add_nc_u16 v140, 0xe000, v140
	v_lshlrev_b32_e32 v157, 16, v157
	v_lshlrev_b32_e32 v158, 16, v158
	v_or_b32_sdwa v138, v138, v149 dst_sel:DWORD dst_unused:UNUSED_PAD src0_sel:WORD_0 src1_sel:DWORD
	v_or_b32_sdwa v136, v136, v150 dst_sel:DWORD dst_unused:UNUSED_PAD src0_sel:WORD_0 src1_sel:DWORD
	v_add_nc_u16 v141, 0xe000, v141
	v_add_nc_u16 v144, 0xe000, v144
	v_lshlrev_b32_e32 v159, 16, v159
	v_lshlrev_b32_e32 v160, 16, v160
	v_or_b32_sdwa v137, v137, v151 dst_sel:DWORD dst_unused:UNUSED_PAD src0_sel:WORD_0 src1_sel:DWORD
	v_or_b32_sdwa v135, v135, v152 dst_sel:DWORD dst_unused:UNUSED_PAD src0_sel:WORD_0 src1_sel:DWORD
	;; [unrolled: 1-line block ×4, first 2 shown]
	ds_write2_b32 v2, v145, v134 offset1:16
	ds_write2_b32 v3, v138, v136 offset1:16
	;; [unrolled: 1-line block ×4, first 2 shown]
	v_add_co_u32 v134, s1, v107, s8
	v_or_b32_sdwa v143, v143, v157 dst_sel:DWORD dst_unused:UNUSED_PAD src0_sel:WORD_0 src1_sel:DWORD
	v_or_b32_sdwa v140, v140, v158 dst_sel:DWORD dst_unused:UNUSED_PAD src0_sel:WORD_0 src1_sel:DWORD
	v_and_or_b32 v136, 0x30303030, v154, v153
	v_or_b32_sdwa v141, v141, v159 dst_sel:DWORD dst_unused:UNUSED_PAD src0_sel:WORD_0 src1_sel:DWORD
	v_or_b32_sdwa v144, v144, v160 dst_sel:DWORD dst_unused:UNUSED_PAD src0_sel:WORD_0 src1_sel:DWORD
	v_add_co_ci_u32_e64 v135, null, s19, v108, s1
	ds_write2_b32 v6, v143, v140 offset1:16
	ds_write2_b32 v7, v141, v144 offset1:16
	v_lshlrev_b16 v137, 8, v136
	global_load_ushort v144, v[134:135], off
	v_add_co_u32 v134, s1, v109, s8
	v_lshrrev_b32_e32 v140, 16, v136
	v_and_b32_e32 v141, 0x3f00, v136
	v_add_co_ci_u32_e64 v135, null, s19, v110, s1
	v_add_co_u32 v136, s1, v111, s8
	v_add_nc_u16 v142, 0xe000, v137
	v_add_co_ci_u32_e64 v137, null, s19, v112, s1
	global_load_dword v134, v[134:135], off
	global_load_dword v135, v[136:137], off
	v_lshrrev_b32_e32 v173, 16, v146
	v_and_b32_e32 v174, 0x3f00, v146
	v_lshlrev_b16 v146, 8, v146
	s_waitcnt vmcnt(20)
	v_ashrrev_i32_e32 v117, v23, v117
	v_lshlrev_b16 v143, 8, v140
	v_lshlrev_b16 v187, 8, v173
	v_and_b32_e32 v173, 0x3f00, v173
	v_add_nc_u16 v146, 0xe000, v146
	s_waitcnt vmcnt(19)
	v_and_b32_e32 v145, 0xf0f0f0f, v116
	v_and_b32_e32 v140, 0x3f00, v140
	v_add_nc_u16 v161, 0xe000, v187
	v_add_nc_u16 v136, 0xe000, v143
	v_or_b32_sdwa v138, v174, v146 dst_sel:DWORD dst_unused:UNUSED_PAD src0_sel:DWORD src1_sel:BYTE_1
	v_lshlrev_b32_e32 v146, 4, v117
	v_lshrrev_b32_e32 v116, 4, v116
	v_or_b32_sdwa v161, v173, v161 dst_sel:DWORD dst_unused:UNUSED_PAD src0_sel:DWORD src1_sel:BYTE_1
	v_or_b32_sdwa v141, v141, v142 dst_sel:DWORD dst_unused:UNUSED_PAD src0_sel:DWORD src1_sel:BYTE_1
	;; [unrolled: 1-line block ×3, first 2 shown]
	v_and_or_b32 v137, 0x30303030, v146, v145
	v_and_b32_e32 v116, 0xf0f0f0f, v116
	v_add_nc_u16 v139, 0xe000, v161
	v_add_nc_u16 v138, 0xe000, v138
	;; [unrolled: 1-line block ×3, first 2 shown]
	v_lshlrev_b16 v142, 8, v137
	v_lshrrev_b32_e32 v140, 16, v137
	v_lshlrev_b32_e32 v139, 16, v139
	v_and_b32_e32 v137, 0x3f00, v137
	v_and_or_b32 v116, 0x30303030, v117, v116
	v_add_nc_u16 v142, 0xe000, v142
	v_add_nc_u16 v141, 0xe000, v141
	v_lshlrev_b16 v143, 8, v140
	v_lshlrev_b32_e32 v117, 16, v136
	v_and_b32_e32 v140, 0x3f00, v140
	v_or_b32_sdwa v136, v137, v142 dst_sel:DWORD dst_unused:UNUSED_PAD src0_sel:DWORD src1_sel:BYTE_1
	v_or_b32_sdwa v137, v138, v139 dst_sel:DWORD dst_unused:UNUSED_PAD src0_sel:WORD_0 src1_sel:DWORD
	v_lshrrev_b32_e32 v139, 16, v116
	v_add_nc_u16 v143, 0xe000, v143
	v_or_b32_sdwa v117, v141, v117 dst_sel:DWORD dst_unused:UNUSED_PAD src0_sel:WORD_0 src1_sel:DWORD
	s_waitcnt vmcnt(17)
	v_ashrrev_i32_e32 v120, v23, v120
	v_and_b32_e32 v142, 0xf0f0f0f, v122
	v_lshlrev_b16 v141, 8, v139
	v_or_b32_sdwa v138, v140, v143 dst_sel:DWORD dst_unused:UNUSED_PAD src0_sel:DWORD src1_sel:BYTE_1
	v_lshlrev_b16 v140, 8, v116
	v_and_b32_e32 v139, 0x3f00, v139
	v_and_b32_e32 v116, 0x3f00, v116
	v_add_nc_u16 v141, 0xe000, v141
	v_add_nc_u16 v138, 0xe000, v138
	;; [unrolled: 1-line block ×3, first 2 shown]
	v_lshlrev_b32_e32 v143, 4, v120
	ds_write2_b32 v8, v137, v117 offset1:16
	v_or_b32_sdwa v117, v139, v141 dst_sel:DWORD dst_unused:UNUSED_PAD src0_sel:DWORD src1_sel:BYTE_1
	v_add_nc_u16 v136, 0xe000, v136
	v_lshlrev_b32_e32 v138, 16, v138
	v_or_b32_sdwa v116, v116, v140 dst_sel:DWORD dst_unused:UNUSED_PAD src0_sel:DWORD src1_sel:BYTE_1
	v_and_or_b32 v137, 0x30303030, v143, v142
	v_lshrrev_b32_e32 v122, 4, v122
	v_add_nc_u16 v117, 0xe000, v117
	v_or_b32_sdwa v136, v136, v138 dst_sel:DWORD dst_unused:UNUSED_PAD src0_sel:WORD_0 src1_sel:DWORD
	v_add_nc_u16 v116, 0xe000, v116
	v_lshrrev_b32_e32 v138, 16, v137
	v_lshlrev_b16 v139, 8, v137
	v_and_b32_e32 v122, 0xf0f0f0f, v122
	v_lshlrev_b32_e32 v117, 16, v117
	v_and_b32_e32 v137, 0x3f00, v137
	v_lshlrev_b16 v140, 8, v138
	v_add_nc_u16 v139, 0xe000, v139
	v_and_or_b32 v120, 0x30303030, v120, v122
	v_or_b32_sdwa v116, v116, v117 dst_sel:DWORD dst_unused:UNUSED_PAD src0_sel:WORD_0 src1_sel:DWORD
	v_and_b32_e32 v117, 0x3f00, v138
	v_add_nc_u16 v122, 0xe000, v140
	v_or_b32_sdwa v137, v137, v139 dst_sel:DWORD dst_unused:UNUSED_PAD src0_sel:DWORD src1_sel:BYTE_1
	v_lshrrev_b32_e32 v138, 16, v120
	ds_write2_b32 v9, v136, v116 offset1:16
	s_waitcnt vmcnt(16)
	v_ashrrev_i32_e32 v116, v23, v133
	v_or_b32_sdwa v117, v117, v122 dst_sel:DWORD dst_unused:UNUSED_PAD src0_sel:DWORD src1_sel:BYTE_1
	v_add_nc_u16 v122, 0xe000, v137
	v_lshlrev_b16 v133, 8, v138
	s_waitcnt vmcnt(15)
	v_and_b32_e32 v136, 0xf0f0f0f, v132
	v_lshlrev_b32_e32 v137, 4, v116
	v_lshlrev_b16 v139, 8, v120
	v_and_b32_e32 v138, 0x3f00, v138
	v_add_nc_u16 v133, 0xe000, v133
	v_and_b32_e32 v120, 0x3f00, v120
	v_and_or_b32 v136, 0x30303030, v137, v136
	v_add_nc_u16 v137, 0xe000, v139
	v_lshrrev_b32_e32 v132, 4, v132
	v_or_b32_sdwa v133, v138, v133 dst_sel:DWORD dst_unused:UNUSED_PAD src0_sel:DWORD src1_sel:BYTE_1
	v_add_nc_u16 v117, 0xe000, v117
	v_lshrrev_b32_e32 v138, 16, v136
	v_or_b32_sdwa v120, v120, v137 dst_sel:DWORD dst_unused:UNUSED_PAD src0_sel:DWORD src1_sel:BYTE_1
	v_lshlrev_b16 v137, 8, v136
	v_and_b32_e32 v132, 0xf0f0f0f, v132
	v_add_nc_u16 v133, 0xe000, v133
	v_lshlrev_b16 v139, 8, v138
	v_and_b32_e32 v136, 0x3f00, v136
	v_add_nc_u16 v137, 0xe000, v137
	v_and_or_b32 v116, 0x30303030, v116, v132
	v_lshlrev_b32_e32 v117, 16, v117
	v_and_b32_e32 v138, 0x3f00, v138
	v_add_nc_u16 v139, 0xe000, v139
	v_lshlrev_b32_e32 v132, 16, v133
	v_or_b32_sdwa v133, v136, v137 dst_sel:DWORD dst_unused:UNUSED_PAD src0_sel:DWORD src1_sel:BYTE_1
	v_lshrrev_b32_e32 v137, 16, v116
	v_add_nc_u16 v120, 0xe000, v120
	v_or_b32_sdwa v136, v138, v139 dst_sel:DWORD dst_unused:UNUSED_PAD src0_sel:DWORD src1_sel:BYTE_1
	v_or_b32_sdwa v117, v122, v117 dst_sel:DWORD dst_unused:UNUSED_PAD src0_sel:WORD_0 src1_sel:DWORD
	v_add_nc_u16 v122, 0xe000, v133
	v_lshlrev_b16 v133, 8, v137
	v_or_b32_sdwa v120, v120, v132 dst_sel:DWORD dst_unused:UNUSED_PAD src0_sel:WORD_0 src1_sel:DWORD
	v_add_nc_u16 v132, 0xe000, v136
	v_lshlrev_b16 v136, 8, v116
	s_waitcnt vmcnt(13)
	v_ashrrev_i32_e32 v131, v23, v131
	v_and_b32_e32 v137, 0x3f00, v137
	v_add_nc_u16 v133, 0xe000, v133
	v_and_b32_e32 v116, 0x3f00, v116
	v_add_nc_u16 v136, 0xe000, v136
	v_and_b32_e32 v138, 0xf0f0f0f, v130
	v_lshlrev_b32_e32 v139, 4, v131
	v_lshlrev_b32_e32 v132, 16, v132
	v_or_b32_sdwa v133, v137, v133 dst_sel:DWORD dst_unused:UNUSED_PAD src0_sel:DWORD src1_sel:BYTE_1
	v_lshrrev_b32_e32 v130, 4, v130
	v_or_b32_sdwa v116, v116, v136 dst_sel:DWORD dst_unused:UNUSED_PAD src0_sel:DWORD src1_sel:BYTE_1
	v_and_or_b32 v136, 0x30303030, v139, v138
	v_or_b32_sdwa v122, v122, v132 dst_sel:DWORD dst_unused:UNUSED_PAD src0_sel:WORD_0 src1_sel:DWORD
	v_add_nc_u16 v132, 0xe000, v133
	v_and_b32_e32 v130, 0xf0f0f0f, v130
	v_add_nc_u16 v116, 0xe000, v116
	v_lshrrev_b32_e32 v133, 16, v136
	v_lshlrev_b16 v137, 8, v136
	v_lshlrev_b32_e32 v132, 16, v132
	v_and_or_b32 v130, 0x30303030, v131, v130
	v_and_b32_e32 v136, 0x3f00, v136
	v_lshlrev_b16 v131, 8, v133
	v_add_nc_u16 v137, 0xe000, v137
	v_or_b32_sdwa v116, v116, v132 dst_sel:DWORD dst_unused:UNUSED_PAD src0_sel:WORD_0 src1_sel:DWORD
	v_and_b32_e32 v132, 0x3f00, v133
	v_lshrrev_b32_e32 v133, 16, v130
	v_add_nc_u16 v131, 0xe000, v131
	ds_write2_b32 v10, v117, v120 offset1:16
	ds_write2_b32 v11, v122, v116 offset1:16
	v_lshlrev_b16 v122, 8, v130
	s_waitcnt vmcnt(11)
	v_ashrrev_i32_e32 v129, v23, v129
	v_lshlrev_b16 v116, 8, v133
	v_or_b32_sdwa v117, v132, v131 dst_sel:DWORD dst_unused:UNUSED_PAD src0_sel:DWORD src1_sel:BYTE_1
	v_and_b32_e32 v131, 0x3f00, v133
	v_or_b32_sdwa v136, v136, v137 dst_sel:DWORD dst_unused:UNUSED_PAD src0_sel:DWORD src1_sel:BYTE_1
	v_and_b32_e32 v130, 0x3f00, v130
	v_add_nc_u16 v116, 0xe000, v116
	v_add_nc_u16 v117, 0xe000, v117
	;; [unrolled: 1-line block ×3, first 2 shown]
	v_lshlrev_b32_e32 v132, 4, v129
	v_add_nc_u16 v120, 0xe000, v136
	v_or_b32_sdwa v116, v131, v116 dst_sel:DWORD dst_unused:UNUSED_PAD src0_sel:DWORD src1_sel:BYTE_1
	v_and_b32_e32 v131, 0xf0f0f0f, v128
	v_lshrrev_b32_e32 v128, 4, v128
	v_or_b32_sdwa v122, v130, v122 dst_sel:DWORD dst_unused:UNUSED_PAD src0_sel:DWORD src1_sel:BYTE_1
	v_lshlrev_b32_e32 v117, 16, v117
	v_add_nc_u16 v116, 0xe000, v116
	v_and_or_b32 v130, 0x30303030, v132, v131
	v_and_b32_e32 v128, 0xf0f0f0f, v128
	v_add_nc_u16 v122, 0xe000, v122
	v_or_b32_sdwa v117, v120, v117 dst_sel:DWORD dst_unused:UNUSED_PAD src0_sel:WORD_0 src1_sel:DWORD
	v_lshlrev_b32_e32 v116, 16, v116
	s_waitcnt vmcnt(9)
	v_ashrrev_i32_e32 v127, v23, v127
	v_and_or_b32 v120, 0x30303030, v129, v128
	v_lshrrev_b32_e32 v128, 16, v130
	v_lshlrev_b16 v129, 8, v130
	v_or_b32_sdwa v116, v122, v116 dst_sel:DWORD dst_unused:UNUSED_PAD src0_sel:WORD_0 src1_sel:DWORD
	v_and_b32_e32 v122, 0x3f00, v130
	v_lshrrev_b32_e32 v130, 16, v120
	v_lshlrev_b16 v131, 8, v128
	v_add_nc_u16 v129, 0xe000, v129
	ds_write2_b32 v12, v117, v116 offset1:16
	v_and_b32_e32 v116, 0x3f00, v128
	v_lshlrev_b16 v117, 8, v130
	v_add_nc_u16 v128, 0xe000, v131
	v_or_b32_sdwa v122, v122, v129 dst_sel:DWORD dst_unused:UNUSED_PAD src0_sel:DWORD src1_sel:BYTE_1
	v_lshlrev_b16 v129, 8, v120
	v_and_b32_e32 v130, 0x3f00, v130
	v_add_nc_u16 v117, 0xe000, v117
	v_or_b32_sdwa v116, v116, v128 dst_sel:DWORD dst_unused:UNUSED_PAD src0_sel:DWORD src1_sel:BYTE_1
	v_and_b32_e32 v120, 0x3f00, v120
	v_add_nc_u16 v128, 0xe000, v129
	v_and_b32_e32 v129, 0xf0f0f0f, v126
	v_or_b32_sdwa v117, v130, v117 dst_sel:DWORD dst_unused:UNUSED_PAD src0_sel:DWORD src1_sel:BYTE_1
	v_lshlrev_b32_e32 v130, 4, v127
	v_add_nc_u16 v116, 0xe000, v116
	v_add_nc_u16 v122, 0xe000, v122
	v_or_b32_sdwa v120, v120, v128 dst_sel:DWORD dst_unused:UNUSED_PAD src0_sel:DWORD src1_sel:BYTE_1
	v_add_nc_u16 v117, 0xe000, v117
	v_and_or_b32 v128, 0x30303030, v130, v129
	v_lshlrev_b32_e32 v116, 16, v116
	v_lshrrev_b32_e32 v126, 4, v126
	v_add_nc_u16 v120, 0xe000, v120
	v_lshlrev_b32_e32 v117, 16, v117
	v_lshrrev_b32_e32 v129, 16, v128
	v_or_b32_sdwa v116, v122, v116 dst_sel:DWORD dst_unused:UNUSED_PAD src0_sel:WORD_0 src1_sel:DWORD
	v_and_b32_e32 v122, 0xf0f0f0f, v126
	v_lshlrev_b16 v126, 8, v128
	v_or_b32_sdwa v117, v120, v117 dst_sel:DWORD dst_unused:UNUSED_PAD src0_sel:WORD_0 src1_sel:DWORD
	v_lshlrev_b16 v120, 8, v129
	v_and_b32_e32 v128, 0x3f00, v128
	v_and_or_b32 v122, 0x30303030, v127, v122
	v_add_nc_u16 v126, 0xe000, v126
	v_and_b32_e32 v127, 0x3f00, v129
	v_add_nc_u16 v120, 0xe000, v120
	ds_write2_b32 v13, v116, v117 offset1:16
	v_lshrrev_b32_e32 v116, 16, v122
	s_waitcnt vmcnt(7)
	v_ashrrev_i32_e32 v125, v23, v125
	v_or_b32_sdwa v117, v128, v126 dst_sel:DWORD dst_unused:UNUSED_PAD src0_sel:DWORD src1_sel:BYTE_1
	v_or_b32_sdwa v120, v127, v120 dst_sel:DWORD dst_unused:UNUSED_PAD src0_sel:DWORD src1_sel:BYTE_1
	v_lshlrev_b16 v126, 8, v122
	v_lshlrev_b16 v127, 8, v116
	v_and_b32_e32 v128, 0xf0f0f0f, v124
	v_lshlrev_b32_e32 v129, 4, v125
	v_and_b32_e32 v122, 0x3f00, v122
	v_add_nc_u16 v126, 0xe000, v126
	v_and_b32_e32 v116, 0x3f00, v116
	v_add_nc_u16 v127, 0xe000, v127
	v_and_or_b32 v128, 0x30303030, v129, v128
	v_add_nc_u16 v120, 0xe000, v120
	v_or_b32_sdwa v122, v122, v126 dst_sel:DWORD dst_unused:UNUSED_PAD src0_sel:DWORD src1_sel:BYTE_1
	v_lshrrev_b32_e32 v124, 4, v124
	v_or_b32_sdwa v116, v116, v127 dst_sel:DWORD dst_unused:UNUSED_PAD src0_sel:DWORD src1_sel:BYTE_1
	v_lshrrev_b32_e32 v126, 16, v128
	v_add_nc_u16 v117, 0xe000, v117
	v_lshlrev_b32_e32 v120, 16, v120
	v_and_b32_e32 v124, 0xf0f0f0f, v124
	v_add_nc_u16 v116, 0xe000, v116
	v_lshlrev_b16 v127, 8, v126
	v_add_nc_u16 v122, 0xe000, v122
	v_lshlrev_b16 v129, 8, v128
	v_and_b32_e32 v126, 0x3f00, v126
	v_lshlrev_b32_e32 v116, 16, v116
	v_add_nc_u16 v127, 0xe000, v127
	v_or_b32_sdwa v117, v117, v120 dst_sel:DWORD dst_unused:UNUSED_PAD src0_sel:WORD_0 src1_sel:DWORD
	v_and_or_b32 v120, 0x30303030, v125, v124
	v_and_b32_e32 v128, 0x3f00, v128
	v_add_nc_u16 v129, 0xe000, v129
	v_or_b32_sdwa v124, v126, v127 dst_sel:DWORD dst_unused:UNUSED_PAD src0_sel:DWORD src1_sel:BYTE_1
	v_or_b32_sdwa v116, v122, v116 dst_sel:DWORD dst_unused:UNUSED_PAD src0_sel:WORD_0 src1_sel:DWORD
	s_waitcnt vmcnt(5)
	v_ashrrev_i32_e32 v122, v23, v123
	v_lshrrev_b32_e32 v123, 16, v120
	v_or_b32_sdwa v125, v128, v129 dst_sel:DWORD dst_unused:UNUSED_PAD src0_sel:DWORD src1_sel:BYTE_1
	v_add_nc_u16 v124, 0xe000, v124
	v_and_b32_e32 v126, 0xf0f0f0f, v121
	v_lshlrev_b32_e32 v127, 4, v122
	v_lshlrev_b16 v128, 8, v123
	v_add_nc_u16 v125, 0xe000, v125
	v_lshlrev_b32_e32 v124, 16, v124
	v_lshlrev_b16 v129, 8, v120
	v_and_b32_e32 v123, 0x3f00, v123
	v_and_or_b32 v126, 0x30303030, v127, v126
	v_add_nc_u16 v127, 0xe000, v128
	v_or_b32_sdwa v124, v125, v124 dst_sel:DWORD dst_unused:UNUSED_PAD src0_sel:WORD_0 src1_sel:DWORD
	v_and_b32_e32 v120, 0x3f00, v120
	v_add_nc_u16 v125, 0xe000, v129
	v_lshlrev_b16 v128, 8, v126
	v_or_b32_sdwa v123, v123, v127 dst_sel:DWORD dst_unused:UNUSED_PAD src0_sel:DWORD src1_sel:BYTE_1
	v_lshrrev_b32_e32 v127, 16, v126
	v_lshrrev_b32_e32 v121, 4, v121
	v_and_b32_e32 v126, 0x3f00, v126
	v_add_nc_u16 v128, 0xe000, v128
	v_or_b32_sdwa v120, v120, v125 dst_sel:DWORD dst_unused:UNUSED_PAD src0_sel:DWORD src1_sel:BYTE_1
	v_lshlrev_b16 v125, 8, v127
	v_and_b32_e32 v121, 0xf0f0f0f, v121
	v_add_nc_u16 v123, 0xe000, v123
	v_or_b32_sdwa v126, v126, v128 dst_sel:DWORD dst_unused:UNUSED_PAD src0_sel:DWORD src1_sel:BYTE_1
	v_and_b32_e32 v127, 0x3f00, v127
	v_add_nc_u16 v125, 0xe000, v125
	v_and_or_b32 v121, 0x30303030, v122, v121
	s_waitcnt vmcnt(3)
	v_ashrrev_i32_e32 v119, v23, v119
	v_lshrrev_b32_e32 v128, 4, v118
	v_lshlrev_b32_e32 v122, 16, v123
	v_add_nc_u16 v123, 0xe000, v126
	v_or_b32_sdwa v125, v127, v125 dst_sel:DWORD dst_unused:UNUSED_PAD src0_sel:DWORD src1_sel:BYTE_1
	v_lshrrev_b32_e32 v126, 16, v121
	v_lshlrev_b16 v127, 8, v121
	v_and_b32_e32 v118, 0xf0f0f0f, v118
	v_lshlrev_b32_e32 v129, 4, v119
	v_and_b32_e32 v128, 0xf0f0f0f, v128
	v_and_b32_e32 v121, 0x3f00, v121
	v_add_nc_u16 v127, 0xe000, v127
	v_lshlrev_b16 v130, 8, v126
	v_and_or_b32 v118, 0x30303030, v129, v118
	v_and_or_b32 v119, 0x30303030, v119, v128
	v_and_b32_e32 v126, 0x3f00, v126
	v_or_b32_sdwa v121, v121, v127 dst_sel:DWORD dst_unused:UNUSED_PAD src0_sel:DWORD src1_sel:BYTE_1
	v_add_nc_u16 v127, 0xe000, v130
	v_lshrrev_b32_e32 v128, 16, v118
	v_lshrrev_b32_e32 v129, 16, v119
	v_and_b32_e32 v130, 0x3f00, v118
	v_lshlrev_b16 v118, 8, v118
	v_or_b32_sdwa v126, v126, v127 dst_sel:DWORD dst_unused:UNUSED_PAD src0_sel:DWORD src1_sel:BYTE_1
	v_lshlrev_b16 v127, 8, v128
	v_lshlrev_b16 v131, 8, v129
	v_and_b32_e32 v128, 0x3f00, v128
	v_lshlrev_b16 v132, 8, v119
	v_and_b32_e32 v129, 0x3f00, v129
	v_add_nc_u16 v127, 0xe000, v127
	v_add_nc_u16 v131, 0xe000, v131
	;; [unrolled: 1-line block ×3, first 2 shown]
	v_and_b32_e32 v119, 0x3f00, v119
	v_add_nc_u16 v125, 0xe000, v125
	v_or_b32_sdwa v127, v128, v127 dst_sel:DWORD dst_unused:UNUSED_PAD src0_sel:DWORD src1_sel:BYTE_1
	v_add_nc_u16 v128, 0xe000, v132
	v_or_b32_sdwa v129, v129, v131 dst_sel:DWORD dst_unused:UNUSED_PAD src0_sel:DWORD src1_sel:BYTE_1
	;; [unrolled: 2-line block ×4, first 2 shown]
	v_add_nc_u16 v128, 0xe000, v129
	v_add_nc_u16 v120, 0xe000, v120
	v_lshlrev_b32_e32 v125, 16, v125
	v_add_nc_u16 v121, 0xe000, v121
	v_lshlrev_b32_e32 v126, 16, v126
	;; [unrolled: 2-line block ×4, first 2 shown]
	v_or_b32_sdwa v120, v120, v122 dst_sel:DWORD dst_unused:UNUSED_PAD src0_sel:WORD_0 src1_sel:DWORD
	ds_write2_b32 v14, v117, v116 offset1:16
	s_waitcnt vmcnt(2)
	v_cvt_f32_f16_e32 v116, v144
	v_or_b32_sdwa v122, v123, v125 dst_sel:DWORD dst_unused:UNUSED_PAD src0_sel:WORD_0 src1_sel:DWORD
	v_or_b32_sdwa v121, v121, v126 dst_sel:DWORD dst_unused:UNUSED_PAD src0_sel:WORD_0 src1_sel:DWORD
	s_add_i32 s1, s4, 0xffffff80
	v_or_b32_sdwa v118, v118, v127 dst_sel:DWORD dst_unused:UNUSED_PAD src0_sel:WORD_0 src1_sel:DWORD
	v_or_b32_sdwa v119, v119, v128 dst_sel:DWORD dst_unused:UNUSED_PAD src0_sel:WORD_0 src1_sel:DWORD
	s_cmp_lt_i32 s1, s9
	ds_write2_b32 v15, v124, v120 offset1:16
	ds_write2_b32 v16, v122, v121 offset1:16
	;; [unrolled: 1-line block ×3, first 2 shown]
	ds_write_b32 v24, v116
	s_waitcnt vmcnt(1)
	ds_write_b32 v113, v134
	s_waitcnt vmcnt(0)
	ds_write_b32 v114, v135
	s_cbranch_scc0 .LBB196_5
; %bb.7:                                ;   in Loop: Header=BB196_6 Depth=1
	v_cmp_gt_i32_e64 s1, s18, v28
	s_and_b32 s5, s0, s1
	s_and_saveexec_b32 s1, s5
	s_cbranch_execz .LBB196_9
; %bb.8:                                ;   in Loop: Header=BB196_6 Depth=1
	v_add_nc_u32_e32 v116, v39, v28
	v_mad_i64_i32 v[116:117], null, v116, 36, v[18:19]
	global_load_dword v116, v[116:117], off offset:4
	s_waitcnt vmcnt(0)
	ds_write_b32 v27, v116
.LBB196_9:                              ;   in Loop: Header=BB196_6 Depth=1
	s_or_b32 exec_lo, exec_lo, s1
	v_cmp_gt_i32_e64 s1, s18, v115
	s_and_b32 s5, s10, s1
	s_and_saveexec_b32 s1, s5
	s_cbranch_execz .LBB196_11
; %bb.10:                               ;   in Loop: Header=BB196_6 Depth=1
	v_add_nc_u32_e32 v116, v39, v115
	v_mad_i64_i32 v[116:117], null, v116, 36, s[6:7]
	global_load_dword v116, v[116:117], off
	v_add_nc_u32_e32 v117, v25, v1
	s_waitcnt vmcnt(0)
	v_cvt_f32_f16_e32 v116, v116
	ds_write_b32 v117, v116
.LBB196_11:                             ;   in Loop: Header=BB196_6 Depth=1
	s_or_b32 exec_lo, exec_lo, s1
	s_waitcnt lgkmcnt(0)
	s_barrier
	buffer_gl0_inv
	ds_read2_b32 v[116:117], v31 offset0:12 offset1:13
	ds_read_b128 v[127:130], v26 offset:48
	ds_read_b128 v[131:134], v26 offset:32
	ds_read2_b32 v[118:119], v31 offset0:4 offset1:5
	ds_read2_b32 v[120:121], v31 offset0:8 offset1:9
	ds_read_b128 v[135:138], v26 offset:16
	ds_read_b128 v[139:142], v26
	ds_read2_b32 v[122:123], v31 offset0:14 offset1:15
	ds_read2_b32 v[143:144], v31 offset0:10 offset1:11
	;; [unrolled: 1-line block ×4, first 2 shown]
	ds_read2_b32 v[149:150], v31 offset1:1
	v_mov_b32_e32 v126, 0
	v_add_nc_u32_e32 v124, 0x20b0, v31
	v_mov_b32_e32 v125, 0
	v_mov_b32_e32 v177, 0
	v_add_nc_u32_e32 v153, 0x2090, v31
	v_mov_b32_e32 v178, 0
	ds_read2_b32 v[151:152], v124 offset1:1
	v_add_nc_u32_e32 v124, 0x4118, v31
	v_add_nc_u32_e32 v165, 0x4138, v31
	s_waitcnt lgkmcnt(11)
	v_dot4c_i32_i8 v126, v116, v127
	v_add_nc_u32_e32 v116, 0x2088, v31
	v_mov_b32_e32 v179, 0
	s_waitcnt lgkmcnt(8)
	v_dot4c_i32_i8 v125, v120, v131
	s_waitcnt lgkmcnt(7)
	v_dot4c_i32_i8 v177, v118, v135
	v_dot4c_i32_i8 v126, v117, v128
	v_add_nc_u32_e32 v117, 0x2080, v31
	v_add_nc_u32_e32 v118, 0x20b8, v31
	v_dot4c_i32_i8 v125, v121, v132
	v_dot4c_i32_i8 v177, v119, v136
	s_waitcnt lgkmcnt(5)
	v_dot4c_i32_i8 v126, v122, v129
	ds_read2_b32 v[121:122], v153 offset1:1
	ds_read2_b32 v[153:154], v116 offset1:1
	;; [unrolled: 1-line block ×4, first 2 shown]
	v_mov_b32_e32 v116, 0
	s_waitcnt lgkmcnt(5)
	v_dot4c_i32_i8 v178, v149, v139
	v_add_nc_u32_e32 v119, 0x20a8, v31
	v_dot4c_i32_i8 v126, v123, v130
	v_dot4c_i32_i8 v125, v143, v133
	s_waitcnt lgkmcnt(4)
	v_dot4c_i32_i8 v116, v151, v127
	v_dot4c_i32_i8 v178, v150, v140
	v_add_nc_u32_e32 v123, 0x2098, v31
	v_add_nc_u32_e32 v120, 0x20a0, v31
	v_dot4c_i32_i8 v177, v145, v137
	v_dot4c_i32_i8 v116, v152, v128
	;; [unrolled: 1-line block ×3, first 2 shown]
	ds_read2_b32 v[149:150], v119 offset1:1
	ds_read2_b32 v[119:120], v120 offset1:1
	;; [unrolled: 1-line block ×3, first 2 shown]
	v_dot4c_i32_i8 v125, v144, v134
	ds_read2_b32 v[143:144], v123 offset1:1
	v_add_nc_u32_e32 v123, 0x4128, v31
	v_add_nc_u32_e32 v124, 0x4120, v31
	v_dot4c_i32_i8 v177, v146, v138
	v_dot4c_i32_i8 v178, v148, v142
	s_waitcnt lgkmcnt(4)
	v_dot4c_i32_i8 v116, v117, v129
	v_add_nc_u32_e32 v117, 0x4130, v31
	ds_read2_b32 v[145:146], v117 offset1:1
	ds_read2_b32 v[147:148], v123 offset1:1
	;; [unrolled: 1-line block ×3, first 2 shown]
	v_dot4c_i32_i8 v116, v118, v130
	v_mov_b32_e32 v118, 0
	v_add_nc_u32_e32 v117, 0x4110, v31
	v_add_nc_u32_e32 v123, 0x4108, v31
	;; [unrolled: 1-line block ×3, first 2 shown]
	ds_read2_b32 v[159:160], v117 offset1:1
	ds_read2_b32 v[161:162], v123 offset1:1
	;; [unrolled: 1-line block ×4, first 2 shown]
	s_waitcnt lgkmcnt(9)
	v_dot4c_i32_i8 v118, v119, v131
	v_mov_b32_e32 v124, 0
	v_mov_b32_e32 v119, 0
	v_add_nc_u32_e32 v117, 0x6198, v31
	v_mov_b32_e32 v123, 0
	v_dot4c_i32_i8 v118, v120, v132
	v_dot4c_i32_i8 v124, v121, v135
	v_mov_b32_e32 v120, 0
	ds_read2_b32 v[167:168], v117 offset1:1
	ds_read_b32 v117, v38 offset:384
	v_mov_b32_e32 v121, 0
	s_waitcnt lgkmcnt(6)
	v_dot4c_i32_i8 v119, v151, v131
	v_dot4c_i32_i8 v124, v122, v136
	;; [unrolled: 1-line block ×3, first 2 shown]
	v_add_nc_u32_e32 v145, 0x61a0, v31
	v_dot4c_i32_i8 v123, v155, v139
	v_dot4c_i32_i8 v119, v152, v132
	;; [unrolled: 1-line block ×3, first 2 shown]
	v_add_nc_u32_e32 v143, 0x61b0, v31
	v_dot4c_i32_i8 v120, v146, v128
	s_waitcnt lgkmcnt(5)
	v_dot4c_i32_i8 v121, v159, v135
	v_dot4c_i32_i8 v119, v147, v133
	v_add_nc_u32_e32 v147, 0x6190, v31
	v_dot4c_i32_i8 v124, v144, v138
	v_mov_b32_e32 v122, 0
	v_dot4c_i32_i8 v118, v149, v133
	v_dot4c_i32_i8 v119, v148, v134
	ds_read2_b32 v[143:144], v143 offset1:1
	ds_read2_b32 v[145:146], v145 offset1:1
	;; [unrolled: 1-line block ×3, first 2 shown]
	v_dot4c_i32_i8 v123, v156, v140
	v_dot4c_i32_i8 v121, v160, v136
	s_waitcnt lgkmcnt(6)
	v_dot4c_i32_i8 v122, v163, v139
	v_add_nc_u32_e32 v149, 0x6188, v31
	v_mov_b32_e32 v180, 0
	v_mov_b32_e32 v181, 0
	v_dot4c_i32_i8 v118, v150, v134
	v_add_nc_u32_e32 v150, 0x6180, v31
	v_add_nc_u32_e32 v151, 0x61b8, v31
	v_dot4c_i32_i8 v123, v153, v141
	s_waitcnt lgkmcnt(5)
	v_dot4c_i32_i8 v120, v165, v129
	v_dot4c_i32_i8 v121, v157, v137
	;; [unrolled: 1-line block ×3, first 2 shown]
	ds_read2_b32 v[155:156], v149 offset1:1
	ds_read2_b32 v[159:160], v150 offset1:1
	;; [unrolled: 1-line block ×3, first 2 shown]
	v_add_nc_u32_e32 v149, 0x61a8, v31
	v_add_nc_u32_e32 v150, 0x61d8, v31
	v_dot4c_i32_i8 v123, v154, v142
	s_waitcnt lgkmcnt(5)
	v_dot4c_i32_i8 v179, v143, v127
	s_waitcnt lgkmcnt(4)
	;; [unrolled: 2-line block ×3, first 2 shown]
	v_dot4c_i32_i8 v181, v147, v135
	v_dot4c_i32_i8 v120, v166, v130
	ds_read2_b32 v[165:166], v149 offset1:1
	ds_read2_b32 v[169:170], v150 offset1:1
	v_dot4c_i32_i8 v121, v158, v138
	v_dot4c_i32_i8 v179, v144, v128
	;; [unrolled: 1-line block ×4, first 2 shown]
	ds_read_b128 v[143:146], v26 offset:80
	ds_read_b128 v[147:150], v26 offset:64
	ds_read2_b32 v[131:132], v31 offset0:20 offset1:21
	ds_read_b128 v[151:154], v26 offset:112
	ds_read2_b32 v[135:136], v31 offset0:30 offset1:31
	ds_read2_b32 v[157:158], v31 offset0:28 offset1:29
	;; [unrolled: 1-line block ×5, first 2 shown]
	v_mov_b32_e32 v182, 0
	v_mov_b32_e32 v183, 0
	v_dot4c_i32_i8 v122, v161, v141
	v_dot4c_i32_i8 v181, v167, v137
	v_mov_b32_e32 v167, 0
	s_waitcnt lgkmcnt(12)
	v_dot4c_i32_i8 v182, v159, v139
	v_add_nc_u32_e32 v139, 0x61c0, v31
	s_waitcnt lgkmcnt(11)
	v_dot4c_i32_i8 v179, v163, v129
	v_dot4c_i32_i8 v181, v168, v138
	v_mov_b32_e32 v168, 0
	v_dot4c_i32_i8 v182, v160, v140
	v_dot4c_i32_i8 v122, v162, v142
	v_dot4c_i32_i8 v179, v164, v130
	s_waitcnt lgkmcnt(6)
	v_dot4c_i32_i8 v167, v131, v143
	v_add_nc_u32_e32 v131, 0x61d0, v31
	v_dot4c_i32_i8 v180, v165, v133
	s_waitcnt lgkmcnt(3)
	v_dot4c_i32_i8 v168, v157, v151
	v_add_nc_u32_e32 v133, 0x61f0, v31
	v_dot4c_i32_i8 v167, v132, v144
	ds_read2_b32 v[131:132], v131 offset1:1
	ds_read2_b32 v[139:140], v139 offset1:1
	v_dot4c_i32_i8 v168, v158, v152
	v_dot4c_i32_i8 v180, v166, v134
	;; [unrolled: 1-line block ×3, first 2 shown]
	s_waitcnt lgkmcnt(2)
	v_dot4c_i32_i8 v183, v175, v147
	v_add_nc_u32_e32 v157, 0x61f8, v31
	v_dot4c_i32_i8 v168, v135, v153
	ds_read2_b32 v[134:135], v133 offset1:1
	v_add_nc_u32_e32 v133, 0x61c8, v31
	ds_read_b128 v[127:130], v26 offset:96
	ds_read2_b32 v[137:138], v31 offset0:26 offset1:27
	v_dot4c_i32_i8 v182, v156, v142
	v_dot4c_i32_i8 v167, v171, v145
	;; [unrolled: 1-line block ×3, first 2 shown]
	ds_read_b32 v171, v36 offset:256
	ds_read2_b32 v[141:142], v37 offset1:1
	ds_read2_b32 v[155:156], v133 offset1:1
	ds_read2_b32 v[157:158], v157 offset1:1
	v_mov_b32_e32 v165, 0
	v_add_nc_u32_e32 v159, 0x61e0, v31
	v_dot4c_i32_i8 v167, v172, v146
	v_dot4c_i32_i8 v183, v173, v149
	v_mov_b32_e32 v173, 0
	s_waitcnt lgkmcnt(8)
	v_dot4c_i32_i8 v165, v131, v143
	v_mov_b32_e32 v172, 0
	ds_read2_b32 v[159:160], v159 offset1:1
	v_add_nc_u32_e32 v131, 0x61e8, v31
	s_waitcnt lgkmcnt(8)
	v_dot4c_i32_i8 v173, v139, v147
	v_dot4c_i32_i8 v165, v132, v144
	v_add_nc_u32_e32 v133, 0x20d8, v31
	s_waitcnt lgkmcnt(7)
	v_dot4c_i32_i8 v172, v134, v151
	ds_read2_b32 v[161:162], v131 offset1:1
	ds_read2_b32 v[163:164], v133 offset1:1
	v_dot4c_i32_i8 v173, v140, v148
	v_dot4c_i32_i8 v165, v169, v145
	;; [unrolled: 1-line block ×3, first 2 shown]
	s_waitcnt lgkmcnt(5)
	v_bfe_i32 v135, v141, 8, 8
	v_bfe_i32 v139, v142, 8, 8
	s_waitcnt lgkmcnt(4)
	v_dot4c_i32_i8 v173, v155, v149
	v_dot4c_i32_i8 v165, v170, v146
	ds_read_b128 v[131:134], v1 offset:36944
	v_mul_lo_u32 v135, v181, v135
	v_mov_b32_e32 v169, 0
	v_dot4c_i32_i8 v173, v156, v150
	ds_read2_b32 v[155:156], v30 offset1:1
	v_bfe_i32 v140, v141, 0, 8
	v_mul_lo_u32 v139, v165, v139
	s_waitcnt lgkmcnt(5)
	v_dot4c_i32_i8 v172, v157, v153
	s_waitcnt lgkmcnt(4)
	v_dot4c_i32_i8 v169, v159, v127
	v_bfe_i32 v157, v142, 0, 8
	v_mad_u64_u32 v[165:166], null, v182, v140, v[135:136]
	v_ashrrev_i32_e32 v135, 24, v141
	v_dot4c_i32_i8 v169, v160, v128
	ds_read2_b32 v[159:160], v31 offset0:24 offset1:25
	v_mad_u64_u32 v[139:140], null, v173, v157, v[139:140]
	v_mul_lo_u32 v135, v179, v135
	v_dot4c_i32_i8 v172, v158, v154
	v_cvt_f32_i32_e32 v140, v165
	v_ashrrev_i32_e32 v157, 24, v142
	v_bfe_i32 v141, v141, 16, 8
	s_waitcnt lgkmcnt(4)
	v_dot4c_i32_i8 v169, v161, v129
	v_cvt_f32_i32_e32 v158, v139
	s_waitcnt lgkmcnt(2)
	v_fma_f32 v170, v131, v140, 0
	v_mul_lo_u32 v139, v172, v157
	v_mad_u64_u32 v[140:141], null, v180, v141, v[135:136]
	s_waitcnt lgkmcnt(1)
	v_bfe_i32 v135, v155, 8, 8
	v_dot4c_i32_i8 v169, v162, v130
	v_bfe_i32 v141, v142, 16, 8
	v_mov_b32_e32 v161, 0
	v_bfe_i32 v157, v156, 8, 8
	v_mul_lo_u32 v135, v177, v135
	v_fma_f32 v172, v133, v158, 0
	v_mad_u64_u32 v[141:142], null, v169, v141, v[139:140]
	v_cvt_f32_i32_e32 v142, v140
	v_bfe_i32 v140, v155, 0, 8
	s_waitcnt lgkmcnt(0)
	v_dot4c_i32_i8 v161, v159, v127
	v_mul_lo_u32 v139, v167, v157
	v_dot4c_i32_i8 v168, v136, v154
	v_dot4c_i32_i8 v183, v174, v150
	v_mad_u64_u32 v[157:158], null, v178, v140, v[135:136]
	v_dot4c_i32_i8 v161, v160, v128
	v_cvt_f32_i32_e32 v135, v141
	v_ashrrev_i32_e32 v136, 24, v156
	v_bfe_i32 v159, v156, 0, 8
	v_bfe_i32 v156, v156, 16, 8
	v_dot4c_i32_i8 v161, v137, v129
	v_fmac_f32_e32 v172, v134, v135
	v_cvt_f32_i32_e32 v135, v157
	v_add_nc_u32_e32 v137, 0x20d0, v31
	v_mad_u64_u32 v[139:140], null, v183, v159, v[139:140]
	v_dot4c_i32_i8 v161, v138, v130
	v_fma_f32 v173, v131, v135, 0
	v_mul_lo_u32 v135, v168, v136
	ds_read2_b32 v[136:137], v137 offset1:1
	v_ashrrev_i32_e32 v138, 24, v155
	v_bfe_i32 v157, v155, 16, 8
	v_fmac_f32_e32 v170, v132, v142
	v_cvt_f32_i32_e32 v142, v139
	v_add_nc_u32_e32 v139, 0x20c8, v31
	v_mul_lo_u32 v126, v126, v138
	v_add_nc_u32_e32 v140, 0x20c0, v31
	ds_read2_b32 v[138:139], v139 offset1:1
	ds_read2_b32 v[140:141], v140 offset1:1
	v_mov_b32_e32 v162, 0
	v_mov_b32_e32 v165, 0
	v_mad_u64_u32 v[125:126], null, v125, v157, v[126:127]
	v_add_nc_u32_e32 v126, 0x20f8, v31
	v_fma_f32 v142, v133, v142, 0
	v_mov_b32_e32 v176, 0
	v_mov_b32_e32 v177, 0
	s_waitcnt lgkmcnt(2)
	v_mad_u64_u32 v[155:156], null, v161, v156, v[135:136]
	ds_read_b32 v174, v32
	ds_read_b32 v175, v34 offset:128
	ds_read2_b32 v[156:157], v35 offset1:1
	ds_read2_b32 v[158:159], v33 offset1:1
	;; [unrolled: 1-line block ×3, first 2 shown]
	v_add_nc_u32_e32 v135, 0x20f0, v31
	v_dot4c_i32_i8 v162, v136, v143
	v_add_nc_u32_e32 v126, 0x20e0, v31
	v_add_nc_u32_e32 v166, 0x4148, v31
	;; [unrolled: 1-line block ×3, first 2 shown]
	ds_read2_b32 v[135:136], v135 offset1:1
	v_dot4c_i32_i8 v162, v137, v144
	v_cvt_f32_i32_e32 v137, v155
	v_cvt_f32_i32_e32 v155, v125
	ds_read2_b32 v[125:126], v126 offset1:1
	s_waitcnt lgkmcnt(7)
	v_dot4c_i32_i8 v165, v140, v147
	v_dot4c_i32_i8 v162, v163, v145
	v_fmac_f32_e32 v142, v134, v137
	v_add_nc_u32_e32 v137, 0x20e8, v31
	v_add_nc_u32_e32 v140, 0x4158, v31
	v_dot4c_i32_i8 v165, v141, v148
	v_dot4c_i32_i8 v162, v164, v146
	v_fmac_f32_e32 v173, v132, v155
	s_waitcnt lgkmcnt(3)
	v_bfe_i32 v163, v158, 8, 8
	v_bfe_i32 v164, v159, 8, 8
	v_dot4c_i32_i8 v165, v138, v149
	ds_read2_b32 v[137:138], v137 offset1:1
	ds_read2_b32 v[140:141], v140 offset1:1
	v_add_nc_u32_e32 v155, 0x4160, v31
	v_mul_lo_u32 v124, v124, v163
	v_mov_b32_e32 v178, 0
	s_waitcnt lgkmcnt(3)
	v_dot4c_i32_i8 v176, v135, v151
	v_mul_lo_u32 v135, v162, v164
	v_bfe_i32 v162, v158, 0, 8
	v_dot4c_i32_i8 v165, v139, v150
	v_bfe_i32 v139, v159, 0, 8
	s_waitcnt lgkmcnt(2)
	v_dot4c_i32_i8 v177, v125, v127
	v_dot4c_i32_i8 v176, v136, v152
	v_mad_u64_u32 v[123:124], null, v123, v162, v[124:125]
	v_add_nc_u32_e32 v124, 0x4150, v31
	v_add_nc_u32_e32 v125, 0x4170, v31
	v_mad_u64_u32 v[135:136], null, v165, v139, v[135:136]
	v_dot4c_i32_i8 v177, v126, v128
	v_dot4c_i32_i8 v176, v160, v153
	v_cvt_f32_i32_e32 v139, v123
	ds_read2_b32 v[123:124], v124 offset1:1
	ds_read2_b32 v[125:126], v125 offset1:1
	v_add_nc_u32_e32 v160, 0x4140, v31
	s_waitcnt lgkmcnt(3)
	v_dot4c_i32_i8 v177, v137, v129
	v_cvt_f32_i32_e32 v137, v135
	v_add_nc_u32_e32 v135, 0x4168, v31
	ds_read2_b32 v[135:136], v135 offset1:1
	ds_read2_b32 v[162:163], v155 offset1:1
	;; [unrolled: 1-line block ×5, first 2 shown]
	v_dot4c_i32_i8 v177, v138, v130
	v_fma_f32 v138, v131, v139, 0
	v_mov_b32_e32 v139, 0
	v_bfe_i32 v155, v158, 16, 8
	v_ashrrev_i32_e32 v158, 24, v158
	v_dot4c_i32_i8 v176, v161, v154
	v_mov_b32_e32 v161, 0
	v_bfe_i32 v160, v159, 16, 8
	v_ashrrev_i32_e32 v159, 24, v159
	v_mul_lo_u32 v116, v116, v158
	s_waitcnt lgkmcnt(5)
	v_dot4c_i32_i8 v139, v125, v151
	v_mov_b32_e32 v151, 0
	v_fma_f32 v137, v133, v137, 0
	v_fmac_f32_e32 v22, v174, v173
	v_fmac_f32_e32 v20, v117, v170
	v_dot4c_i32_i8 v139, v126, v152
	v_dot4c_i32_i8 v151, v123, v143
	s_waitcnt lgkmcnt(2)
	v_dot4c_i32_i8 v178, v164, v147
	v_dot4c_i32_i8 v161, v162, v127
	v_ashrrev_i32_e32 v127, 24, v157
	s_waitcnt lgkmcnt(0)
	v_dot4c_i32_i8 v139, v168, v153
	v_dot4c_i32_i8 v151, v124, v144
	v_mad_u64_u32 v[124:125], null, v118, v155, v[116:117]
	v_bfe_i32 v116, v156, 8, 8
	v_dot4c_i32_i8 v178, v165, v148
	v_dot4c_i32_i8 v151, v140, v145
	v_bfe_i32 v118, v157, 8, 8
	v_bfe_i32 v125, v156, 0, 8
	v_mul_lo_u32 v116, v121, v116
	v_ashrrev_i32_e32 v121, 24, v156
	v_dot4c_i32_i8 v151, v141, v146
	v_dot4c_i32_i8 v178, v166, v149
	;; [unrolled: 1-line block ×4, first 2 shown]
	v_mul_lo_u32 v120, v120, v121
	v_mul_lo_u32 v118, v151, v118
	v_mad_u64_u32 v[121:122], null, v122, v125, v[116:117]
	v_dot4c_i32_i8 v178, v167, v150
	v_bfe_i32 v126, v157, 0, 8
	v_dot4c_i32_i8 v161, v135, v129
	v_bfe_i32 v122, v156, 16, 8
	v_mul_lo_u32 v123, v176, v159
	v_mul_lo_u32 v116, v139, v127
	v_mad_u64_u32 v[125:126], null, v178, v126, v[118:119]
	v_dot4c_i32_i8 v161, v136, v130
	v_bfe_i32 v126, v157, 16, 8
	v_mad_u64_u32 v[118:119], null, v119, v122, v[120:121]
	v_cvt_f32_i32_e32 v122, v121
	v_mad_u64_u32 v[119:120], null, v177, v160, v[123:124]
	v_mad_u64_u32 v[120:121], null, v161, v126, v[116:117]
	v_cvt_f32_i32_e32 v116, v124
	v_cvt_f32_i32_e32 v121, v125
	v_fma_f32 v122, v131, v122, 0
	v_cvt_f32_i32_e32 v118, v118
	v_cvt_f32_i32_e32 v119, v119
	v_fmac_f32_e32 v138, v132, v116
	v_fma_f32 v116, v133, v121, 0
	v_cvt_f32_i32_e32 v120, v120
	v_fmac_f32_e32 v122, v132, v118
	v_fmac_f32_e32 v137, v134, v119
	;; [unrolled: 1-line block ×8, first 2 shown]
	s_cmp_ge_i32 s4, s9
	v_fmac_f32_e32 v103, v171, v116
	s_barrier
	buffer_gl0_inv
	s_cbranch_scc1 .LBB196_5
; %bb.12:                               ;   in Loop: Header=BB196_6 Depth=1
	v_cmp_gt_i32_e64 s1, s18, v29
	s_and_b32 s5, s0, s1
	s_and_saveexec_b32 s1, s5
	s_cbranch_execz .LBB196_14
; %bb.13:                               ;   in Loop: Header=BB196_6 Depth=1
	v_add_nc_u32_e32 v116, v39, v29
	v_mad_i64_i32 v[116:117], null, v116, 36, v[18:19]
	global_load_dword v116, v[116:117], off offset:4
	s_waitcnt vmcnt(0)
	ds_write_b32 v27, v116
.LBB196_14:                             ;   in Loop: Header=BB196_6 Depth=1
	s_or_b32 exec_lo, exec_lo, s1
	s_and_saveexec_b32 s5, vcc_lo
	s_cbranch_execz .LBB196_4
; %bb.15:                               ;   in Loop: Header=BB196_6 Depth=1
	v_add_nc_u32_e32 v116, 4, v115
	v_cmp_gt_i32_e64 s1, s18, v116
	s_and_b32 s1, s0, s1
	s_and_b32 exec_lo, exec_lo, s1
	s_cbranch_execz .LBB196_4
; %bb.16:                               ;   in Loop: Header=BB196_6 Depth=1
	v_ashrrev_i32_e32 v116, 31, v115
	v_add_co_u32 v117, s1, v39, v115
	v_add_co_ci_u32_e64 v118, null, v40, v116, s1
	v_mad_u64_u32 v[116:117], null, v117, 36, s[6:7]
	v_mad_i32_i24 v117, v118, 36, v117
	global_load_dword v116, v[116:117], off offset:144
	v_add_nc_u32_e32 v117, v25, v1
	s_waitcnt vmcnt(0)
	v_cvt_f32_f16_e32 v116, v116
	ds_write_b32 v117, v116
	s_branch .LBB196_4
.LBB196_17:
	s_mul_i32 s0, s14, s11
	s_waitcnt vmcnt(0)
	v_cmp_gt_i32_e32 vcc_lo, s0, v21
	s_and_saveexec_b32 s0, vcc_lo
	s_cbranch_execz .LBB196_26
; %bb.18:
	v_add_nc_u32_e32 v1, s15, v0
	v_mul_lo_u32 v0, v21, s13
	s_mov_b32 s0, exec_lo
	v_cmpx_gt_u32_e64 s13, v1
	s_cbranch_execz .LBB196_20
; %bb.19:
	v_add_nc_u32_e32 v2, v0, v1
	v_mov_b32_e32 v3, 0
	v_lshlrev_b64 v[2:3], 2, v[2:3]
	v_add_co_u32 v2, vcc_lo, s2, v2
	v_add_co_ci_u32_e64 v3, null, s3, v3, vcc_lo
	global_store_dword v[2:3], v22, off
.LBB196_20:
	s_or_b32 exec_lo, exec_lo, s0
	v_add_nc_u32_e32 v2, 32, v1
	s_mov_b32 s0, exec_lo
	v_cmpx_gt_u32_e64 s13, v2
	s_cbranch_execz .LBB196_22
; %bb.21:
	v_add_nc_u32_e32 v2, v0, v2
	v_mov_b32_e32 v3, 0
	v_lshlrev_b64 v[2:3], 2, v[2:3]
	v_add_co_u32 v2, vcc_lo, s2, v2
	v_add_co_ci_u32_e64 v3, null, s3, v3, vcc_lo
	global_store_dword v[2:3], v106, off
.LBB196_22:
	s_or_b32 exec_lo, exec_lo, s0
	v_add_nc_u32_e32 v2, 64, v1
	;; [unrolled: 13-line block ×3, first 2 shown]
	v_cmp_gt_u32_e32 vcc_lo, s13, v1
	s_and_b32 exec_lo, exec_lo, vcc_lo
	s_cbranch_execz .LBB196_26
; %bb.25:
	v_add_nc_u32_e32 v0, v0, v1
	v_mov_b32_e32 v1, 0
	v_lshlrev_b64 v[0:1], 2, v[0:1]
	v_add_co_u32 v0, vcc_lo, s2, v0
	v_add_co_ci_u32_e64 v1, null, s3, v1, vcc_lo
	global_store_dword v[0:1], v20, off
.LBB196_26:
	s_endpgm
	.section	.rodata,"a",@progbits
	.p2align	6, 0x0
	.amdhsa_kernel _ZL8moe_q6_KIfLb1EEvPKvS1_PT_PKiS5_S5_iiiiiii
		.amdhsa_group_segment_fixed_size 37072
		.amdhsa_private_segment_fixed_size 0
		.amdhsa_kernarg_size 76
		.amdhsa_user_sgpr_count 6
		.amdhsa_user_sgpr_private_segment_buffer 1
		.amdhsa_user_sgpr_dispatch_ptr 0
		.amdhsa_user_sgpr_queue_ptr 0
		.amdhsa_user_sgpr_kernarg_segment_ptr 1
		.amdhsa_user_sgpr_dispatch_id 0
		.amdhsa_user_sgpr_flat_scratch_init 0
		.amdhsa_user_sgpr_private_segment_size 0
		.amdhsa_wavefront_size32 1
		.amdhsa_uses_dynamic_stack 0
		.amdhsa_system_sgpr_private_segment_wavefront_offset 0
		.amdhsa_system_sgpr_workgroup_id_x 1
		.amdhsa_system_sgpr_workgroup_id_y 1
		.amdhsa_system_sgpr_workgroup_id_z 0
		.amdhsa_system_sgpr_workgroup_info 0
		.amdhsa_system_vgpr_workitem_id 1
		.amdhsa_next_free_vgpr 188
		.amdhsa_next_free_sgpr 22
		.amdhsa_reserve_vcc 1
		.amdhsa_reserve_flat_scratch 0
		.amdhsa_float_round_mode_32 0
		.amdhsa_float_round_mode_16_64 0
		.amdhsa_float_denorm_mode_32 3
		.amdhsa_float_denorm_mode_16_64 3
		.amdhsa_dx10_clamp 1
		.amdhsa_ieee_mode 1
		.amdhsa_fp16_overflow 0
		.amdhsa_workgroup_processor_mode 1
		.amdhsa_memory_ordered 1
		.amdhsa_forward_progress 1
		.amdhsa_shared_vgpr_count 0
		.amdhsa_exception_fp_ieee_invalid_op 0
		.amdhsa_exception_fp_denorm_src 0
		.amdhsa_exception_fp_ieee_div_zero 0
		.amdhsa_exception_fp_ieee_overflow 0
		.amdhsa_exception_fp_ieee_underflow 0
		.amdhsa_exception_fp_ieee_inexact 0
		.amdhsa_exception_int_div_zero 0
	.end_amdhsa_kernel
	.section	.text._ZL8moe_q6_KIfLb1EEvPKvS1_PT_PKiS5_S5_iiiiiii,"axG",@progbits,_ZL8moe_q6_KIfLb1EEvPKvS1_PT_PKiS5_S5_iiiiiii,comdat
.Lfunc_end196:
	.size	_ZL8moe_q6_KIfLb1EEvPKvS1_PT_PKiS5_S5_iiiiiii, .Lfunc_end196-_ZL8moe_q6_KIfLb1EEvPKvS1_PT_PKiS5_S5_iiiiiii
                                        ; -- End function
	.set _ZL8moe_q6_KIfLb1EEvPKvS1_PT_PKiS5_S5_iiiiiii.num_vgpr, 188
	.set _ZL8moe_q6_KIfLb1EEvPKvS1_PT_PKiS5_S5_iiiiiii.num_agpr, 0
	.set _ZL8moe_q6_KIfLb1EEvPKvS1_PT_PKiS5_S5_iiiiiii.numbered_sgpr, 22
	.set _ZL8moe_q6_KIfLb1EEvPKvS1_PT_PKiS5_S5_iiiiiii.num_named_barrier, 0
	.set _ZL8moe_q6_KIfLb1EEvPKvS1_PT_PKiS5_S5_iiiiiii.private_seg_size, 0
	.set _ZL8moe_q6_KIfLb1EEvPKvS1_PT_PKiS5_S5_iiiiiii.uses_vcc, 1
	.set _ZL8moe_q6_KIfLb1EEvPKvS1_PT_PKiS5_S5_iiiiiii.uses_flat_scratch, 0
	.set _ZL8moe_q6_KIfLb1EEvPKvS1_PT_PKiS5_S5_iiiiiii.has_dyn_sized_stack, 0
	.set _ZL8moe_q6_KIfLb1EEvPKvS1_PT_PKiS5_S5_iiiiiii.has_recursion, 0
	.set _ZL8moe_q6_KIfLb1EEvPKvS1_PT_PKiS5_S5_iiiiiii.has_indirect_call, 0
	.section	.AMDGPU.csdata,"",@progbits
; Kernel info:
; codeLenInByte = 15116
; TotalNumSgprs: 24
; NumVgprs: 188
; ScratchSize: 0
; MemoryBound: 0
; FloatMode: 240
; IeeeMode: 1
; LDSByteSize: 37072 bytes/workgroup (compile time only)
; SGPRBlocks: 0
; VGPRBlocks: 23
; NumSGPRsForWavesPerEU: 24
; NumVGPRsForWavesPerEU: 188
; Occupancy: 5
; WaveLimiterHint : 1
; COMPUTE_PGM_RSRC2:SCRATCH_EN: 0
; COMPUTE_PGM_RSRC2:USER_SGPR: 6
; COMPUTE_PGM_RSRC2:TRAP_HANDLER: 0
; COMPUTE_PGM_RSRC2:TGID_X_EN: 1
; COMPUTE_PGM_RSRC2:TGID_Y_EN: 1
; COMPUTE_PGM_RSRC2:TGID_Z_EN: 0
; COMPUTE_PGM_RSRC2:TIDIG_COMP_CNT: 1
	.section	.text._ZL8moe_q4_0IN3c104HalfELb0EEvPKvS3_PT_PKiS7_S7_iiiiiii,"axG",@progbits,_ZL8moe_q4_0IN3c104HalfELb0EEvPKvS3_PT_PKiS7_S7_iiiiiii,comdat
	.globl	_ZL8moe_q4_0IN3c104HalfELb0EEvPKvS3_PT_PKiS7_S7_iiiiiii ; -- Begin function _ZL8moe_q4_0IN3c104HalfELb0EEvPKvS3_PT_PKiS7_S7_iiiiiii
	.p2align	8
	.type	_ZL8moe_q4_0IN3c104HalfELb0EEvPKvS3_PT_PKiS7_S7_iiiiiii,@function
_ZL8moe_q4_0IN3c104HalfELb0EEvPKvS3_PT_PKiS7_S7_iiiiiii: ; @_ZL8moe_q4_0IN3c104HalfELb0EEvPKvS3_PT_PKiS7_S7_iiiiiii
; %bb.0:
	s_load_dwordx4 s[0:3], s[4:5], 0x18
	s_mov_b32 s8, s7
	s_mov_b32 s9, 0
	s_lshl_b64 s[10:11], s[8:9], 2
	s_waitcnt lgkmcnt(0)
	s_add_u32 s2, s2, s10
	s_addc_u32 s3, s3, s11
	s_load_dword s7, s[2:3], 0x0
	s_waitcnt lgkmcnt(0)
	s_cmpk_gt_u32 s7, 0xff
	s_cbranch_scc1 .LBB197_30
; %bb.1:
	s_load_dwordx2 s[2:3], s[4:5], 0x28
	s_waitcnt lgkmcnt(0)
	s_load_dword s3, s[2:3], 0x0
	s_lshl_b32 s2, s8, 3
	s_waitcnt lgkmcnt(0)
	s_cmp_gt_u32 s2, s3
	s_cbranch_scc1 .LBB197_30
; %bb.2:
	v_add_nc_u32_e32 v2, s2, v1
	v_mov_b32_e32 v3, 0
	s_lshl_b32 s6, s6, 7
	v_lshlrev_b64 v[4:5], 2, v[2:3]
	v_mov_b32_e32 v14, v3
	v_mov_b32_e32 v25, v3
	v_add_co_u32 v4, vcc_lo, s0, v4
	v_add_co_ci_u32_e64 v5, null, s1, v5, vcc_lo
	global_load_dword v4, v[4:5], off
	s_clause 0x2
	s_load_dwordx2 s[14:15], s[4:5], 0x30
	s_load_dwordx2 s[12:13], s[4:5], 0x10
	s_load_dwordx4 s[8:11], s[4:5], 0x3c
	v_mov_b32_e32 v5, v3
	s_waitcnt lgkmcnt(0)
	s_cmp_lt_i32 s15, 32
	s_cbranch_scc1 .LBB197_21
; %bb.3:
	s_load_dwordx4 s[0:3], s[4:5], 0x0
	s_ashr_i32 s4, s15, 31
	s_ashr_i32 s5, s9, 31
	s_lshr_b32 s4, s4, 27
	s_lshr_b32 s5, s5, 27
	s_add_i32 s4, s15, s4
	s_mul_i32 s14, s7, s14
	s_ashr_i32 s7, s4, 5
	s_add_i32 s5, s9, s5
	s_mul_i32 s17, s7, s6
	s_ashr_i32 s16, s14, 31
	s_ashr_i32 s9, s5, 5
	s_mul_hi_i32 s5, s17, 18
	s_mul_i32 s17, s17, 18
	v_mul_lo_u32 v12, s7, v1
	v_lshlrev_b32_e32 v2, 2, v0
	v_lshl_add_u32 v9, v1, 4, 0x5680
	s_waitcnt vmcnt(0)
	v_xor_b32_e32 v19, s11, v4
	v_and_b32_e32 v14, 31, v0
	v_lshl_add_u32 v8, v1, 7, 0x5280
	s_waitcnt lgkmcnt(0)
	s_add_u32 s0, s0, s14
	s_addc_u32 s1, s1, s16
	s_add_u32 s14, s0, s17
	s_addc_u32 s16, s1, s5
	s_abs_i32 s1, s11
	s_lshl_b32 s5, s7, 3
	v_cvt_f32_u32_e32 v3, s1
	s_sub_i32 s0, 0, s1
	v_add_nc_u32_e32 v15, s5, v12
	v_sub_nc_u32_e32 v23, 0, v4
	v_add_nc_u32_e32 v20, 64, v0
	v_rcp_iflag_f32_e32 v3, v3
	v_and_b32_e32 v11, 12, v2
	v_mad_u32_u24 v13, 0x84, v1, v2
	v_and_b32_e32 v46, 28, v2
	v_add_nc_u32_e32 v17, v9, v2
	v_ashrrev_i32_e32 v2, 31, v19
	v_add_nc_u32_e32 v19, s5, v15
	v_lshl_or_b32 v16, v14, 2, v8
	v_max_i32_e32 v14, v4, v23
	v_and_b32_e32 v30, 0x1fc, v20
	v_mul_f32_e32 v3, 0x4f7ffffe, v3
	v_add_nc_u32_e32 v20, s5, v19
	v_lshrrev_b32_e32 v7, 3, v0
	v_add_nc_u32_e32 v22, 0x60, v0
	v_add_nc_u32_e32 v21, 32, v0
	v_cvt_u32_f32_e32 v3, v3
	v_add_nc_u32_e32 v23, s5, v20
	v_lshl_add_u32 v1, v1, 2, v7
	v_lshlrev_b32_e32 v25, 5, v0
	v_and_b32_e32 v29, 0x1fc, v22
	v_mul_lo_u32 v26, s0, v3
	v_add_nc_u32_e32 v27, s5, v23
	v_add_nc_u32_e32 v33, 32, v1
	;; [unrolled: 1-line block ×3, first 2 shown]
	v_and_b32_e32 v6, 7, v0
	v_and_b32_e32 v24, 0xfc, v0
	v_add_nc_u32_e32 v28, s5, v27
	v_and_b32_e32 v31, 0x1fc, v21
	v_mul_hi_u32 v26, v3, v26
	v_add_nc_u32_e32 v38, v25, v29
	v_and_b32_e32 v32, 0x7fc, v1
	v_add_nc_u32_e32 v29, s5, v28
	v_lshlrev_b32_e32 v51, 5, v1
	v_and_b32_e32 v41, 0xffc, v33
	v_lshlrev_b32_e32 v53, 5, v33
	v_and_b32_e32 v44, 0xffc, v34
	v_add_nc_u32_e32 v3, v3, v26
	v_mul_lo_u32 v26, s7, v1
	v_add_nc_u32_e32 v1, 0x60, v1
	v_lshlrev_b32_e32 v54, 5, v34
	v_lshlrev_b32_e32 v43, 2, v6
	v_mul_hi_u32 v3, v14, v3
	v_add_nc_u32_e32 v50, v25, v24
	v_add_nc_u32_e32 v39, v25, v30
	;; [unrolled: 1-line block ×4, first 2 shown]
	v_and_b32_e32 v45, 0xffc, v1
	v_lshlrev_b32_e32 v55, 5, v1
	v_add3_u32 v52, v32, v43, 0x4200
	v_mul_lo_u32 v35, v3, s1
	v_add_nc_u32_e32 v33, 1, v3
	v_add_nc_u32_e32 v32, s5, v31
	s_andn2_b32 s4, s4, 31
	v_add3_u32 v57, v45, v43, 0x4200
	v_add3_u32 v56, v44, v43, 0x4200
	v_cmp_gt_u32_e32 vcc_lo, 4, v0
	v_mov_b32_e32 v5, 0
	v_sub_nc_u32_e32 v14, v14, v35
	v_mad_u32_u24 v10, 0x84, v0, 64
	v_lshrrev_b32_e32 v18, 3, v21
	v_add_nc_u32_e32 v21, 0x35a0, v13
	v_add_nc_u32_e32 v22, 0x39c0, v13
	v_subrev_nc_u32_e32 v34, s1, v14
	v_cmp_le_u32_e64 s0, s1, v14
	v_add_nc_u32_e32 v24, 0x3de0, v13
	v_add_nc_u32_e32 v30, 0x4200, v50
	;; [unrolled: 1-line block ×4, first 2 shown]
	v_cndmask_b32_e64 v3, v3, v33, s0
	v_cndmask_b32_e64 v1, v14, v34, s0
	v_add_nc_u32_e32 v33, s5, v32
	v_add_nc_u32_e32 v34, 0x4e00, v38
	;; [unrolled: 1-line block ×4, first 2 shown]
	v_cmp_le_u32_e64 s0, s1, v1
	v_add_nc_u32_e32 v36, s5, v33
	v_add_nc_u32_e32 v39, 0x4a10, v39
	;; [unrolled: 1-line block ×4, first 2 shown]
	v_cndmask_b32_e64 v1, v3, v14, s0
	v_add_nc_u32_e32 v40, s5, v36
	v_add3_u32 v3, v41, v43, 0x4200
	v_add_nc_u32_e32 v41, s4, v26
	v_add_nc_u32_e32 v51, v52, v51
	v_xor_b32_e32 v1, v1, v2
	v_add_nc_u32_e32 v42, s5, v40
	v_add_nc_u32_e32 v52, v3, v53
	;; [unrolled: 1-line block ×4, first 2 shown]
	v_sub_nc_u32_e32 v14, v1, v2
	v_add_nc_u32_e32 v44, s5, v42
	v_add_co_u32 v1, s0, s2, v46
	v_add_co_ci_u32_e64 v2, null, s3, 0, s0
	v_mul_lo_u32 v45, v14, s9
	v_cmp_gt_i32_e64 s0, s8, v14
	v_add_nc_u32_e32 v46, s4, v43
	v_add_nc_u32_e32 v47, s5, v44
	;; [unrolled: 1-line block ×3, first 2 shown]
	v_mov_b32_e32 v25, 0
	v_mov_b32_e32 v14, 0
	;; [unrolled: 1-line block ×3, first 2 shown]
	v_ashrrev_i32_e32 v48, 31, v45
	s_mov_b32 s17, 0
	s_and_b32 s18, vcc_lo, s0
	s_branch .LBB197_5
.LBB197_4:                              ;   in Loop: Header=BB197_5 Depth=1
	s_add_i32 s17, s17, 8
	s_cmp_ge_i32 s17, s7
	s_cbranch_scc1 .LBB197_21
.LBB197_5:                              ; =>This Loop Header: Depth=1
                                        ;     Child Loop BB197_11 Depth 2
                                        ;     Child Loop BB197_19 Depth 2
	s_mul_i32 s1, s17, 18
	v_lshrrev_b32_e32 v55, 2, v0
	s_mul_hi_u32 s5, s17, 18
	s_add_u32 s4, s14, s1
	s_addc_u32 s5, s16, s5
	v_mad_u64_u32 v[55:56], null, v55, 18, s[4:5]
	v_mad_u64_u32 v[57:58], null, v12, 18, v[55:56]
	;; [unrolled: 1-line block ×5, first 2 shown]
	v_add_co_u32 v57, s1, v57, v11
	v_mad_u64_u32 v[65:66], null, v23, 18, v[55:56]
	v_add_co_ci_u32_e64 v58, null, 0, v58, s1
	v_add_co_u32 v59, s1, v59, v11
	v_mad_u64_u32 v[67:68], null, v27, 18, v[55:56]
	v_add_co_ci_u32_e64 v60, null, 0, v60, s1
	;; [unrolled: 3-line block ×4, first 2 shown]
	v_add_co_u32 v65, s1, v65, v11
	v_add_co_ci_u32_e64 v66, null, 0, v66, s1
	v_add_co_u32 v67, s1, v67, v11
	v_add_co_ci_u32_e64 v68, null, 0, v68, s1
	;; [unrolled: 2-line block ×3, first 2 shown]
	v_add_co_u32 v71, s1, v71, v11
	v_mad_u64_u32 v[73:74], null, v31, 18, v[55:56]
	v_add_co_ci_u32_e64 v72, null, 0, v72, s1
	s_clause 0x7
	global_load_dword v79, v[57:58], off offset:2
	global_load_dword v80, v[59:60], off offset:2
	;; [unrolled: 1-line block ×8, first 2 shown]
	v_mad_u64_u32 v[57:58], null, v32, 18, v[55:56]
	v_mad_u64_u32 v[61:62], null, v33, 18, v[55:56]
	;; [unrolled: 1-line block ×4, first 2 shown]
	v_add_co_u32 v59, s1, v73, v11
	v_mad_u64_u32 v[65:66], null, v40, 18, v[55:56]
	v_add_co_ci_u32_e64 v60, null, 0, v74, s1
	v_add_co_u32 v57, s1, v57, v11
	v_mad_u64_u32 v[67:68], null, v42, 18, v[55:56]
	v_add_co_ci_u32_e64 v58, null, 0, v58, s1
	v_add_co_u32 v61, s1, v61, v11
	v_mad_u64_u32 v[71:72], null, v26, 18, v[69:70]
	v_mad_u64_u32 v[77:78], null, v44, 18, v[55:56]
	;; [unrolled: 1-line block ×3, first 2 shown]
	v_add_co_ci_u32_e64 v62, null, 0, v62, s1
	v_add_co_u32 v63, s1, v63, v11
	v_mad_u64_u32 v[75:76], null, v43, 18, v[69:70]
	v_mad_u64_u32 v[55:56], null, v47, 18, v[55:56]
	;; [unrolled: 1-line block ×3, first 2 shown]
	v_add_co_ci_u32_e64 v64, null, 0, v64, s1
	v_add_co_u32 v65, s1, v65, v11
	v_add_co_ci_u32_e64 v66, null, 0, v66, s1
	v_add_co_u32 v67, s1, v67, v11
	v_add_co_ci_u32_e64 v68, null, 0, v68, s1
	s_clause 0x3
	global_load_ushort v71, v[71:72], off
	global_load_ushort v72, v[73:74], off
	;; [unrolled: 1-line block ×4, first 2 shown]
	v_add_co_u32 v69, s1, v77, v11
	v_add_co_ci_u32_e64 v70, null, 0, v78, s1
	v_add_co_u32 v55, s1, v55, v11
	v_add_co_ci_u32_e64 v56, null, 0, v56, s1
	s_clause 0x7
	global_load_dword v59, v[59:60], off offset:2
	global_load_dword v57, v[57:58], off offset:2
	;; [unrolled: 1-line block ×8, first 2 shown]
	v_add_nc_u32_e32 v56, 0x420, v13
	s_lshl_b32 s4, s17, 5
	v_add_nc_u32_e32 v64, 0x840, v13
	v_add_nc_u32_e32 v65, 0xc60, v13
	s_cmp_lt_i32 s4, s15
	v_add_nc_u32_e32 v66, 0x1080, v13
	v_add_nc_u32_e32 v67, 0x14a0, v13
	;; [unrolled: 1-line block ×9, first 2 shown]
	s_waitcnt vmcnt(11)
	v_cvt_f32_f16_e32 v71, v71
	s_waitcnt vmcnt(10)
	v_cvt_f32_f16_e32 v72, v72
	;; [unrolled: 2-line block ×4, first 2 shown]
	ds_write_b32 v13, v79
	ds_write_b32 v56, v80
	;; [unrolled: 1-line block ×8, first 2 shown]
	s_waitcnt vmcnt(7)
	ds_write_b32 v70, v59
	s_waitcnt vmcnt(6)
	ds_write_b32 v75, v57
	;; [unrolled: 2-line block ×8, first 2 shown]
	ds_write_b32 v51, v71
	ds_write_b32 v52, v72
	;; [unrolled: 1-line block ×4, first 2 shown]
	s_cbranch_scc0 .LBB197_4
; %bb.6:                                ;   in Loop: Header=BB197_5 Depth=1
	v_add_nc_u32_e32 v55, s17, v7
	v_cmp_gt_i32_e64 s1, s9, v55
	s_and_b32 s5, s0, s1
	s_and_saveexec_b32 s1, s5
	s_cbranch_execz .LBB197_8
; %bb.7:                                ;   in Loop: Header=BB197_5 Depth=1
	v_add_nc_u32_e32 v55, v45, v55
	v_mad_i64_i32 v[55:56], null, v55, 36, v[1:2]
	global_load_dword v55, v[55:56], off offset:4
	s_waitcnt vmcnt(0)
	ds_write_b32 v16, v55
.LBB197_8:                              ;   in Loop: Header=BB197_5 Depth=1
	s_or_b32 exec_lo, exec_lo, s1
	v_add_nc_u32_e32 v55, s17, v0
	v_cmp_gt_i32_e64 s1, s9, v55
	s_and_b32 s5, s18, s1
	s_and_saveexec_b32 s1, s5
	s_cbranch_execz .LBB197_10
; %bb.9:                                ;   in Loop: Header=BB197_5 Depth=1
	v_add_nc_u32_e32 v56, v45, v55
	v_mad_i64_i32 v[56:57], null, v56, 36, s[2:3]
	global_load_dword v56, v[56:57], off
	s_waitcnt vmcnt(0)
	ds_write_b32 v17, v56
.LBB197_10:                             ;   in Loop: Header=BB197_5 Depth=1
	s_or_b32 exec_lo, exec_lo, s1
	v_mov_b32_e32 v56, v8
	v_mov_b32_e32 v57, v9
	v_mul_u32_u24_e32 v62, 0x84, v0
	v_mov_b32_e32 v58, v30
	v_mov_b32_e32 v59, v37
	;; [unrolled: 1-line block ×4, first 2 shown]
	s_mov_b32 s1, -4
	s_waitcnt lgkmcnt(0)
	s_barrier
	buffer_gl0_inv
.LBB197_11:                             ;   Parent Loop BB197_5 Depth=1
                                        ; =>  This Inner Loop Header: Depth=2
	v_add_nc_u32_e32 v75, 0x1080, v62
	v_add_nc_u32_e32 v77, 0x1088, v62
	;; [unrolled: 1-line block ×3, first 2 shown]
	ds_read_b128 v[63:66], v56
	ds_read_b128 v[67:70], v56 offset:16
	ds_read2_b32 v[71:72], v62 offset0:2 offset1:3
	v_add_nc_u32_e32 v81, 0x2108, v62
	ds_read_b32 v90, v57
	ds_read2_b32 v[73:74], v62 offset1:1
	ds_read_b32 v91, v58
	ds_read_b32 v92, v59
	;; [unrolled: 1-line block ×4, first 2 shown]
	v_add_nc_u32_e32 v83, 0x3180, v62
	v_add_nc_u32_e32 v85, 0x3188, v62
	ds_read2_b32 v[75:76], v75 offset1:1
	ds_read2_b32 v[77:78], v77 offset1:1
	;; [unrolled: 1-line block ×6, first 2 shown]
	v_mov_b32_e32 v87, 0
	v_mov_b32_e32 v88, 0
	;; [unrolled: 1-line block ×4, first 2 shown]
	v_add_nc_u32_e32 v62, 16, v62
	v_add_nc_u32_e32 v61, 4, v61
	;; [unrolled: 1-line block ×7, first 2 shown]
	s_add_i32 s1, s1, 4
	s_waitcnt lgkmcnt(10)
	v_and_b32_e32 v96, 0xf0f0f0f, v73
	v_lshrrev_b32_e32 v73, 4, v73
	s_waitcnt lgkmcnt(5)
	v_and_b32_e32 v100, 0xf0f0f0f, v76
	v_lshrrev_b32_e32 v76, 4, v76
	s_waitcnt lgkmcnt(4)
	v_and_b32_e32 v101, 0xf0f0f0f, v77
	v_dot4c_i32_i8 v87, v96, v63
	v_and_b32_e32 v73, 0xf0f0f0f, v73
	v_and_b32_e32 v96, 0xf0f0f0f, v75
	v_lshrrev_b32_e32 v75, 4, v75
	v_lshrrev_b32_e32 v77, 4, v77
	s_waitcnt lgkmcnt(3)
	v_and_b32_e32 v103, 0xf0f0f0f, v79
	v_lshrrev_b32_e32 v79, 4, v79
	s_waitcnt lgkmcnt(1)
	v_and_b32_e32 v107, 0xf0f0f0f, v83
	v_lshrrev_b32_e32 v83, 4, v83
	v_dot4c_i32_i8 v87, v73, v67
	v_and_b32_e32 v73, 0xf0f0f0f, v75
	v_dot4c_i32_i8 v88, v96, v63
	v_and_b32_e32 v75, 0xf0f0f0f, v76
	v_and_b32_e32 v76, 0xf0f0f0f, v77
	;; [unrolled: 1-line block ×3, first 2 shown]
	v_dot4c_i32_i8 v89, v103, v63
	v_and_b32_e32 v79, 0xf0f0f0f, v83
	v_dot4c_i32_i8 v95, v107, v63
	v_and_b32_e32 v97, 0xf0f0f0f, v74
	v_lshrrev_b32_e32 v74, 4, v74
	v_and_b32_e32 v102, 0xf0f0f0f, v78
	v_lshrrev_b32_e32 v78, 4, v78
	;; [unrolled: 2-line block ×4, first 2 shown]
	v_dot4c_i32_i8 v88, v73, v67
	v_dot4c_i32_i8 v89, v77, v67
	;; [unrolled: 1-line block ×3, first 2 shown]
	v_and_b32_e32 v74, 0xf0f0f0f, v74
	v_and_b32_e32 v63, 0xf0f0f0f, v78
	v_and_b32_e32 v78, 0xf0f0f0f, v80
	v_and_b32_e32 v67, 0xf0f0f0f, v84
	v_dot4c_i32_i8 v87, v97, v64
	v_dot4c_i32_i8 v88, v100, v64
	;; [unrolled: 1-line block ×4, first 2 shown]
	v_and_b32_e32 v98, 0xf0f0f0f, v71
	v_lshrrev_b32_e32 v71, 4, v71
	v_and_b32_e32 v105, 0xf0f0f0f, v81
	v_lshrrev_b32_e32 v81, 4, v81
	s_waitcnt lgkmcnt(0)
	v_and_b32_e32 v109, 0xf0f0f0f, v85
	v_lshrrev_b32_e32 v85, 4, v85
	v_dot4c_i32_i8 v87, v74, v68
	v_dot4c_i32_i8 v88, v75, v68
	;; [unrolled: 1-line block ×4, first 2 shown]
	v_and_b32_e32 v71, 0xf0f0f0f, v71
	v_and_b32_e32 v64, 0xf0f0f0f, v81
	;; [unrolled: 1-line block ×3, first 2 shown]
	v_dot4c_i32_i8 v87, v98, v65
	v_dot4c_i32_i8 v88, v101, v65
	;; [unrolled: 1-line block ×4, first 2 shown]
	v_and_b32_e32 v99, 0xf0f0f0f, v72
	v_lshrrev_b32_e32 v72, 4, v72
	v_and_b32_e32 v106, 0xf0f0f0f, v82
	v_lshrrev_b32_e32 v82, 4, v82
	;; [unrolled: 2-line block ×3, first 2 shown]
	v_dot4c_i32_i8 v87, v71, v69
	v_dot4c_i32_i8 v88, v76, v69
	;; [unrolled: 1-line block ×4, first 2 shown]
	v_and_b32_e32 v72, 0xf0f0f0f, v72
	v_and_b32_e32 v65, 0xf0f0f0f, v82
	;; [unrolled: 1-line block ×3, first 2 shown]
	v_dot4c_i32_i8 v87, v99, v66
	v_dot4c_i32_i8 v88, v102, v66
	;; [unrolled: 1-line block ×4, first 2 shown]
	v_cvt_f32_f16_sdwa v66, v90 dst_sel:DWORD dst_unused:UNUSED_PAD src0_sel:WORD_1
	v_dot4c_i32_i8 v87, v72, v70
	v_dot4c_i32_i8 v88, v63, v70
	;; [unrolled: 1-line block ×4, first 2 shown]
	v_mul_f32_e32 v63, 0xc1000000, v66
	v_cvt_f32_i32_e32 v64, v87
	v_cvt_f32_i32_e32 v65, v88
	;; [unrolled: 1-line block ×4, first 2 shown]
	s_cmp_lt_u32 s1, 12
	v_fma_mix_f32 v64, v90, v64, v63 op_sel_hi:[1,0,0]
	v_fma_mix_f32 v65, v90, v65, v63 op_sel_hi:[1,0,0]
	;; [unrolled: 1-line block ×4, first 2 shown]
	v_fmac_f32_e32 v5, v91, v64
	v_fmac_f32_e32 v25, v92, v65
	;; [unrolled: 1-line block ×4, first 2 shown]
	s_cbranch_scc1 .LBB197_11
; %bb.12:                               ;   in Loop: Header=BB197_5 Depth=1
	s_bitset1_b32 s4, 7
	s_cmp_ge_i32 s4, s15
	s_barrier
	buffer_gl0_inv
	s_cbranch_scc1 .LBB197_4
; %bb.13:                               ;   in Loop: Header=BB197_5 Depth=1
	v_add_nc_u32_e32 v56, s17, v18
	v_cmp_gt_i32_e64 s1, s9, v56
	s_and_b32 s4, s0, s1
	s_and_saveexec_b32 s1, s4
	s_cbranch_execz .LBB197_15
; %bb.14:                               ;   in Loop: Header=BB197_5 Depth=1
	v_add_nc_u32_e32 v56, v45, v56
	v_mad_i64_i32 v[56:57], null, v56, 36, v[1:2]
	global_load_dword v56, v[56:57], off offset:4
	s_waitcnt vmcnt(0)
	ds_write_b32 v16, v56
.LBB197_15:                             ;   in Loop: Header=BB197_5 Depth=1
	s_or_b32 exec_lo, exec_lo, s1
	s_and_saveexec_b32 s4, vcc_lo
	s_cbranch_execz .LBB197_18
; %bb.16:                               ;   in Loop: Header=BB197_5 Depth=1
	v_or_b32_e32 v56, 4, v55
	v_cmp_gt_i32_e64 s1, s9, v56
	s_and_b32 s1, s0, s1
	s_and_b32 exec_lo, exec_lo, s1
	s_cbranch_execz .LBB197_18
; %bb.17:                               ;   in Loop: Header=BB197_5 Depth=1
	v_ashrrev_i32_e32 v56, 31, v55
	v_add_co_u32 v55, s1, v45, v55
	v_add_co_ci_u32_e64 v57, null, v48, v56, s1
	v_mad_u64_u32 v[55:56], null, v55, 36, s[2:3]
	v_mad_i32_i24 v56, v57, 36, v56
	global_load_dword v55, v[55:56], off offset:144
	s_waitcnt vmcnt(0)
	ds_write_b32 v17, v55
.LBB197_18:                             ;   in Loop: Header=BB197_5 Depth=1
	s_or_b32 exec_lo, exec_lo, s4
	v_mov_b32_e32 v55, v9
	v_mov_b32_e32 v56, v8
	;; [unrolled: 1-line block ×7, first 2 shown]
	s_mov_b32 s1, 12
	s_waitcnt lgkmcnt(0)
	s_barrier
	buffer_gl0_inv
.LBB197_19:                             ;   Parent Loop BB197_5 Depth=1
                                        ; =>  This Inner Loop Header: Depth=2
	v_add_nc_u32_e32 v74, 0x1080, v61
	v_add_nc_u32_e32 v76, 0x1088, v61
	;; [unrolled: 1-line block ×3, first 2 shown]
	ds_read_b128 v[62:65], v56
	ds_read_b128 v[66:69], v56 offset:16
	ds_read_b32 v86, v55
	ds_read2_b32 v[70:71], v61 offset0:2 offset1:3
	v_add_nc_u32_e32 v80, 0x2108, v61
	ds_read2_b32 v[72:73], v61 offset1:1
	ds_read_b32 v90, v57
	ds_read_b32 v91, v58
	;; [unrolled: 1-line block ×4, first 2 shown]
	v_add_nc_u32_e32 v82, 0x3180, v61
	v_add_nc_u32_e32 v84, 0x3188, v61
	ds_read2_b32 v[74:75], v74 offset1:1
	ds_read2_b32 v[76:77], v76 offset1:1
	;; [unrolled: 1-line block ×6, first 2 shown]
	v_mov_b32_e32 v87, 0
	v_mov_b32_e32 v88, 0
	;; [unrolled: 1-line block ×4, first 2 shown]
	v_add_nc_u32_e32 v61, 16, v61
	v_add_nc_u32_e32 v60, 4, v60
	;; [unrolled: 1-line block ×7, first 2 shown]
	s_add_i32 s1, s1, 4
	s_waitcnt lgkmcnt(10)
	v_and_b32_e32 v95, 0xf0f0f0f, v72
	v_lshrrev_b32_e32 v72, 4, v72
	s_waitcnt lgkmcnt(5)
	v_and_b32_e32 v99, 0xf0f0f0f, v75
	v_lshrrev_b32_e32 v75, 4, v75
	s_waitcnt lgkmcnt(4)
	v_and_b32_e32 v100, 0xf0f0f0f, v76
	v_dot4c_i32_i8 v87, v95, v62
	v_and_b32_e32 v72, 0xf0f0f0f, v72
	v_and_b32_e32 v95, 0xf0f0f0f, v74
	v_lshrrev_b32_e32 v74, 4, v74
	v_lshrrev_b32_e32 v76, 4, v76
	s_waitcnt lgkmcnt(3)
	v_and_b32_e32 v102, 0xf0f0f0f, v78
	v_lshrrev_b32_e32 v78, 4, v78
	s_waitcnt lgkmcnt(1)
	v_and_b32_e32 v106, 0xf0f0f0f, v82
	v_lshrrev_b32_e32 v82, 4, v82
	v_dot4c_i32_i8 v87, v72, v66
	v_and_b32_e32 v72, 0xf0f0f0f, v74
	v_dot4c_i32_i8 v88, v95, v62
	v_and_b32_e32 v74, 0xf0f0f0f, v75
	v_and_b32_e32 v75, 0xf0f0f0f, v76
	;; [unrolled: 1-line block ×3, first 2 shown]
	v_dot4c_i32_i8 v89, v102, v62
	v_and_b32_e32 v78, 0xf0f0f0f, v82
	v_dot4c_i32_i8 v94, v106, v62
	v_and_b32_e32 v96, 0xf0f0f0f, v73
	v_lshrrev_b32_e32 v73, 4, v73
	v_and_b32_e32 v101, 0xf0f0f0f, v77
	v_lshrrev_b32_e32 v77, 4, v77
	;; [unrolled: 2-line block ×4, first 2 shown]
	v_dot4c_i32_i8 v88, v72, v66
	v_dot4c_i32_i8 v89, v76, v66
	;; [unrolled: 1-line block ×3, first 2 shown]
	v_and_b32_e32 v73, 0xf0f0f0f, v73
	v_and_b32_e32 v62, 0xf0f0f0f, v77
	;; [unrolled: 1-line block ×4, first 2 shown]
	v_dot4c_i32_i8 v87, v96, v63
	v_dot4c_i32_i8 v88, v99, v63
	;; [unrolled: 1-line block ×4, first 2 shown]
	v_and_b32_e32 v97, 0xf0f0f0f, v70
	v_lshrrev_b32_e32 v70, 4, v70
	v_and_b32_e32 v104, 0xf0f0f0f, v80
	v_lshrrev_b32_e32 v80, 4, v80
	s_waitcnt lgkmcnt(0)
	v_and_b32_e32 v108, 0xf0f0f0f, v84
	v_lshrrev_b32_e32 v84, 4, v84
	v_dot4c_i32_i8 v87, v73, v67
	v_dot4c_i32_i8 v88, v74, v67
	;; [unrolled: 1-line block ×4, first 2 shown]
	v_and_b32_e32 v70, 0xf0f0f0f, v70
	v_and_b32_e32 v63, 0xf0f0f0f, v80
	;; [unrolled: 1-line block ×3, first 2 shown]
	v_dot4c_i32_i8 v87, v97, v64
	v_dot4c_i32_i8 v88, v100, v64
	;; [unrolled: 1-line block ×4, first 2 shown]
	v_and_b32_e32 v98, 0xf0f0f0f, v71
	v_lshrrev_b32_e32 v71, 4, v71
	v_and_b32_e32 v105, 0xf0f0f0f, v81
	v_lshrrev_b32_e32 v81, 4, v81
	;; [unrolled: 2-line block ×3, first 2 shown]
	v_dot4c_i32_i8 v87, v70, v68
	v_dot4c_i32_i8 v88, v75, v68
	v_dot4c_i32_i8 v89, v63, v68
	v_dot4c_i32_i8 v94, v66, v68
	v_and_b32_e32 v71, 0xf0f0f0f, v71
	v_and_b32_e32 v64, 0xf0f0f0f, v81
	;; [unrolled: 1-line block ×3, first 2 shown]
	v_dot4c_i32_i8 v87, v98, v65
	v_dot4c_i32_i8 v88, v101, v65
	;; [unrolled: 1-line block ×4, first 2 shown]
	v_cvt_f32_f16_sdwa v65, v86 dst_sel:DWORD dst_unused:UNUSED_PAD src0_sel:WORD_1
	v_dot4c_i32_i8 v87, v71, v69
	v_dot4c_i32_i8 v88, v62, v69
	;; [unrolled: 1-line block ×4, first 2 shown]
	v_mul_f32_e32 v62, 0xc1000000, v65
	v_cvt_f32_i32_e32 v63, v87
	v_cvt_f32_i32_e32 v64, v88
	;; [unrolled: 1-line block ×4, first 2 shown]
	s_cmp_lt_u32 s1, 28
	v_fma_mix_f32 v63, v86, v63, v62 op_sel_hi:[1,0,0]
	v_fma_mix_f32 v64, v86, v64, v62 op_sel_hi:[1,0,0]
	;; [unrolled: 1-line block ×4, first 2 shown]
	v_fmac_f32_e32 v5, v90, v63
	v_fmac_f32_e32 v25, v91, v64
	;; [unrolled: 1-line block ×4, first 2 shown]
	s_cbranch_scc1 .LBB197_19
; %bb.20:                               ;   in Loop: Header=BB197_5 Depth=1
	s_barrier
	buffer_gl0_inv
	s_branch .LBB197_4
.LBB197_21:
	s_mul_i32 s0, s11, s8
	s_waitcnt vmcnt(0)
	v_cmp_gt_i32_e32 vcc_lo, s0, v4
	s_and_saveexec_b32 s0, vcc_lo
	s_cbranch_execz .LBB197_30
; %bb.22:
	v_add_nc_u32_e32 v1, s6, v0
	v_mul_lo_u32 v0, v4, s10
	s_mov_b32 s0, exec_lo
	v_cmpx_gt_u32_e64 s10, v1
	s_cbranch_execz .LBB197_24
; %bb.23:
	v_add_nc_u32_e32 v6, v0, v1
	v_mov_b32_e32 v7, 0
	v_cvt_f16_f32_e32 v2, v5
	v_lshlrev_b64 v[6:7], 1, v[6:7]
	v_add_co_u32 v6, vcc_lo, s12, v6
	v_add_co_ci_u32_e64 v7, null, s13, v7, vcc_lo
	global_store_short v[6:7], v2, off
.LBB197_24:
	s_or_b32 exec_lo, exec_lo, s0
	v_add_nc_u32_e32 v2, 32, v1
	s_mov_b32 s0, exec_lo
	v_cmpx_gt_u32_e64 s10, v2
	s_cbranch_execz .LBB197_26
; %bb.25:
	v_add_nc_u32_e32 v4, v0, v2
	v_mov_b32_e32 v5, 0
	v_cvt_f16_f32_e32 v2, v25
	v_lshlrev_b64 v[4:5], 1, v[4:5]
	v_add_co_u32 v4, vcc_lo, s12, v4
	v_add_co_ci_u32_e64 v5, null, s13, v5, vcc_lo
	global_store_short v[4:5], v2, off
.LBB197_26:
	s_or_b32 exec_lo, exec_lo, s0
	v_add_nc_u32_e32 v2, 64, v1
	;; [unrolled: 14-line block ×3, first 2 shown]
	v_cmp_gt_u32_e32 vcc_lo, s10, v1
	s_and_b32 exec_lo, exec_lo, vcc_lo
	s_cbranch_execz .LBB197_30
; %bb.29:
	v_add_nc_u32_e32 v0, v0, v1
	v_mov_b32_e32 v1, 0
	v_cvt_f16_f32_e32 v2, v3
	v_lshlrev_b64 v[0:1], 1, v[0:1]
	v_add_co_u32 v0, vcc_lo, s12, v0
	v_add_co_ci_u32_e64 v1, null, s13, v1, vcc_lo
	global_store_short v[0:1], v2, off
.LBB197_30:
	s_endpgm
	.section	.rodata,"a",@progbits
	.p2align	6, 0x0
	.amdhsa_kernel _ZL8moe_q4_0IN3c104HalfELb0EEvPKvS3_PT_PKiS7_S7_iiiiiii
		.amdhsa_group_segment_fixed_size 22272
		.amdhsa_private_segment_fixed_size 0
		.amdhsa_kernarg_size 76
		.amdhsa_user_sgpr_count 6
		.amdhsa_user_sgpr_private_segment_buffer 1
		.amdhsa_user_sgpr_dispatch_ptr 0
		.amdhsa_user_sgpr_queue_ptr 0
		.amdhsa_user_sgpr_kernarg_segment_ptr 1
		.amdhsa_user_sgpr_dispatch_id 0
		.amdhsa_user_sgpr_flat_scratch_init 0
		.amdhsa_user_sgpr_private_segment_size 0
		.amdhsa_wavefront_size32 1
		.amdhsa_uses_dynamic_stack 0
		.amdhsa_system_sgpr_private_segment_wavefront_offset 0
		.amdhsa_system_sgpr_workgroup_id_x 1
		.amdhsa_system_sgpr_workgroup_id_y 1
		.amdhsa_system_sgpr_workgroup_id_z 0
		.amdhsa_system_sgpr_workgroup_info 0
		.amdhsa_system_vgpr_workitem_id 1
		.amdhsa_next_free_vgpr 111
		.amdhsa_next_free_sgpr 19
		.amdhsa_reserve_vcc 1
		.amdhsa_reserve_flat_scratch 0
		.amdhsa_float_round_mode_32 0
		.amdhsa_float_round_mode_16_64 0
		.amdhsa_float_denorm_mode_32 3
		.amdhsa_float_denorm_mode_16_64 3
		.amdhsa_dx10_clamp 1
		.amdhsa_ieee_mode 1
		.amdhsa_fp16_overflow 0
		.amdhsa_workgroup_processor_mode 1
		.amdhsa_memory_ordered 1
		.amdhsa_forward_progress 1
		.amdhsa_shared_vgpr_count 0
		.amdhsa_exception_fp_ieee_invalid_op 0
		.amdhsa_exception_fp_denorm_src 0
		.amdhsa_exception_fp_ieee_div_zero 0
		.amdhsa_exception_fp_ieee_overflow 0
		.amdhsa_exception_fp_ieee_underflow 0
		.amdhsa_exception_fp_ieee_inexact 0
		.amdhsa_exception_int_div_zero 0
	.end_amdhsa_kernel
	.section	.text._ZL8moe_q4_0IN3c104HalfELb0EEvPKvS3_PT_PKiS7_S7_iiiiiii,"axG",@progbits,_ZL8moe_q4_0IN3c104HalfELb0EEvPKvS3_PT_PKiS7_S7_iiiiiii,comdat
.Lfunc_end197:
	.size	_ZL8moe_q4_0IN3c104HalfELb0EEvPKvS3_PT_PKiS7_S7_iiiiiii, .Lfunc_end197-_ZL8moe_q4_0IN3c104HalfELb0EEvPKvS3_PT_PKiS7_S7_iiiiiii
                                        ; -- End function
	.set _ZL8moe_q4_0IN3c104HalfELb0EEvPKvS3_PT_PKiS7_S7_iiiiiii.num_vgpr, 111
	.set _ZL8moe_q4_0IN3c104HalfELb0EEvPKvS3_PT_PKiS7_S7_iiiiiii.num_agpr, 0
	.set _ZL8moe_q4_0IN3c104HalfELb0EEvPKvS3_PT_PKiS7_S7_iiiiiii.numbered_sgpr, 19
	.set _ZL8moe_q4_0IN3c104HalfELb0EEvPKvS3_PT_PKiS7_S7_iiiiiii.num_named_barrier, 0
	.set _ZL8moe_q4_0IN3c104HalfELb0EEvPKvS3_PT_PKiS7_S7_iiiiiii.private_seg_size, 0
	.set _ZL8moe_q4_0IN3c104HalfELb0EEvPKvS3_PT_PKiS7_S7_iiiiiii.uses_vcc, 1
	.set _ZL8moe_q4_0IN3c104HalfELb0EEvPKvS3_PT_PKiS7_S7_iiiiiii.uses_flat_scratch, 0
	.set _ZL8moe_q4_0IN3c104HalfELb0EEvPKvS3_PT_PKiS7_S7_iiiiiii.has_dyn_sized_stack, 0
	.set _ZL8moe_q4_0IN3c104HalfELb0EEvPKvS3_PT_PKiS7_S7_iiiiiii.has_recursion, 0
	.set _ZL8moe_q4_0IN3c104HalfELb0EEvPKvS3_PT_PKiS7_S7_iiiiiii.has_indirect_call, 0
	.section	.AMDGPU.csdata,"",@progbits
; Kernel info:
; codeLenInByte = 4192
; TotalNumSgprs: 21
; NumVgprs: 111
; ScratchSize: 0
; MemoryBound: 0
; FloatMode: 240
; IeeeMode: 1
; LDSByteSize: 22272 bytes/workgroup (compile time only)
; SGPRBlocks: 0
; VGPRBlocks: 13
; NumSGPRsForWavesPerEU: 21
; NumVGPRsForWavesPerEU: 111
; Occupancy: 9
; WaveLimiterHint : 1
; COMPUTE_PGM_RSRC2:SCRATCH_EN: 0
; COMPUTE_PGM_RSRC2:USER_SGPR: 6
; COMPUTE_PGM_RSRC2:TRAP_HANDLER: 0
; COMPUTE_PGM_RSRC2:TGID_X_EN: 1
; COMPUTE_PGM_RSRC2:TGID_Y_EN: 1
; COMPUTE_PGM_RSRC2:TGID_Z_EN: 0
; COMPUTE_PGM_RSRC2:TIDIG_COMP_CNT: 1
	.section	.text._ZL8moe_q4_0IN3c104HalfELb1EEvPKvS3_PT_PKiS7_S7_iiiiiii,"axG",@progbits,_ZL8moe_q4_0IN3c104HalfELb1EEvPKvS3_PT_PKiS7_S7_iiiiiii,comdat
	.globl	_ZL8moe_q4_0IN3c104HalfELb1EEvPKvS3_PT_PKiS7_S7_iiiiiii ; -- Begin function _ZL8moe_q4_0IN3c104HalfELb1EEvPKvS3_PT_PKiS7_S7_iiiiiii
	.p2align	8
	.type	_ZL8moe_q4_0IN3c104HalfELb1EEvPKvS3_PT_PKiS7_S7_iiiiiii,@function
_ZL8moe_q4_0IN3c104HalfELb1EEvPKvS3_PT_PKiS7_S7_iiiiiii: ; @_ZL8moe_q4_0IN3c104HalfELb1EEvPKvS3_PT_PKiS7_S7_iiiiiii
; %bb.0:
	s_load_dwordx4 s[0:3], s[4:5], 0x18
	s_mov_b32 s8, s7
	s_mov_b32 s9, 0
	s_lshl_b64 s[10:11], s[8:9], 2
	s_waitcnt lgkmcnt(0)
	s_add_u32 s2, s2, s10
	s_addc_u32 s3, s3, s11
	s_load_dword s7, s[2:3], 0x0
	s_waitcnt lgkmcnt(0)
	s_cmpk_gt_u32 s7, 0xff
	s_cbranch_scc1 .LBB198_30
; %bb.1:
	s_load_dwordx2 s[2:3], s[4:5], 0x28
	s_waitcnt lgkmcnt(0)
	s_load_dword s3, s[2:3], 0x0
	s_lshl_b32 s2, s8, 3
	s_waitcnt lgkmcnt(0)
	s_cmp_gt_u32 s2, s3
	s_cbranch_scc1 .LBB198_30
; %bb.2:
	v_add_nc_u32_e32 v14, s2, v1
	v_mov_b32_e32 v15, 0
	s_lshl_b32 s6, s6, 7
	v_lshlrev_b64 v[2:3], 2, v[14:15]
	v_mov_b32_e32 v44, v15
	v_mov_b32_e32 v47, v15
	;; [unrolled: 1-line block ×3, first 2 shown]
	v_add_co_u32 v2, vcc_lo, s0, v2
	v_add_co_ci_u32_e64 v3, null, s1, v3, vcc_lo
	global_load_dword v21, v[2:3], off
	s_clause 0x1
	s_load_dwordx8 s[8:15], s[4:5], 0x30
	s_load_dwordx2 s[16:17], s[4:5], 0x10
	s_waitcnt lgkmcnt(0)
	s_cmp_lt_i32 s9, 32
	s_cbranch_scc1 .LBB198_21
; %bb.3:
	s_load_dwordx4 s[0:3], s[4:5], 0x0
	s_ashr_i32 s4, s9, 31
	s_ashr_i32 s5, s12, 31
	s_lshr_b32 s4, s4, 27
	s_lshr_b32 s5, s5, 27
	s_add_i32 s4, s9, s4
	s_mul_i32 s15, s7, s8
	s_ashr_i32 s7, s4, 5
	s_add_i32 s4, s12, s5
	s_mul_i32 s5, s7, s6
	s_ashr_i32 s18, s15, 31
	s_ashr_i32 s8, s4, 5
	s_mul_hi_i32 s4, s5, 18
	s_mul_i32 s5, s5, 18
	v_add_nc_u32_e32 v2, 8, v1
	v_add_nc_u32_e32 v3, 16, v1
	;; [unrolled: 1-line block ×4, first 2 shown]
	v_lshlrev_b32_e32 v20, 2, v0
	v_add_nc_u32_e32 v9, 40, v1
	s_waitcnt lgkmcnt(0)
	s_add_u32 s0, s0, s15
	s_addc_u32 s1, s1, s18
	s_add_u32 s12, s0, s5
	s_addc_u32 s15, s1, s4
	s_abs_i32 s1, s14
	s_not_b32 s0, s6
	v_cvt_f32_u32_e32 v17, s1
	s_add_i32 s0, s10, s0
	v_add_nc_u32_e32 v10, 48, v1
	v_min_i32_e32 v4, s0, v1
	v_min_i32_e32 v5, s0, v2
	v_rcp_iflag_f32_e32 v17, v17
	v_min_i32_e32 v6, s0, v3
	v_add_nc_u32_e32 v11, 56, v1
	v_min_i32_e32 v7, s0, v7
	v_add_nc_u32_e32 v12, 64, v1
	;; [unrolled: 2-line block ×3, first 2 shown]
	s_waitcnt vmcnt(0)
	v_mad_u64_u32 v[2:3], null, 0x84, v4, v[20:21]
	v_min_i32_e32 v9, s0, v9
	v_add_nc_u32_e32 v14, 0x50, v1
	v_mul_lo_u32 v25, v4, s7
	v_mad_u64_u32 v[3:4], null, 0x84, v5, v[20:21]
	v_min_i32_e32 v10, s0, v10
	v_add_nc_u32_e32 v15, 0x58, v1
	v_mul_lo_u32 v26, v5, s7
	v_mad_u64_u32 v[4:5], null, 0x84, v6, v[20:21]
	v_min_i32_e32 v11, s0, v11
	v_add_nc_u32_e32 v16, 0x60, v1
	v_mul_f32_e32 v41, 0x4f7ffffe, v17
	v_mul_lo_u32 v27, v6, s7
	v_mad_u64_u32 v[5:6], null, 0x84, v7, v[20:21]
	v_min_i32_e32 v12, s0, v12
	v_mul_lo_u32 v28, v7, s7
	v_mad_u64_u32 v[6:7], null, 0x84, v8, v[20:21]
	v_min_i32_e32 v13, s0, v13
	;; [unrolled: 3-line block ×5, first 2 shown]
	v_cvt_u32_f32_e32 v46, v41
	v_mul_lo_u32 v32, v11, s7
	v_mad_u64_u32 v[10:11], null, 0x84, v12, v[20:21]
	v_add_nc_u32_e32 v19, 0x70, v1
	v_mul_lo_u32 v33, v12, s7
	v_mad_u64_u32 v[11:12], null, 0x84, v13, v[20:21]
	v_lshrrev_b32_e32 v38, 3, v0
	v_mul_lo_u32 v34, v13, s7
	v_mad_u64_u32 v[12:13], null, 0x84, v14, v[20:21]
	s_sub_i32 s4, 0, s1
	v_mul_lo_u32 v35, v14, s7
	v_add_nc_u32_e32 v18, 0x68, v1
	v_mad_u64_u32 v[13:14], null, 0x84, v15, v[20:21]
	v_mul_lo_u32 v36, v15, s7
	v_mad_u64_u32 v[14:15], null, 0x84, v16, v[20:21]
	v_mul_lo_u32 v43, s4, v46
	v_min_i32_e32 v15, s0, v19
	v_add_nc_u32_e32 v19, 0x78, v1
	v_lshl_add_u32 v44, v1, 2, v38
	v_min_i32_e32 v18, s0, v18
	v_mul_lo_u32 v37, v16, s7
	v_sub_nc_u32_e32 v49, 0, v21
	v_min_i32_e32 v19, s0, v19
	v_add_nc_u32_e32 v47, 32, v44
	v_mul_hi_u32 v48, v46, v43
	v_mad_u64_u32 v[16:17], null, 0x84, v18, v[20:21]
	v_mul_lo_u32 v39, v18, s7
	v_mad_u64_u32 v[17:18], null, 0x84, v15, v[20:21]
	v_mul_lo_u32 v41, v19, s7
	v_mad_u64_u32 v[18:19], null, 0x84, v19, v[20:21]
	v_min_i32_e32 v19, s0, v47
	v_add_nc_u32_e32 v47, 64, v44
	v_max_i32_e32 v49, v21, v49
	v_add_nc_u32_e32 v46, v46, v48
	v_min_i32_e32 v45, s0, v44
	v_ashrrev_i32_e32 v50, 31, v19
	v_min_i32_e32 v47, s0, v47
	v_add_nc_u32_e32 v44, 0x60, v44
	v_mul_hi_u32 v52, v49, v46
	v_and_b32_e32 v42, 7, v0
	v_lshrrev_b32_e32 v48, 30, v50
	v_ashrrev_i32_e32 v50, 31, v47
	v_mul_lo_u32 v40, v15, s7
	v_ashrrev_i32_e32 v15, 31, v45
	v_min_i32_e32 v44, s0, v44
	v_add_nc_u32_e32 v46, v19, v48
	v_lshrrev_b32_e32 v48, 30, v50
	v_mul_lo_u32 v50, v52, s1
	v_lshlrev_b32_e32 v51, 2, v42
	v_lshrrev_b32_e32 v15, 30, v15
	v_ashrrev_i32_e32 v53, 31, v44
	v_add_nc_u32_e32 v48, v47, v48
	v_mul_lo_u32 v43, v45, s7
	v_lshlrev_b32_e32 v65, 5, v45
	v_add_nc_u32_e32 v15, v45, v15
	v_sub_nc_u32_e32 v49, v49, v50
	v_and_b32_e32 v48, -4, v48
	v_mul_lo_u32 v45, v19, s7
	v_lshlrev_b32_e32 v67, 5, v19
	v_lshrrev_b32_e32 v19, 30, v53
	v_subrev_nc_u32_e32 v50, s1, v49
	v_add3_u32 v68, v48, v51, 0x4200
	v_add_nc_u32_e32 v48, 1, v52
	v_cmp_le_u32_e32 vcc_lo, s1, v49
	v_add_nc_u32_e32 v19, v44, v19
	v_xor_b32_e32 v53, s14, v21
	v_and_b32_e32 v15, -4, v15
	v_and_b32_e32 v46, -4, v46
	v_cndmask_b32_e32 v52, v52, v48, vcc_lo
	v_cndmask_b32_e32 v49, v49, v50, vcc_lo
	v_and_b32_e32 v19, -4, v19
	v_ashrrev_i32_e32 v53, 31, v53
	v_add_nc_u32_e32 v56, 64, v0
	v_add_nc_u32_e32 v50, 1, v52
	v_cmp_le_u32_e32 vcc_lo, s1, v49
	v_add3_u32 v69, v19, v51, 0x4200
	v_and_b32_e32 v19, 31, v0
	v_lshl_add_u32 v49, v1, 7, 0x5280
	v_lshl_add_u32 v1, v1, 4, 0x5680
	v_cndmask_b32_e32 v50, v52, v50, vcc_lo
	v_add_nc_u32_e32 v57, 0x60, v0
	v_and_b32_e32 v24, 12, v20
	v_add3_u32 v15, v15, v51, 0x4200
	v_add3_u32 v66, v46, v51, 0x4200
	v_xor_b32_e32 v52, v50, v53
	v_lshl_or_b32 v50, v19, 2, v49
	v_add_nc_u32_e32 v19, 32, v0
	v_and_b32_e32 v55, 28, v20
	v_add_nc_u32_e32 v51, v1, v20
	v_sub_nc_u32_e32 v20, v52, v53
	v_lshlrev_b32_e32 v58, 5, v0
	v_and_b32_e32 v57, 0x1fc, v57
	v_and_b32_e32 v56, 0x1fc, v56
	;; [unrolled: 1-line block ×4, first 2 shown]
	v_mul_lo_u32 v54, v20, s8
	v_mul_lo_u32 v46, v47, s7
	v_lshlrev_b32_e32 v47, 5, v47
	v_mul_lo_u32 v48, v44, s7
	v_lshlrev_b32_e32 v44, 5, v44
	v_add_nc_u32_e32 v61, v58, v57
	v_add_nc_u32_e32 v62, v58, v56
	;; [unrolled: 1-line block ×4, first 2 shown]
	v_cmp_gt_u32_e32 vcc_lo, 4, v0
	v_lshrrev_b32_e32 v53, 3, v19
	v_cmp_gt_i32_e64 s0, s11, v20
	v_add_co_u32 v19, s1, s2, v55
	v_lshrrev_b32_e32 v23, 2, v0
	v_mov_b32_e32 v22, 0
	v_mul_u32_u24_e32 v52, 0x84, v0
	v_add_co_ci_u32_e64 v20, null, s3, 0, s1
	v_ashrrev_i32_e32 v55, 31, v54
	v_add_nc_u32_e32 v56, 0x4e00, v61
	v_add_nc_u32_e32 v57, 0x4a00, v62
	;; [unrolled: 1-line block ×4, first 2 shown]
	v_mad_u32_u24 v60, 0x84, v0, 64
	v_add_nc_u32_e32 v61, 0x4e10, v61
	v_add_nc_u32_e32 v62, 0x4a10, v62
	;; [unrolled: 1-line block ×8, first 2 shown]
	v_mov_b32_e32 v47, 0
	v_mov_b32_e32 v44, 0
	v_mov_b32_e32 v15, 0
	s_mov_b32 s10, 0
	s_and_b32 s18, vcc_lo, s0
	s_branch .LBB198_5
.LBB198_4:                              ;   in Loop: Header=BB198_5 Depth=1
	s_add_i32 s10, s10, 8
	s_cmp_ge_i32 s10, s7
	s_cbranch_scc1 .LBB198_21
.LBB198_5:                              ; =>This Loop Header: Depth=1
                                        ;     Child Loop BB198_11 Depth 2
                                        ;     Child Loop BB198_19 Depth 2
	s_mul_i32 s1, s10, 18
	s_mul_hi_u32 s5, s10, 18
	s_add_u32 s4, s12, s1
	s_addc_u32 s5, s15, s5
	v_mad_u64_u32 v[69:70], null, v23, 18, s[4:5]
	v_mad_i64_i32 v[71:72], null, v25, 18, v[69:70]
	v_mad_i64_i32 v[73:74], null, v26, 18, v[69:70]
	v_mad_i64_i32 v[75:76], null, v27, 18, v[69:70]
	v_mad_i64_i32 v[77:78], null, v28, 18, v[69:70]
	v_add_co_u32 v71, s1, v71, v24
	v_mad_i64_i32 v[79:80], null, v29, 18, v[69:70]
	v_add_co_ci_u32_e64 v72, null, 0, v72, s1
	v_add_co_u32 v73, s1, v73, v24
	v_mad_i64_i32 v[81:82], null, v30, 18, v[69:70]
	v_add_co_ci_u32_e64 v74, null, 0, v74, s1
	;; [unrolled: 3-line block ×4, first 2 shown]
	v_add_co_u32 v79, s1, v79, v24
	v_add_co_ci_u32_e64 v80, null, 0, v80, s1
	v_add_co_u32 v81, s1, v81, v24
	v_add_co_ci_u32_e64 v82, null, 0, v82, s1
	;; [unrolled: 2-line block ×3, first 2 shown]
	v_add_co_u32 v85, s1, v85, v24
	v_mad_i64_i32 v[87:88], null, v33, 18, v[69:70]
	v_add_co_ci_u32_e64 v86, null, 0, v86, s1
	s_clause 0x7
	global_load_dword v93, v[71:72], off offset:2
	global_load_dword v94, v[73:74], off offset:2
	global_load_dword v95, v[75:76], off offset:2
	global_load_dword v96, v[77:78], off offset:2
	global_load_dword v97, v[79:80], off offset:2
	global_load_dword v98, v[81:82], off offset:2
	global_load_dword v99, v[83:84], off offset:2
	global_load_dword v100, v[85:86], off offset:2
	v_mad_i64_i32 v[71:72], null, v34, 18, v[69:70]
	v_mad_i64_i32 v[75:76], null, v35, 18, v[69:70]
	v_mad_u64_u32 v[83:84], null, v42, 18, s[4:5]
	v_mad_i64_i32 v[77:78], null, v36, 18, v[69:70]
	v_add_co_u32 v73, s1, v87, v24
	v_mad_i64_i32 v[79:80], null, v37, 18, v[69:70]
	v_add_co_ci_u32_e64 v74, null, 0, v88, s1
	v_add_co_u32 v71, s1, v71, v24
	v_mad_i64_i32 v[81:82], null, v39, 18, v[69:70]
	v_add_co_ci_u32_e64 v72, null, 0, v72, s1
	v_add_co_u32 v75, s1, v75, v24
	v_mad_i64_i32 v[85:86], null, v43, 18, v[83:84]
	v_mad_i64_i32 v[91:92], null, v40, 18, v[69:70]
	;; [unrolled: 1-line block ×3, first 2 shown]
	v_add_co_ci_u32_e64 v76, null, 0, v76, s1
	v_add_co_u32 v77, s1, v77, v24
	v_mad_i64_i32 v[89:90], null, v46, 18, v[83:84]
	v_mad_i64_i32 v[69:70], null, v41, 18, v[69:70]
	;; [unrolled: 1-line block ×3, first 2 shown]
	v_add_co_ci_u32_e64 v78, null, 0, v78, s1
	v_add_co_u32 v79, s1, v79, v24
	v_add_co_ci_u32_e64 v80, null, 0, v80, s1
	v_add_co_u32 v81, s1, v81, v24
	v_add_co_ci_u32_e64 v82, null, 0, v82, s1
	s_clause 0x3
	global_load_ushort v85, v[85:86], off
	global_load_ushort v86, v[87:88], off
	;; [unrolled: 1-line block ×4, first 2 shown]
	v_add_co_u32 v83, s1, v91, v24
	v_add_co_ci_u32_e64 v84, null, 0, v92, s1
	v_add_co_u32 v69, s1, v69, v24
	v_add_co_ci_u32_e64 v70, null, 0, v70, s1
	s_clause 0x7
	global_load_dword v73, v[73:74], off offset:2
	global_load_dword v71, v[71:72], off offset:2
	;; [unrolled: 1-line block ×8, first 2 shown]
	s_lshl_b32 s4, s10, 5
	s_cmp_lt_i32 s4, s9
	s_waitcnt vmcnt(11)
	v_cvt_f32_f16_e32 v70, v85
	s_waitcnt vmcnt(10)
	v_cvt_f32_f16_e32 v78, v86
	;; [unrolled: 2-line block ×4, first 2 shown]
	ds_write_b32 v2, v93
	ds_write_b32 v3, v94
	;; [unrolled: 1-line block ×8, first 2 shown]
	s_waitcnt vmcnt(7)
	ds_write_b32 v10, v73
	s_waitcnt vmcnt(6)
	ds_write_b32 v11, v71
	;; [unrolled: 2-line block ×8, first 2 shown]
	ds_write_b32 v65, v70
	ds_write_b32 v66, v78
	;; [unrolled: 1-line block ×4, first 2 shown]
	s_cbranch_scc0 .LBB198_4
; %bb.6:                                ;   in Loop: Header=BB198_5 Depth=1
	v_add_nc_u32_e32 v69, s10, v38
	v_cmp_gt_i32_e64 s1, s8, v69
	s_and_b32 s5, s0, s1
	s_and_saveexec_b32 s1, s5
	s_cbranch_execz .LBB198_8
; %bb.7:                                ;   in Loop: Header=BB198_5 Depth=1
	v_add_nc_u32_e32 v69, v54, v69
	v_mad_i64_i32 v[69:70], null, v69, 36, v[19:20]
	global_load_dword v69, v[69:70], off offset:4
	s_waitcnt vmcnt(0)
	ds_write_b32 v50, v69
.LBB198_8:                              ;   in Loop: Header=BB198_5 Depth=1
	s_or_b32 exec_lo, exec_lo, s1
	v_add_nc_u32_e32 v69, s10, v0
	v_cmp_gt_i32_e64 s1, s8, v69
	s_and_b32 s5, s18, s1
	s_and_saveexec_b32 s1, s5
	s_cbranch_execz .LBB198_10
; %bb.9:                                ;   in Loop: Header=BB198_5 Depth=1
	v_add_nc_u32_e32 v70, v54, v69
	v_mad_i64_i32 v[70:71], null, v70, 36, s[2:3]
	global_load_dword v70, v[70:71], off
	s_waitcnt vmcnt(0)
	ds_write_b32 v51, v70
.LBB198_10:                             ;   in Loop: Header=BB198_5 Depth=1
	s_or_b32 exec_lo, exec_lo, s1
	v_mov_b32_e32 v70, v49
	v_mov_b32_e32 v71, v1
	;; [unrolled: 1-line block ×7, first 2 shown]
	s_mov_b32 s1, -4
	s_waitcnt lgkmcnt(0)
	s_barrier
	buffer_gl0_inv
.LBB198_11:                             ;   Parent Loop BB198_5 Depth=1
                                        ; =>  This Inner Loop Header: Depth=2
	v_add_nc_u32_e32 v89, 0x1080, v76
	v_add_nc_u32_e32 v91, 0x1088, v76
	;; [unrolled: 1-line block ×3, first 2 shown]
	ds_read_b128 v[77:80], v70
	ds_read_b128 v[81:84], v70 offset:16
	ds_read2_b32 v[85:86], v76 offset0:2 offset1:3
	v_add_nc_u32_e32 v95, 0x2108, v76
	ds_read_b32 v104, v71
	ds_read2_b32 v[87:88], v76 offset1:1
	ds_read_b32 v105, v72
	ds_read_b32 v106, v73
	;; [unrolled: 1-line block ×4, first 2 shown]
	v_add_nc_u32_e32 v97, 0x3180, v76
	v_add_nc_u32_e32 v99, 0x3188, v76
	ds_read2_b32 v[89:90], v89 offset1:1
	ds_read2_b32 v[91:92], v91 offset1:1
	;; [unrolled: 1-line block ×6, first 2 shown]
	v_mov_b32_e32 v101, 0
	v_mov_b32_e32 v102, 0
	;; [unrolled: 1-line block ×4, first 2 shown]
	v_add_nc_u32_e32 v76, 16, v76
	v_add_nc_u32_e32 v75, 4, v75
	;; [unrolled: 1-line block ×7, first 2 shown]
	s_add_i32 s1, s1, 4
	s_waitcnt lgkmcnt(10)
	v_and_b32_e32 v110, 0xf0f0f0f, v87
	v_lshrrev_b32_e32 v87, 4, v87
	s_waitcnt lgkmcnt(5)
	v_and_b32_e32 v114, 0xf0f0f0f, v90
	v_lshrrev_b32_e32 v90, 4, v90
	s_waitcnt lgkmcnt(4)
	v_and_b32_e32 v115, 0xf0f0f0f, v91
	v_dot4c_i32_i8 v101, v110, v77
	v_and_b32_e32 v87, 0xf0f0f0f, v87
	v_and_b32_e32 v110, 0xf0f0f0f, v89
	v_lshrrev_b32_e32 v89, 4, v89
	v_lshrrev_b32_e32 v91, 4, v91
	s_waitcnt lgkmcnt(3)
	v_and_b32_e32 v117, 0xf0f0f0f, v93
	v_lshrrev_b32_e32 v93, 4, v93
	s_waitcnt lgkmcnt(1)
	v_and_b32_e32 v121, 0xf0f0f0f, v97
	v_lshrrev_b32_e32 v97, 4, v97
	v_dot4c_i32_i8 v101, v87, v81
	v_and_b32_e32 v87, 0xf0f0f0f, v89
	v_dot4c_i32_i8 v102, v110, v77
	v_and_b32_e32 v89, 0xf0f0f0f, v90
	v_and_b32_e32 v90, 0xf0f0f0f, v91
	;; [unrolled: 1-line block ×3, first 2 shown]
	v_dot4c_i32_i8 v103, v117, v77
	v_and_b32_e32 v93, 0xf0f0f0f, v97
	v_dot4c_i32_i8 v109, v121, v77
	v_and_b32_e32 v111, 0xf0f0f0f, v88
	v_lshrrev_b32_e32 v88, 4, v88
	v_and_b32_e32 v116, 0xf0f0f0f, v92
	v_lshrrev_b32_e32 v92, 4, v92
	;; [unrolled: 2-line block ×4, first 2 shown]
	v_dot4c_i32_i8 v102, v87, v81
	v_dot4c_i32_i8 v103, v91, v81
	;; [unrolled: 1-line block ×3, first 2 shown]
	v_and_b32_e32 v88, 0xf0f0f0f, v88
	v_and_b32_e32 v77, 0xf0f0f0f, v92
	;; [unrolled: 1-line block ×4, first 2 shown]
	v_dot4c_i32_i8 v101, v111, v78
	v_dot4c_i32_i8 v102, v114, v78
	;; [unrolled: 1-line block ×4, first 2 shown]
	v_and_b32_e32 v112, 0xf0f0f0f, v85
	v_lshrrev_b32_e32 v85, 4, v85
	v_and_b32_e32 v119, 0xf0f0f0f, v95
	v_lshrrev_b32_e32 v95, 4, v95
	s_waitcnt lgkmcnt(0)
	v_and_b32_e32 v123, 0xf0f0f0f, v99
	v_lshrrev_b32_e32 v99, 4, v99
	v_dot4c_i32_i8 v101, v88, v82
	v_dot4c_i32_i8 v102, v89, v82
	;; [unrolled: 1-line block ×4, first 2 shown]
	v_and_b32_e32 v85, 0xf0f0f0f, v85
	v_and_b32_e32 v78, 0xf0f0f0f, v95
	;; [unrolled: 1-line block ×3, first 2 shown]
	v_dot4c_i32_i8 v101, v112, v79
	v_dot4c_i32_i8 v102, v115, v79
	;; [unrolled: 1-line block ×4, first 2 shown]
	v_and_b32_e32 v113, 0xf0f0f0f, v86
	v_lshrrev_b32_e32 v86, 4, v86
	v_and_b32_e32 v120, 0xf0f0f0f, v96
	v_lshrrev_b32_e32 v96, 4, v96
	;; [unrolled: 2-line block ×3, first 2 shown]
	v_dot4c_i32_i8 v101, v85, v83
	v_dot4c_i32_i8 v102, v90, v83
	;; [unrolled: 1-line block ×4, first 2 shown]
	v_and_b32_e32 v86, 0xf0f0f0f, v86
	v_and_b32_e32 v79, 0xf0f0f0f, v96
	;; [unrolled: 1-line block ×3, first 2 shown]
	v_dot4c_i32_i8 v101, v113, v80
	v_dot4c_i32_i8 v102, v116, v80
	;; [unrolled: 1-line block ×4, first 2 shown]
	v_cvt_f32_f16_sdwa v80, v104 dst_sel:DWORD dst_unused:UNUSED_PAD src0_sel:WORD_1
	v_dot4c_i32_i8 v101, v86, v84
	v_dot4c_i32_i8 v102, v77, v84
	;; [unrolled: 1-line block ×4, first 2 shown]
	v_mul_f32_e32 v77, 0xc1000000, v80
	v_cvt_f32_i32_e32 v78, v101
	v_cvt_f32_i32_e32 v79, v102
	;; [unrolled: 1-line block ×4, first 2 shown]
	s_cmp_lt_u32 s1, 12
	v_fma_mix_f32 v78, v104, v78, v77 op_sel_hi:[1,0,0]
	v_fma_mix_f32 v79, v104, v79, v77 op_sel_hi:[1,0,0]
	;; [unrolled: 1-line block ×4, first 2 shown]
	v_fmac_f32_e32 v22, v105, v78
	v_fmac_f32_e32 v47, v106, v79
	;; [unrolled: 1-line block ×4, first 2 shown]
	s_cbranch_scc1 .LBB198_11
; %bb.12:                               ;   in Loop: Header=BB198_5 Depth=1
	s_bitset1_b32 s4, 7
	s_cmp_ge_i32 s4, s9
	s_barrier
	buffer_gl0_inv
	s_cbranch_scc1 .LBB198_4
; %bb.13:                               ;   in Loop: Header=BB198_5 Depth=1
	v_add_nc_u32_e32 v70, s10, v53
	v_cmp_gt_i32_e64 s1, s8, v70
	s_and_b32 s4, s0, s1
	s_and_saveexec_b32 s1, s4
	s_cbranch_execz .LBB198_15
; %bb.14:                               ;   in Loop: Header=BB198_5 Depth=1
	v_add_nc_u32_e32 v70, v54, v70
	v_mad_i64_i32 v[70:71], null, v70, 36, v[19:20]
	global_load_dword v70, v[70:71], off offset:4
	s_waitcnt vmcnt(0)
	ds_write_b32 v50, v70
.LBB198_15:                             ;   in Loop: Header=BB198_5 Depth=1
	s_or_b32 exec_lo, exec_lo, s1
	s_and_saveexec_b32 s4, vcc_lo
	s_cbranch_execz .LBB198_18
; %bb.16:                               ;   in Loop: Header=BB198_5 Depth=1
	v_or_b32_e32 v70, 4, v69
	v_cmp_gt_i32_e64 s1, s8, v70
	s_and_b32 s1, s0, s1
	s_and_b32 exec_lo, exec_lo, s1
	s_cbranch_execz .LBB198_18
; %bb.17:                               ;   in Loop: Header=BB198_5 Depth=1
	v_ashrrev_i32_e32 v70, 31, v69
	v_add_co_u32 v69, s1, v54, v69
	v_add_co_ci_u32_e64 v71, null, v55, v70, s1
	v_mad_u64_u32 v[69:70], null, v69, 36, s[2:3]
	v_mad_i32_i24 v70, v71, 36, v70
	global_load_dword v69, v[69:70], off offset:144
	s_waitcnt vmcnt(0)
	ds_write_b32 v51, v69
.LBB198_18:                             ;   in Loop: Header=BB198_5 Depth=1
	s_or_b32 exec_lo, exec_lo, s4
	v_mov_b32_e32 v69, v1
	v_mov_b32_e32 v70, v49
	;; [unrolled: 1-line block ×7, first 2 shown]
	s_mov_b32 s1, 12
	s_waitcnt lgkmcnt(0)
	s_barrier
	buffer_gl0_inv
.LBB198_19:                             ;   Parent Loop BB198_5 Depth=1
                                        ; =>  This Inner Loop Header: Depth=2
	v_add_nc_u32_e32 v88, 0x1080, v75
	v_add_nc_u32_e32 v90, 0x1088, v75
	;; [unrolled: 1-line block ×3, first 2 shown]
	ds_read_b128 v[76:79], v70
	ds_read_b128 v[80:83], v70 offset:16
	ds_read_b32 v100, v69
	ds_read2_b32 v[84:85], v75 offset0:2 offset1:3
	v_add_nc_u32_e32 v94, 0x2108, v75
	ds_read2_b32 v[86:87], v75 offset1:1
	ds_read_b32 v104, v71
	ds_read_b32 v105, v72
	;; [unrolled: 1-line block ×4, first 2 shown]
	v_add_nc_u32_e32 v96, 0x3180, v75
	v_add_nc_u32_e32 v98, 0x3188, v75
	ds_read2_b32 v[88:89], v88 offset1:1
	ds_read2_b32 v[90:91], v90 offset1:1
	;; [unrolled: 1-line block ×6, first 2 shown]
	v_mov_b32_e32 v101, 0
	v_mov_b32_e32 v102, 0
	;; [unrolled: 1-line block ×4, first 2 shown]
	v_add_nc_u32_e32 v75, 16, v75
	v_add_nc_u32_e32 v74, 4, v74
	;; [unrolled: 1-line block ×7, first 2 shown]
	s_add_i32 s1, s1, 4
	s_waitcnt lgkmcnt(10)
	v_and_b32_e32 v109, 0xf0f0f0f, v86
	v_lshrrev_b32_e32 v86, 4, v86
	s_waitcnt lgkmcnt(5)
	v_and_b32_e32 v113, 0xf0f0f0f, v89
	v_lshrrev_b32_e32 v89, 4, v89
	s_waitcnt lgkmcnt(4)
	v_and_b32_e32 v114, 0xf0f0f0f, v90
	v_dot4c_i32_i8 v101, v109, v76
	v_and_b32_e32 v86, 0xf0f0f0f, v86
	v_and_b32_e32 v109, 0xf0f0f0f, v88
	v_lshrrev_b32_e32 v88, 4, v88
	v_lshrrev_b32_e32 v90, 4, v90
	s_waitcnt lgkmcnt(3)
	v_and_b32_e32 v116, 0xf0f0f0f, v92
	v_lshrrev_b32_e32 v92, 4, v92
	s_waitcnt lgkmcnt(1)
	v_and_b32_e32 v120, 0xf0f0f0f, v96
	v_lshrrev_b32_e32 v96, 4, v96
	v_dot4c_i32_i8 v101, v86, v80
	v_and_b32_e32 v86, 0xf0f0f0f, v88
	v_dot4c_i32_i8 v102, v109, v76
	v_and_b32_e32 v88, 0xf0f0f0f, v89
	v_and_b32_e32 v89, 0xf0f0f0f, v90
	;; [unrolled: 1-line block ×3, first 2 shown]
	v_dot4c_i32_i8 v103, v116, v76
	v_and_b32_e32 v92, 0xf0f0f0f, v96
	v_dot4c_i32_i8 v108, v120, v76
	v_and_b32_e32 v110, 0xf0f0f0f, v87
	v_lshrrev_b32_e32 v87, 4, v87
	v_and_b32_e32 v115, 0xf0f0f0f, v91
	v_lshrrev_b32_e32 v91, 4, v91
	;; [unrolled: 2-line block ×4, first 2 shown]
	v_dot4c_i32_i8 v102, v86, v80
	v_dot4c_i32_i8 v103, v90, v80
	;; [unrolled: 1-line block ×3, first 2 shown]
	v_and_b32_e32 v87, 0xf0f0f0f, v87
	v_and_b32_e32 v76, 0xf0f0f0f, v91
	;; [unrolled: 1-line block ×4, first 2 shown]
	v_dot4c_i32_i8 v101, v110, v77
	v_dot4c_i32_i8 v102, v113, v77
	;; [unrolled: 1-line block ×4, first 2 shown]
	v_and_b32_e32 v111, 0xf0f0f0f, v84
	v_lshrrev_b32_e32 v84, 4, v84
	v_and_b32_e32 v118, 0xf0f0f0f, v94
	v_lshrrev_b32_e32 v94, 4, v94
	s_waitcnt lgkmcnt(0)
	v_and_b32_e32 v122, 0xf0f0f0f, v98
	v_lshrrev_b32_e32 v98, 4, v98
	v_dot4c_i32_i8 v101, v87, v81
	v_dot4c_i32_i8 v102, v88, v81
	;; [unrolled: 1-line block ×4, first 2 shown]
	v_and_b32_e32 v84, 0xf0f0f0f, v84
	v_and_b32_e32 v77, 0xf0f0f0f, v94
	;; [unrolled: 1-line block ×3, first 2 shown]
	v_dot4c_i32_i8 v101, v111, v78
	v_dot4c_i32_i8 v102, v114, v78
	;; [unrolled: 1-line block ×4, first 2 shown]
	v_and_b32_e32 v112, 0xf0f0f0f, v85
	v_lshrrev_b32_e32 v85, 4, v85
	v_and_b32_e32 v119, 0xf0f0f0f, v95
	v_lshrrev_b32_e32 v95, 4, v95
	;; [unrolled: 2-line block ×3, first 2 shown]
	v_dot4c_i32_i8 v101, v84, v82
	v_dot4c_i32_i8 v102, v89, v82
	;; [unrolled: 1-line block ×4, first 2 shown]
	v_and_b32_e32 v85, 0xf0f0f0f, v85
	v_and_b32_e32 v78, 0xf0f0f0f, v95
	;; [unrolled: 1-line block ×3, first 2 shown]
	v_dot4c_i32_i8 v101, v112, v79
	v_dot4c_i32_i8 v102, v115, v79
	;; [unrolled: 1-line block ×4, first 2 shown]
	v_cvt_f32_f16_sdwa v79, v100 dst_sel:DWORD dst_unused:UNUSED_PAD src0_sel:WORD_1
	v_dot4c_i32_i8 v101, v85, v83
	v_dot4c_i32_i8 v102, v76, v83
	;; [unrolled: 1-line block ×4, first 2 shown]
	v_mul_f32_e32 v76, 0xc1000000, v79
	v_cvt_f32_i32_e32 v77, v101
	v_cvt_f32_i32_e32 v78, v102
	v_cvt_f32_i32_e32 v79, v103
	v_cvt_f32_i32_e32 v80, v108
	s_cmp_lt_u32 s1, 28
	v_fma_mix_f32 v77, v100, v77, v76 op_sel_hi:[1,0,0]
	v_fma_mix_f32 v78, v100, v78, v76 op_sel_hi:[1,0,0]
	;; [unrolled: 1-line block ×4, first 2 shown]
	v_fmac_f32_e32 v22, v104, v77
	v_fmac_f32_e32 v47, v105, v78
	;; [unrolled: 1-line block ×4, first 2 shown]
	s_cbranch_scc1 .LBB198_19
; %bb.20:                               ;   in Loop: Header=BB198_5 Depth=1
	s_barrier
	buffer_gl0_inv
	s_branch .LBB198_4
.LBB198_21:
	s_mul_i32 s0, s14, s11
	s_waitcnt vmcnt(0)
	v_cmp_gt_i32_e32 vcc_lo, s0, v21
	s_and_saveexec_b32 s0, vcc_lo
	s_cbranch_execz .LBB198_30
; %bb.22:
	v_add_nc_u32_e32 v1, s6, v0
	v_mul_lo_u32 v0, v21, s13
	s_mov_b32 s0, exec_lo
	v_cmpx_gt_u32_e64 s13, v1
	s_cbranch_execz .LBB198_24
; %bb.23:
	v_add_nc_u32_e32 v2, v0, v1
	v_mov_b32_e32 v3, 0
	v_cvt_f16_f32_e32 v4, v22
	v_lshlrev_b64 v[2:3], 1, v[2:3]
	v_add_co_u32 v2, vcc_lo, s16, v2
	v_add_co_ci_u32_e64 v3, null, s17, v3, vcc_lo
	global_store_short v[2:3], v4, off
.LBB198_24:
	s_or_b32 exec_lo, exec_lo, s0
	v_add_nc_u32_e32 v2, 32, v1
	s_mov_b32 s0, exec_lo
	v_cmpx_gt_u32_e64 s13, v2
	s_cbranch_execz .LBB198_26
; %bb.25:
	v_add_nc_u32_e32 v2, v0, v2
	v_mov_b32_e32 v3, 0
	v_cvt_f16_f32_e32 v4, v47
	v_lshlrev_b64 v[2:3], 1, v[2:3]
	v_add_co_u32 v2, vcc_lo, s16, v2
	v_add_co_ci_u32_e64 v3, null, s17, v3, vcc_lo
	global_store_short v[2:3], v4, off
.LBB198_26:
	s_or_b32 exec_lo, exec_lo, s0
	v_add_nc_u32_e32 v2, 64, v1
	;; [unrolled: 14-line block ×3, first 2 shown]
	v_cmp_gt_u32_e32 vcc_lo, s13, v1
	s_and_b32 exec_lo, exec_lo, vcc_lo
	s_cbranch_execz .LBB198_30
; %bb.29:
	v_add_nc_u32_e32 v0, v0, v1
	v_mov_b32_e32 v1, 0
	v_cvt_f16_f32_e32 v2, v15
	v_lshlrev_b64 v[0:1], 1, v[0:1]
	v_add_co_u32 v0, vcc_lo, s16, v0
	v_add_co_ci_u32_e64 v1, null, s17, v1, vcc_lo
	global_store_short v[0:1], v2, off
.LBB198_30:
	s_endpgm
	.section	.rodata,"a",@progbits
	.p2align	6, 0x0
	.amdhsa_kernel _ZL8moe_q4_0IN3c104HalfELb1EEvPKvS3_PT_PKiS7_S7_iiiiiii
		.amdhsa_group_segment_fixed_size 22272
		.amdhsa_private_segment_fixed_size 0
		.amdhsa_kernarg_size 76
		.amdhsa_user_sgpr_count 6
		.amdhsa_user_sgpr_private_segment_buffer 1
		.amdhsa_user_sgpr_dispatch_ptr 0
		.amdhsa_user_sgpr_queue_ptr 0
		.amdhsa_user_sgpr_kernarg_segment_ptr 1
		.amdhsa_user_sgpr_dispatch_id 0
		.amdhsa_user_sgpr_flat_scratch_init 0
		.amdhsa_user_sgpr_private_segment_size 0
		.amdhsa_wavefront_size32 1
		.amdhsa_uses_dynamic_stack 0
		.amdhsa_system_sgpr_private_segment_wavefront_offset 0
		.amdhsa_system_sgpr_workgroup_id_x 1
		.amdhsa_system_sgpr_workgroup_id_y 1
		.amdhsa_system_sgpr_workgroup_id_z 0
		.amdhsa_system_sgpr_workgroup_info 0
		.amdhsa_system_vgpr_workitem_id 1
		.amdhsa_next_free_vgpr 125
		.amdhsa_next_free_sgpr 19
		.amdhsa_reserve_vcc 1
		.amdhsa_reserve_flat_scratch 0
		.amdhsa_float_round_mode_32 0
		.amdhsa_float_round_mode_16_64 0
		.amdhsa_float_denorm_mode_32 3
		.amdhsa_float_denorm_mode_16_64 3
		.amdhsa_dx10_clamp 1
		.amdhsa_ieee_mode 1
		.amdhsa_fp16_overflow 0
		.amdhsa_workgroup_processor_mode 1
		.amdhsa_memory_ordered 1
		.amdhsa_forward_progress 1
		.amdhsa_shared_vgpr_count 0
		.amdhsa_exception_fp_ieee_invalid_op 0
		.amdhsa_exception_fp_denorm_src 0
		.amdhsa_exception_fp_ieee_div_zero 0
		.amdhsa_exception_fp_ieee_overflow 0
		.amdhsa_exception_fp_ieee_underflow 0
		.amdhsa_exception_fp_ieee_inexact 0
		.amdhsa_exception_int_div_zero 0
	.end_amdhsa_kernel
	.section	.text._ZL8moe_q4_0IN3c104HalfELb1EEvPKvS3_PT_PKiS7_S7_iiiiiii,"axG",@progbits,_ZL8moe_q4_0IN3c104HalfELb1EEvPKvS3_PT_PKiS7_S7_iiiiiii,comdat
.Lfunc_end198:
	.size	_ZL8moe_q4_0IN3c104HalfELb1EEvPKvS3_PT_PKiS7_S7_iiiiiii, .Lfunc_end198-_ZL8moe_q4_0IN3c104HalfELb1EEvPKvS3_PT_PKiS7_S7_iiiiiii
                                        ; -- End function
	.set _ZL8moe_q4_0IN3c104HalfELb1EEvPKvS3_PT_PKiS7_S7_iiiiiii.num_vgpr, 125
	.set _ZL8moe_q4_0IN3c104HalfELb1EEvPKvS3_PT_PKiS7_S7_iiiiiii.num_agpr, 0
	.set _ZL8moe_q4_0IN3c104HalfELb1EEvPKvS3_PT_PKiS7_S7_iiiiiii.numbered_sgpr, 19
	.set _ZL8moe_q4_0IN3c104HalfELb1EEvPKvS3_PT_PKiS7_S7_iiiiiii.num_named_barrier, 0
	.set _ZL8moe_q4_0IN3c104HalfELb1EEvPKvS3_PT_PKiS7_S7_iiiiiii.private_seg_size, 0
	.set _ZL8moe_q4_0IN3c104HalfELb1EEvPKvS3_PT_PKiS7_S7_iiiiiii.uses_vcc, 1
	.set _ZL8moe_q4_0IN3c104HalfELb1EEvPKvS3_PT_PKiS7_S7_iiiiiii.uses_flat_scratch, 0
	.set _ZL8moe_q4_0IN3c104HalfELb1EEvPKvS3_PT_PKiS7_S7_iiiiiii.has_dyn_sized_stack, 0
	.set _ZL8moe_q4_0IN3c104HalfELb1EEvPKvS3_PT_PKiS7_S7_iiiiiii.has_recursion, 0
	.set _ZL8moe_q4_0IN3c104HalfELb1EEvPKvS3_PT_PKiS7_S7_iiiiiii.has_indirect_call, 0
	.section	.AMDGPU.csdata,"",@progbits
; Kernel info:
; codeLenInByte = 4500
; TotalNumSgprs: 21
; NumVgprs: 125
; ScratchSize: 0
; MemoryBound: 0
; FloatMode: 240
; IeeeMode: 1
; LDSByteSize: 22272 bytes/workgroup (compile time only)
; SGPRBlocks: 0
; VGPRBlocks: 15
; NumSGPRsForWavesPerEU: 21
; NumVGPRsForWavesPerEU: 125
; Occupancy: 8
; WaveLimiterHint : 1
; COMPUTE_PGM_RSRC2:SCRATCH_EN: 0
; COMPUTE_PGM_RSRC2:USER_SGPR: 6
; COMPUTE_PGM_RSRC2:TRAP_HANDLER: 0
; COMPUTE_PGM_RSRC2:TGID_X_EN: 1
; COMPUTE_PGM_RSRC2:TGID_Y_EN: 1
; COMPUTE_PGM_RSRC2:TGID_Z_EN: 0
; COMPUTE_PGM_RSRC2:TIDIG_COMP_CNT: 1
	.section	.text._ZL8moe_q4_1IN3c104HalfELb0EEvPKvS3_PT_PKiS7_S7_iiiiiii,"axG",@progbits,_ZL8moe_q4_1IN3c104HalfELb0EEvPKvS3_PT_PKiS7_S7_iiiiiii,comdat
	.globl	_ZL8moe_q4_1IN3c104HalfELb0EEvPKvS3_PT_PKiS7_S7_iiiiiii ; -- Begin function _ZL8moe_q4_1IN3c104HalfELb0EEvPKvS3_PT_PKiS7_S7_iiiiiii
	.p2align	8
	.type	_ZL8moe_q4_1IN3c104HalfELb0EEvPKvS3_PT_PKiS7_S7_iiiiiii,@function
_ZL8moe_q4_1IN3c104HalfELb0EEvPKvS3_PT_PKiS7_S7_iiiiiii: ; @_ZL8moe_q4_1IN3c104HalfELb0EEvPKvS3_PT_PKiS7_S7_iiiiiii
; %bb.0:
	s_load_dwordx4 s[0:3], s[4:5], 0x18
	s_mov_b32 s8, s7
	s_mov_b32 s9, 0
	s_lshl_b64 s[10:11], s[8:9], 2
	s_waitcnt lgkmcnt(0)
	s_add_u32 s2, s2, s10
	s_addc_u32 s3, s3, s11
	s_load_dword s7, s[2:3], 0x0
	s_waitcnt lgkmcnt(0)
	s_cmpk_gt_u32 s7, 0xff
	s_cbranch_scc1 .LBB199_30
; %bb.1:
	s_load_dwordx2 s[2:3], s[4:5], 0x28
	s_waitcnt lgkmcnt(0)
	s_load_dword s3, s[2:3], 0x0
	s_lshl_b32 s2, s8, 3
	s_waitcnt lgkmcnt(0)
	s_cmp_gt_u32 s2, s3
	s_cbranch_scc1 .LBB199_30
; %bb.2:
	v_add_nc_u32_e32 v2, s2, v1
	v_mov_b32_e32 v3, 0
	s_lshl_b32 s6, s6, 7
	v_lshlrev_b64 v[4:5], 2, v[2:3]
	v_mov_b32_e32 v14, v3
	v_mov_b32_e32 v25, v3
	v_add_co_u32 v4, vcc_lo, s0, v4
	v_add_co_ci_u32_e64 v5, null, s1, v5, vcc_lo
	global_load_dword v4, v[4:5], off
	s_clause 0x2
	s_load_dwordx2 s[14:15], s[4:5], 0x30
	s_load_dwordx2 s[12:13], s[4:5], 0x10
	s_load_dwordx4 s[8:11], s[4:5], 0x3c
	v_mov_b32_e32 v5, v3
	s_waitcnt lgkmcnt(0)
	s_cmp_lt_i32 s15, 32
	s_cbranch_scc1 .LBB199_21
; %bb.3:
	s_load_dwordx4 s[0:3], s[4:5], 0x0
	s_ashr_i32 s4, s15, 31
	s_ashr_i32 s5, s9, 31
	s_lshr_b32 s4, s4, 27
	s_lshr_b32 s5, s5, 27
	s_add_i32 s4, s15, s4
	s_mul_i32 s14, s7, s14
	s_ashr_i32 s7, s4, 5
	s_add_i32 s5, s9, s5
	s_mul_i32 s17, s7, s6
	s_ashr_i32 s16, s14, 31
	s_ashr_i32 s9, s5, 5
	s_mul_hi_i32 s5, s17, 20
	s_mul_i32 s17, s17, 20
	v_mul_lo_u32 v12, s7, v1
	v_lshlrev_b32_e32 v2, 2, v0
	v_lshl_add_u32 v9, v1, 4, 0x5680
	s_waitcnt vmcnt(0)
	v_xor_b32_e32 v19, s11, v4
	v_and_b32_e32 v14, 31, v0
	v_lshl_add_u32 v8, v1, 7, 0x5280
	s_waitcnt lgkmcnt(0)
	s_add_u32 s0, s0, s14
	s_addc_u32 s1, s1, s16
	s_add_u32 s14, s0, s17
	s_addc_u32 s16, s1, s5
	s_abs_i32 s1, s11
	s_lshl_b32 s5, s7, 3
	v_cvt_f32_u32_e32 v3, s1
	s_sub_i32 s0, 0, s1
	v_add_nc_u32_e32 v15, s5, v12
	v_sub_nc_u32_e32 v23, 0, v4
	v_add_nc_u32_e32 v20, 64, v0
	v_rcp_iflag_f32_e32 v3, v3
	v_and_b32_e32 v11, 12, v2
	v_mad_u32_u24 v13, 0x84, v1, v2
	v_and_b32_e32 v46, 28, v2
	v_add_nc_u32_e32 v17, v9, v2
	v_ashrrev_i32_e32 v2, 31, v19
	v_add_nc_u32_e32 v19, s5, v15
	v_lshl_or_b32 v16, v14, 2, v8
	v_max_i32_e32 v14, v4, v23
	v_and_b32_e32 v30, 0x1fc, v20
	v_mul_f32_e32 v3, 0x4f7ffffe, v3
	v_add_nc_u32_e32 v20, s5, v19
	v_lshrrev_b32_e32 v7, 3, v0
	v_add_nc_u32_e32 v22, 0x60, v0
	v_add_nc_u32_e32 v21, 32, v0
	v_cvt_u32_f32_e32 v3, v3
	v_add_nc_u32_e32 v23, s5, v20
	v_lshl_add_u32 v1, v1, 2, v7
	v_lshlrev_b32_e32 v25, 5, v0
	v_and_b32_e32 v29, 0x1fc, v22
	v_mul_lo_u32 v26, s0, v3
	v_add_nc_u32_e32 v27, s5, v23
	v_add_nc_u32_e32 v33, 32, v1
	;; [unrolled: 1-line block ×3, first 2 shown]
	v_and_b32_e32 v6, 7, v0
	v_and_b32_e32 v24, 0xfc, v0
	v_add_nc_u32_e32 v28, s5, v27
	v_and_b32_e32 v31, 0x1fc, v21
	v_mul_hi_u32 v26, v3, v26
	v_add_nc_u32_e32 v38, v25, v29
	v_and_b32_e32 v32, 0x7fc, v1
	v_add_nc_u32_e32 v29, s5, v28
	v_lshlrev_b32_e32 v51, 5, v1
	v_and_b32_e32 v41, 0xffc, v33
	v_lshlrev_b32_e32 v53, 5, v33
	v_and_b32_e32 v44, 0xffc, v34
	v_add_nc_u32_e32 v3, v3, v26
	v_mul_lo_u32 v26, s7, v1
	v_add_nc_u32_e32 v1, 0x60, v1
	v_lshlrev_b32_e32 v54, 5, v34
	v_lshlrev_b32_e32 v43, 2, v6
	v_mul_hi_u32 v3, v14, v3
	v_add_nc_u32_e32 v50, v25, v24
	v_add_nc_u32_e32 v39, v25, v30
	;; [unrolled: 1-line block ×4, first 2 shown]
	v_and_b32_e32 v45, 0xffc, v1
	v_lshlrev_b32_e32 v55, 5, v1
	v_add3_u32 v52, v32, v43, 0x4200
	v_mul_lo_u32 v35, v3, s1
	v_add_nc_u32_e32 v33, 1, v3
	v_add_nc_u32_e32 v32, s5, v31
	s_andn2_b32 s4, s4, 31
	v_add3_u32 v57, v45, v43, 0x4200
	v_add3_u32 v56, v44, v43, 0x4200
	v_cmp_gt_u32_e32 vcc_lo, 4, v0
	v_mov_b32_e32 v5, 0
	v_sub_nc_u32_e32 v14, v14, v35
	v_mad_u32_u24 v10, 0x84, v0, 64
	v_lshrrev_b32_e32 v18, 3, v21
	v_add_nc_u32_e32 v21, 0x35a0, v13
	v_add_nc_u32_e32 v22, 0x39c0, v13
	v_subrev_nc_u32_e32 v34, s1, v14
	v_cmp_le_u32_e64 s0, s1, v14
	v_add_nc_u32_e32 v24, 0x3de0, v13
	v_add_nc_u32_e32 v30, 0x4200, v50
	;; [unrolled: 1-line block ×4, first 2 shown]
	v_cndmask_b32_e64 v3, v3, v33, s0
	v_cndmask_b32_e64 v1, v14, v34, s0
	v_add_nc_u32_e32 v33, s5, v32
	v_add_nc_u32_e32 v34, 0x4e00, v38
	;; [unrolled: 1-line block ×4, first 2 shown]
	v_cmp_le_u32_e64 s0, s1, v1
	v_add_nc_u32_e32 v36, s5, v33
	v_add_nc_u32_e32 v39, 0x4a10, v39
	;; [unrolled: 1-line block ×4, first 2 shown]
	v_cndmask_b32_e64 v1, v3, v14, s0
	v_add_nc_u32_e32 v40, s5, v36
	v_add3_u32 v3, v41, v43, 0x4200
	v_add_nc_u32_e32 v41, s4, v26
	v_add_nc_u32_e32 v51, v52, v51
	v_xor_b32_e32 v1, v1, v2
	v_add_nc_u32_e32 v42, s5, v40
	v_add_nc_u32_e32 v52, v3, v53
	;; [unrolled: 1-line block ×4, first 2 shown]
	v_sub_nc_u32_e32 v14, v1, v2
	v_add_nc_u32_e32 v44, s5, v42
	v_add_co_u32 v1, s0, s2, v46
	v_add_co_ci_u32_e64 v2, null, s3, 0, s0
	v_mul_lo_u32 v45, v14, s9
	v_cmp_gt_i32_e64 s0, s8, v14
	v_add_nc_u32_e32 v46, s4, v43
	v_add_nc_u32_e32 v47, s5, v44
	;; [unrolled: 1-line block ×3, first 2 shown]
	v_mov_b32_e32 v25, 0
	v_mov_b32_e32 v14, 0
	v_mov_b32_e32 v3, 0
	v_ashrrev_i32_e32 v48, 31, v45
	s_mov_b32 s17, 0
	s_and_b32 s18, vcc_lo, s0
	s_branch .LBB199_5
.LBB199_4:                              ;   in Loop: Header=BB199_5 Depth=1
	s_add_i32 s17, s17, 8
	s_cmp_ge_i32 s17, s7
	s_cbranch_scc1 .LBB199_21
.LBB199_5:                              ; =>This Loop Header: Depth=1
                                        ;     Child Loop BB199_11 Depth 2
                                        ;     Child Loop BB199_19 Depth 2
	s_mul_i32 s1, s17, 20
	v_lshrrev_b32_e32 v55, 2, v0
	s_mul_hi_u32 s5, s17, 20
	s_add_u32 s4, s14, s1
	s_addc_u32 s5, s16, s5
	v_mad_u64_u32 v[55:56], null, v55, 20, s[4:5]
	v_mad_u64_u32 v[57:58], null, v12, 20, v[55:56]
	;; [unrolled: 1-line block ×5, first 2 shown]
	v_add_co_u32 v57, s1, v57, v11
	v_mad_u64_u32 v[65:66], null, v23, 20, v[55:56]
	v_add_co_ci_u32_e64 v58, null, 0, v58, s1
	v_add_co_u32 v59, s1, v59, v11
	v_mad_u64_u32 v[67:68], null, v27, 20, v[55:56]
	v_add_co_ci_u32_e64 v60, null, 0, v60, s1
	v_add_co_u32 v61, s1, v61, v11
	v_mad_u64_u32 v[69:70], null, v28, 20, v[55:56]
	v_add_co_ci_u32_e64 v62, null, 0, v62, s1
	v_add_co_u32 v63, s1, v63, v11
	v_mad_u64_u32 v[71:72], null, v29, 20, v[55:56]
	v_add_co_ci_u32_e64 v64, null, 0, v64, s1
	v_add_co_u32 v65, s1, v65, v11
	v_add_co_ci_u32_e64 v66, null, 0, v66, s1
	v_add_co_u32 v67, s1, v67, v11
	v_add_co_ci_u32_e64 v68, null, 0, v68, s1
	;; [unrolled: 2-line block ×3, first 2 shown]
	v_add_co_u32 v71, s1, v71, v11
	v_mad_u64_u32 v[73:74], null, v31, 20, v[55:56]
	v_add_co_ci_u32_e64 v72, null, 0, v72, s1
	s_clause 0x7
	global_load_dword v79, v[57:58], off offset:4
	global_load_dword v80, v[59:60], off offset:4
	;; [unrolled: 1-line block ×8, first 2 shown]
	v_mad_u64_u32 v[57:58], null, v32, 20, v[55:56]
	v_mad_u64_u32 v[61:62], null, v33, 20, v[55:56]
	;; [unrolled: 1-line block ×3, first 2 shown]
	v_add_co_u32 v59, s1, v73, v11
	v_mad_u64_u32 v[65:66], null, v40, 20, v[55:56]
	v_add_co_ci_u32_e64 v60, null, 0, v74, s1
	v_add_co_u32 v57, s1, v57, v11
	v_mad_u64_u32 v[67:68], null, v42, 20, v[55:56]
	v_add_co_ci_u32_e64 v58, null, 0, v58, s1
	;; [unrolled: 3-line block ×5, first 2 shown]
	v_add_co_u32 v67, s1, v67, v11
	v_add_co_ci_u32_e64 v68, null, 0, v68, s1
	v_add_co_u32 v69, s1, v69, v11
	v_add_co_ci_u32_e64 v70, null, 0, v70, s1
	;; [unrolled: 2-line block ×3, first 2 shown]
	v_mad_u64_u32 v[73:74], null, v26, 20, v[71:72]
	v_mad_u64_u32 v[75:76], null, v41, 20, v[71:72]
	;; [unrolled: 1-line block ×4, first 2 shown]
	s_clause 0xb
	global_load_dword v59, v[59:60], off offset:4
	global_load_dword v57, v[57:58], off offset:4
	;; [unrolled: 1-line block ×8, first 2 shown]
	global_load_dword v56, v[73:74], off
	global_load_dword v64, v[75:76], off
	;; [unrolled: 1-line block ×4, first 2 shown]
	v_add_nc_u32_e32 v67, 0x420, v13
	s_lshl_b32 s4, s17, 5
	v_add_nc_u32_e32 v68, 0x840, v13
	v_add_nc_u32_e32 v69, 0xc60, v13
	s_cmp_lt_i32 s4, s15
	v_add_nc_u32_e32 v70, 0x1080, v13
	v_add_nc_u32_e32 v71, 0x14a0, v13
	;; [unrolled: 1-line block ×9, first 2 shown]
	s_waitcnt vmcnt(19)
	ds_write_b32 v13, v79
	s_waitcnt vmcnt(18)
	ds_write_b32 v67, v80
	;; [unrolled: 2-line block ×20, first 2 shown]
	s_cbranch_scc0 .LBB199_4
; %bb.6:                                ;   in Loop: Header=BB199_5 Depth=1
	v_add_nc_u32_e32 v55, s17, v7
	v_cmp_gt_i32_e64 s1, s9, v55
	s_and_b32 s5, s0, s1
	s_and_saveexec_b32 s1, s5
	s_cbranch_execz .LBB199_8
; %bb.7:                                ;   in Loop: Header=BB199_5 Depth=1
	v_add_nc_u32_e32 v55, v45, v55
	v_mad_i64_i32 v[55:56], null, v55, 36, v[1:2]
	global_load_dword v55, v[55:56], off offset:4
	s_waitcnt vmcnt(0)
	ds_write_b32 v16, v55
.LBB199_8:                              ;   in Loop: Header=BB199_5 Depth=1
	s_or_b32 exec_lo, exec_lo, s1
	v_add_nc_u32_e32 v55, s17, v0
	v_cmp_gt_i32_e64 s1, s9, v55
	s_and_b32 s5, s18, s1
	s_and_saveexec_b32 s1, s5
	s_cbranch_execz .LBB199_10
; %bb.9:                                ;   in Loop: Header=BB199_5 Depth=1
	v_add_nc_u32_e32 v56, v45, v55
	v_mad_i64_i32 v[56:57], null, v56, 36, s[2:3]
	global_load_dword v56, v[56:57], off
	s_waitcnt vmcnt(0)
	ds_write_b32 v17, v56
.LBB199_10:                             ;   in Loop: Header=BB199_5 Depth=1
	s_or_b32 exec_lo, exec_lo, s1
	v_mov_b32_e32 v56, v8
	v_mov_b32_e32 v57, v9
	v_mul_u32_u24_e32 v62, 0x84, v0
	v_mov_b32_e32 v58, v30
	v_mov_b32_e32 v59, v37
	v_mov_b32_e32 v60, v35
	v_mov_b32_e32 v61, v34
	s_mov_b32 s1, -4
	s_waitcnt lgkmcnt(0)
	s_barrier
	buffer_gl0_inv
.LBB199_11:                             ;   Parent Loop BB199_5 Depth=1
                                        ; =>  This Inner Loop Header: Depth=2
	v_add_nc_u32_e32 v75, 0x1080, v62
	v_add_nc_u32_e32 v77, 0x1088, v62
	;; [unrolled: 1-line block ×4, first 2 shown]
	ds_read_b128 v[63:66], v56
	ds_read_b128 v[67:70], v56 offset:16
	ds_read2_b32 v[71:72], v62 offset0:2 offset1:3
	v_add_nc_u32_e32 v83, 0x3180, v62
	ds_read2_b32 v[73:74], v62 offset1:1
	ds_read_b32 v90, v57
	ds_read_b32 v91, v58
	;; [unrolled: 1-line block ×5, first 2 shown]
	v_add_nc_u32_e32 v85, 0x3188, v62
	ds_read2_b32 v[75:76], v75 offset1:1
	ds_read2_b32 v[77:78], v77 offset1:1
	ds_read2_b32 v[79:80], v79 offset1:1
	ds_read2_b32 v[81:82], v81 offset1:1
	ds_read2_b32 v[83:84], v83 offset1:1
	ds_read2_b32 v[85:86], v85 offset1:1
	v_mov_b32_e32 v87, 0
	v_mov_b32_e32 v88, 0
	;; [unrolled: 1-line block ×4, first 2 shown]
	v_add_nc_u32_e32 v62, 16, v62
	v_add_nc_u32_e32 v61, 4, v61
	v_add_nc_u32_e32 v60, 4, v60
	v_add_nc_u32_e32 v59, 4, v59
	v_add_nc_u32_e32 v58, 4, v58
	v_add_nc_u32_e32 v57, 4, v57
	v_add_nc_u32_e32 v56, 32, v56
	s_add_i32 s1, s1, 4
	s_waitcnt lgkmcnt(11)
	v_and_b32_e32 v96, 0xf0f0f0f, v73
	v_lshrrev_b32_e32 v73, 4, v73
	s_waitcnt lgkmcnt(5)
	v_and_b32_e32 v100, 0xf0f0f0f, v76
	v_lshrrev_b32_e32 v76, 4, v76
	s_waitcnt lgkmcnt(4)
	v_and_b32_e32 v101, 0xf0f0f0f, v77
	v_dot4c_i32_i8 v87, v96, v63
	v_and_b32_e32 v73, 0xf0f0f0f, v73
	v_and_b32_e32 v96, 0xf0f0f0f, v75
	v_lshrrev_b32_e32 v75, 4, v75
	v_lshrrev_b32_e32 v77, 4, v77
	s_waitcnt lgkmcnt(3)
	v_and_b32_e32 v103, 0xf0f0f0f, v79
	v_lshrrev_b32_e32 v79, 4, v79
	s_waitcnt lgkmcnt(1)
	v_and_b32_e32 v107, 0xf0f0f0f, v83
	v_lshrrev_b32_e32 v83, 4, v83
	v_dot4c_i32_i8 v87, v73, v67
	v_and_b32_e32 v73, 0xf0f0f0f, v75
	v_dot4c_i32_i8 v88, v96, v63
	v_and_b32_e32 v75, 0xf0f0f0f, v76
	v_and_b32_e32 v76, 0xf0f0f0f, v77
	v_and_b32_e32 v77, 0xf0f0f0f, v79
	v_dot4c_i32_i8 v89, v103, v63
	v_and_b32_e32 v79, 0xf0f0f0f, v83
	v_dot4c_i32_i8 v95, v107, v63
	v_and_b32_e32 v97, 0xf0f0f0f, v74
	v_lshrrev_b32_e32 v74, 4, v74
	v_and_b32_e32 v102, 0xf0f0f0f, v78
	v_lshrrev_b32_e32 v78, 4, v78
	;; [unrolled: 2-line block ×4, first 2 shown]
	v_dot4c_i32_i8 v88, v73, v67
	v_dot4c_i32_i8 v89, v77, v67
	;; [unrolled: 1-line block ×3, first 2 shown]
	v_and_b32_e32 v74, 0xf0f0f0f, v74
	v_and_b32_e32 v63, 0xf0f0f0f, v78
	;; [unrolled: 1-line block ×4, first 2 shown]
	v_dot4c_i32_i8 v87, v97, v64
	v_dot4c_i32_i8 v88, v100, v64
	;; [unrolled: 1-line block ×4, first 2 shown]
	v_and_b32_e32 v98, 0xf0f0f0f, v71
	v_lshrrev_b32_e32 v71, 4, v71
	v_and_b32_e32 v105, 0xf0f0f0f, v81
	v_lshrrev_b32_e32 v81, 4, v81
	s_waitcnt lgkmcnt(0)
	v_and_b32_e32 v109, 0xf0f0f0f, v85
	v_lshrrev_b32_e32 v85, 4, v85
	v_dot4c_i32_i8 v87, v74, v68
	v_dot4c_i32_i8 v88, v75, v68
	;; [unrolled: 1-line block ×4, first 2 shown]
	v_and_b32_e32 v71, 0xf0f0f0f, v71
	v_and_b32_e32 v64, 0xf0f0f0f, v81
	;; [unrolled: 1-line block ×3, first 2 shown]
	v_dot4c_i32_i8 v87, v98, v65
	v_dot4c_i32_i8 v88, v101, v65
	;; [unrolled: 1-line block ×4, first 2 shown]
	v_and_b32_e32 v99, 0xf0f0f0f, v72
	v_lshrrev_b32_e32 v72, 4, v72
	v_and_b32_e32 v106, 0xf0f0f0f, v82
	v_lshrrev_b32_e32 v82, 4, v82
	;; [unrolled: 2-line block ×3, first 2 shown]
	v_dot4c_i32_i8 v87, v71, v69
	v_dot4c_i32_i8 v88, v76, v69
	v_dot4c_i32_i8 v89, v64, v69
	v_dot4c_i32_i8 v95, v67, v69
	v_and_b32_e32 v72, 0xf0f0f0f, v72
	v_and_b32_e32 v65, 0xf0f0f0f, v82
	;; [unrolled: 1-line block ×3, first 2 shown]
	v_dot4c_i32_i8 v87, v99, v66
	v_dot4c_i32_i8 v88, v102, v66
	;; [unrolled: 1-line block ×4, first 2 shown]
	v_pk_mul_f16 v91, v90, v91
	v_dot4c_i32_i8 v87, v72, v70
	v_dot4c_i32_i8 v88, v63, v70
	;; [unrolled: 1-line block ×4, first 2 shown]
	v_pk_mul_f16 v92, v90, v92
	v_pk_mul_f16 v66, v90, v93
	;; [unrolled: 1-line block ×3, first 2 shown]
	v_cvt_f32_i32_e32 v64, v87
	v_cvt_f32_i32_e32 v65, v88
	;; [unrolled: 1-line block ×4, first 2 shown]
	s_cmp_lt_u32 s1, 12
	v_fma_mix_f32 v64, v91, v64, v91 op_sel:[0,0,1] op_sel_hi:[1,0,1]
	v_fma_mix_f32 v65, v92, v65, v92 op_sel:[0,0,1] op_sel_hi:[1,0,1]
	;; [unrolled: 1-line block ×4, first 2 shown]
	v_add_f32_e32 v5, v5, v64
	v_add_f32_e32 v25, v25, v65
	;; [unrolled: 1-line block ×4, first 2 shown]
	s_cbranch_scc1 .LBB199_11
; %bb.12:                               ;   in Loop: Header=BB199_5 Depth=1
	s_bitset1_b32 s4, 7
	s_cmp_ge_i32 s4, s15
	s_barrier
	buffer_gl0_inv
	s_cbranch_scc1 .LBB199_4
; %bb.13:                               ;   in Loop: Header=BB199_5 Depth=1
	v_add_nc_u32_e32 v56, s17, v18
	v_cmp_gt_i32_e64 s1, s9, v56
	s_and_b32 s4, s0, s1
	s_and_saveexec_b32 s1, s4
	s_cbranch_execz .LBB199_15
; %bb.14:                               ;   in Loop: Header=BB199_5 Depth=1
	v_add_nc_u32_e32 v56, v45, v56
	v_mad_i64_i32 v[56:57], null, v56, 36, v[1:2]
	global_load_dword v56, v[56:57], off offset:4
	s_waitcnt vmcnt(0)
	ds_write_b32 v16, v56
.LBB199_15:                             ;   in Loop: Header=BB199_5 Depth=1
	s_or_b32 exec_lo, exec_lo, s1
	s_and_saveexec_b32 s4, vcc_lo
	s_cbranch_execz .LBB199_18
; %bb.16:                               ;   in Loop: Header=BB199_5 Depth=1
	v_or_b32_e32 v56, 4, v55
	v_cmp_gt_i32_e64 s1, s9, v56
	s_and_b32 s1, s0, s1
	s_and_b32 exec_lo, exec_lo, s1
	s_cbranch_execz .LBB199_18
; %bb.17:                               ;   in Loop: Header=BB199_5 Depth=1
	v_ashrrev_i32_e32 v56, 31, v55
	v_add_co_u32 v55, s1, v45, v55
	v_add_co_ci_u32_e64 v57, null, v48, v56, s1
	v_mad_u64_u32 v[55:56], null, v55, 36, s[2:3]
	v_mad_i32_i24 v56, v57, 36, v56
	global_load_dword v55, v[55:56], off offset:144
	s_waitcnt vmcnt(0)
	ds_write_b32 v17, v55
.LBB199_18:                             ;   in Loop: Header=BB199_5 Depth=1
	s_or_b32 exec_lo, exec_lo, s4
	v_mov_b32_e32 v55, v9
	v_mov_b32_e32 v56, v8
	;; [unrolled: 1-line block ×7, first 2 shown]
	s_mov_b32 s1, 12
	s_waitcnt lgkmcnt(0)
	s_barrier
	buffer_gl0_inv
.LBB199_19:                             ;   Parent Loop BB199_5 Depth=1
                                        ; =>  This Inner Loop Header: Depth=2
	ds_read_b128 v[62:65], v56
	ds_read_b128 v[66:69], v56 offset:16
	ds_read_b32 v86, v55
	ds_read2_b32 v[70:71], v61 offset1:1
	v_add_nc_u32_e32 v74, 0x1080, v61
	v_add_nc_u32_e32 v76, 0x1088, v61
	;; [unrolled: 1-line block ×6, first 2 shown]
	ds_read2_b32 v[72:73], v61 offset0:2 offset1:3
	ds_read_b32 v90, v57
	ds_read_b32 v91, v58
	;; [unrolled: 1-line block ×4, first 2 shown]
	ds_read2_b32 v[74:75], v74 offset1:1
	ds_read2_b32 v[76:77], v76 offset1:1
	;; [unrolled: 1-line block ×6, first 2 shown]
	v_mov_b32_e32 v87, 0
	v_mov_b32_e32 v88, 0
	;; [unrolled: 1-line block ×4, first 2 shown]
	v_add_nc_u32_e32 v61, 16, v61
	v_add_nc_u32_e32 v60, 4, v60
	;; [unrolled: 1-line block ×6, first 2 shown]
	s_waitcnt lgkmcnt(11)
	v_and_b32_e32 v95, 0xf0f0f0f, v70
	v_lshrrev_b32_e32 v70, 4, v70
	v_and_b32_e32 v96, 0xf0f0f0f, v71
	v_lshrrev_b32_e32 v71, 4, v71
	s_waitcnt lgkmcnt(5)
	v_and_b32_e32 v99, 0xf0f0f0f, v75
	v_dot4c_i32_i8 v87, v95, v62
	v_and_b32_e32 v70, 0xf0f0f0f, v70
	v_and_b32_e32 v95, 0xf0f0f0f, v74
	v_lshrrev_b32_e32 v74, 4, v74
	v_lshrrev_b32_e32 v75, 4, v75
	s_waitcnt lgkmcnt(4)
	v_and_b32_e32 v100, 0xf0f0f0f, v76
	v_lshrrev_b32_e32 v76, 4, v76
	s_waitcnt lgkmcnt(3)
	v_and_b32_e32 v102, 0xf0f0f0f, v78
	;; [unrolled: 3-line block ×3, first 2 shown]
	v_lshrrev_b32_e32 v82, 4, v82
	v_dot4c_i32_i8 v87, v70, v66
	v_and_b32_e32 v70, 0xf0f0f0f, v74
	v_dot4c_i32_i8 v88, v95, v62
	v_and_b32_e32 v74, 0xf0f0f0f, v75
	v_and_b32_e32 v75, 0xf0f0f0f, v76
	;; [unrolled: 1-line block ×3, first 2 shown]
	v_dot4c_i32_i8 v89, v102, v62
	v_and_b32_e32 v78, 0xf0f0f0f, v82
	v_dot4c_i32_i8 v94, v106, v62
	v_and_b32_e32 v101, 0xf0f0f0f, v77
	v_lshrrev_b32_e32 v77, 4, v77
	v_and_b32_e32 v103, 0xf0f0f0f, v79
	v_lshrrev_b32_e32 v79, 4, v79
	v_and_b32_e32 v107, 0xf0f0f0f, v83
	v_lshrrev_b32_e32 v83, 4, v83
	v_dot4c_i32_i8 v88, v70, v66
	v_dot4c_i32_i8 v89, v76, v66
	v_dot4c_i32_i8 v94, v78, v66
	v_and_b32_e32 v71, 0xf0f0f0f, v71
	v_and_b32_e32 v62, 0xf0f0f0f, v77
	;; [unrolled: 1-line block ×4, first 2 shown]
	v_dot4c_i32_i8 v87, v96, v63
	v_dot4c_i32_i8 v88, v99, v63
	;; [unrolled: 1-line block ×4, first 2 shown]
	v_and_b32_e32 v97, 0xf0f0f0f, v72
	v_lshrrev_b32_e32 v72, 4, v72
	v_and_b32_e32 v104, 0xf0f0f0f, v80
	v_lshrrev_b32_e32 v80, 4, v80
	s_waitcnt lgkmcnt(0)
	v_and_b32_e32 v108, 0xf0f0f0f, v84
	v_lshrrev_b32_e32 v84, 4, v84
	v_dot4c_i32_i8 v87, v71, v67
	v_dot4c_i32_i8 v88, v74, v67
	;; [unrolled: 1-line block ×4, first 2 shown]
	v_and_b32_e32 v72, 0xf0f0f0f, v72
	v_and_b32_e32 v63, 0xf0f0f0f, v80
	;; [unrolled: 1-line block ×3, first 2 shown]
	v_dot4c_i32_i8 v87, v97, v64
	v_dot4c_i32_i8 v88, v100, v64
	;; [unrolled: 1-line block ×4, first 2 shown]
	v_and_b32_e32 v98, 0xf0f0f0f, v73
	v_lshrrev_b32_e32 v73, 4, v73
	v_and_b32_e32 v105, 0xf0f0f0f, v81
	v_lshrrev_b32_e32 v81, 4, v81
	;; [unrolled: 2-line block ×3, first 2 shown]
	v_dot4c_i32_i8 v87, v72, v68
	v_dot4c_i32_i8 v88, v75, v68
	;; [unrolled: 1-line block ×4, first 2 shown]
	v_and_b32_e32 v73, 0xf0f0f0f, v73
	v_and_b32_e32 v64, 0xf0f0f0f, v81
	;; [unrolled: 1-line block ×3, first 2 shown]
	v_dot4c_i32_i8 v87, v98, v65
	v_dot4c_i32_i8 v88, v101, v65
	;; [unrolled: 1-line block ×4, first 2 shown]
	v_pk_mul_f16 v90, v86, v90
	v_dot4c_i32_i8 v87, v73, v69
	v_dot4c_i32_i8 v88, v62, v69
	;; [unrolled: 1-line block ×4, first 2 shown]
	v_pk_mul_f16 v91, v86, v91
	v_pk_mul_f16 v65, v86, v92
	;; [unrolled: 1-line block ×3, first 2 shown]
	v_cvt_f32_i32_e32 v63, v87
	v_cvt_f32_i32_e32 v64, v88
	;; [unrolled: 1-line block ×4, first 2 shown]
	v_add_nc_u32_e32 v55, 4, v55
	v_fma_mix_f32 v63, v90, v63, v90 op_sel:[0,0,1] op_sel_hi:[1,0,1]
	v_fma_mix_f32 v64, v91, v64, v91 op_sel:[0,0,1] op_sel_hi:[1,0,1]
	;; [unrolled: 1-line block ×4, first 2 shown]
	s_add_i32 s1, s1, 4
	v_add_f32_e32 v5, v5, v63
	v_add_f32_e32 v25, v25, v64
	v_add_f32_e32 v14, v14, v65
	v_add_f32_e32 v3, v3, v62
	s_cmp_lt_u32 s1, 28
	s_cbranch_scc1 .LBB199_19
; %bb.20:                               ;   in Loop: Header=BB199_5 Depth=1
	s_barrier
	buffer_gl0_inv
	s_branch .LBB199_4
.LBB199_21:
	s_mul_i32 s0, s11, s8
	s_waitcnt vmcnt(0)
	v_cmp_gt_i32_e32 vcc_lo, s0, v4
	s_and_saveexec_b32 s0, vcc_lo
	s_cbranch_execz .LBB199_30
; %bb.22:
	v_add_nc_u32_e32 v1, s6, v0
	v_mul_lo_u32 v0, v4, s10
	s_mov_b32 s0, exec_lo
	v_cmpx_gt_u32_e64 s10, v1
	s_cbranch_execz .LBB199_24
; %bb.23:
	v_add_nc_u32_e32 v6, v0, v1
	v_mov_b32_e32 v7, 0
	v_cvt_f16_f32_e32 v2, v5
	v_lshlrev_b64 v[6:7], 1, v[6:7]
	v_add_co_u32 v6, vcc_lo, s12, v6
	v_add_co_ci_u32_e64 v7, null, s13, v7, vcc_lo
	global_store_short v[6:7], v2, off
.LBB199_24:
	s_or_b32 exec_lo, exec_lo, s0
	v_add_nc_u32_e32 v2, 32, v1
	s_mov_b32 s0, exec_lo
	v_cmpx_gt_u32_e64 s10, v2
	s_cbranch_execz .LBB199_26
; %bb.25:
	v_add_nc_u32_e32 v4, v0, v2
	v_mov_b32_e32 v5, 0
	v_cvt_f16_f32_e32 v2, v25
	v_lshlrev_b64 v[4:5], 1, v[4:5]
	v_add_co_u32 v4, vcc_lo, s12, v4
	v_add_co_ci_u32_e64 v5, null, s13, v5, vcc_lo
	global_store_short v[4:5], v2, off
.LBB199_26:
	s_or_b32 exec_lo, exec_lo, s0
	v_add_nc_u32_e32 v2, 64, v1
	;; [unrolled: 14-line block ×3, first 2 shown]
	v_cmp_gt_u32_e32 vcc_lo, s10, v1
	s_and_b32 exec_lo, exec_lo, vcc_lo
	s_cbranch_execz .LBB199_30
; %bb.29:
	v_add_nc_u32_e32 v0, v0, v1
	v_mov_b32_e32 v1, 0
	v_cvt_f16_f32_e32 v2, v3
	v_lshlrev_b64 v[0:1], 1, v[0:1]
	v_add_co_u32 v0, vcc_lo, s12, v0
	v_add_co_ci_u32_e64 v1, null, s13, v1, vcc_lo
	global_store_short v[0:1], v2, off
.LBB199_30:
	s_endpgm
	.section	.rodata,"a",@progbits
	.p2align	6, 0x0
	.amdhsa_kernel _ZL8moe_q4_1IN3c104HalfELb0EEvPKvS3_PT_PKiS7_S7_iiiiiii
		.amdhsa_group_segment_fixed_size 22272
		.amdhsa_private_segment_fixed_size 0
		.amdhsa_kernarg_size 76
		.amdhsa_user_sgpr_count 6
		.amdhsa_user_sgpr_private_segment_buffer 1
		.amdhsa_user_sgpr_dispatch_ptr 0
		.amdhsa_user_sgpr_queue_ptr 0
		.amdhsa_user_sgpr_kernarg_segment_ptr 1
		.amdhsa_user_sgpr_dispatch_id 0
		.amdhsa_user_sgpr_flat_scratch_init 0
		.amdhsa_user_sgpr_private_segment_size 0
		.amdhsa_wavefront_size32 1
		.amdhsa_uses_dynamic_stack 0
		.amdhsa_system_sgpr_private_segment_wavefront_offset 0
		.amdhsa_system_sgpr_workgroup_id_x 1
		.amdhsa_system_sgpr_workgroup_id_y 1
		.amdhsa_system_sgpr_workgroup_id_z 0
		.amdhsa_system_sgpr_workgroup_info 0
		.amdhsa_system_vgpr_workitem_id 1
		.amdhsa_next_free_vgpr 111
		.amdhsa_next_free_sgpr 19
		.amdhsa_reserve_vcc 1
		.amdhsa_reserve_flat_scratch 0
		.amdhsa_float_round_mode_32 0
		.amdhsa_float_round_mode_16_64 0
		.amdhsa_float_denorm_mode_32 3
		.amdhsa_float_denorm_mode_16_64 3
		.amdhsa_dx10_clamp 1
		.amdhsa_ieee_mode 1
		.amdhsa_fp16_overflow 0
		.amdhsa_workgroup_processor_mode 1
		.amdhsa_memory_ordered 1
		.amdhsa_forward_progress 1
		.amdhsa_shared_vgpr_count 0
		.amdhsa_exception_fp_ieee_invalid_op 0
		.amdhsa_exception_fp_denorm_src 0
		.amdhsa_exception_fp_ieee_div_zero 0
		.amdhsa_exception_fp_ieee_overflow 0
		.amdhsa_exception_fp_ieee_underflow 0
		.amdhsa_exception_fp_ieee_inexact 0
		.amdhsa_exception_int_div_zero 0
	.end_amdhsa_kernel
	.section	.text._ZL8moe_q4_1IN3c104HalfELb0EEvPKvS3_PT_PKiS7_S7_iiiiiii,"axG",@progbits,_ZL8moe_q4_1IN3c104HalfELb0EEvPKvS3_PT_PKiS7_S7_iiiiiii,comdat
.Lfunc_end199:
	.size	_ZL8moe_q4_1IN3c104HalfELb0EEvPKvS3_PT_PKiS7_S7_iiiiiii, .Lfunc_end199-_ZL8moe_q4_1IN3c104HalfELb0EEvPKvS3_PT_PKiS7_S7_iiiiiii
                                        ; -- End function
	.set _ZL8moe_q4_1IN3c104HalfELb0EEvPKvS3_PT_PKiS7_S7_iiiiiii.num_vgpr, 111
	.set _ZL8moe_q4_1IN3c104HalfELb0EEvPKvS3_PT_PKiS7_S7_iiiiiii.num_agpr, 0
	.set _ZL8moe_q4_1IN3c104HalfELb0EEvPKvS3_PT_PKiS7_S7_iiiiiii.numbered_sgpr, 19
	.set _ZL8moe_q4_1IN3c104HalfELb0EEvPKvS3_PT_PKiS7_S7_iiiiiii.num_named_barrier, 0
	.set _ZL8moe_q4_1IN3c104HalfELb0EEvPKvS3_PT_PKiS7_S7_iiiiiii.private_seg_size, 0
	.set _ZL8moe_q4_1IN3c104HalfELb0EEvPKvS3_PT_PKiS7_S7_iiiiiii.uses_vcc, 1
	.set _ZL8moe_q4_1IN3c104HalfELb0EEvPKvS3_PT_PKiS7_S7_iiiiiii.uses_flat_scratch, 0
	.set _ZL8moe_q4_1IN3c104HalfELb0EEvPKvS3_PT_PKiS7_S7_iiiiiii.has_dyn_sized_stack, 0
	.set _ZL8moe_q4_1IN3c104HalfELb0EEvPKvS3_PT_PKiS7_S7_iiiiiii.has_recursion, 0
	.set _ZL8moe_q4_1IN3c104HalfELb0EEvPKvS3_PT_PKiS7_S7_iiiiiii.has_indirect_call, 0
	.section	.AMDGPU.csdata,"",@progbits
; Kernel info:
; codeLenInByte = 4236
; TotalNumSgprs: 21
; NumVgprs: 111
; ScratchSize: 0
; MemoryBound: 0
; FloatMode: 240
; IeeeMode: 1
; LDSByteSize: 22272 bytes/workgroup (compile time only)
; SGPRBlocks: 0
; VGPRBlocks: 13
; NumSGPRsForWavesPerEU: 21
; NumVGPRsForWavesPerEU: 111
; Occupancy: 9
; WaveLimiterHint : 1
; COMPUTE_PGM_RSRC2:SCRATCH_EN: 0
; COMPUTE_PGM_RSRC2:USER_SGPR: 6
; COMPUTE_PGM_RSRC2:TRAP_HANDLER: 0
; COMPUTE_PGM_RSRC2:TGID_X_EN: 1
; COMPUTE_PGM_RSRC2:TGID_Y_EN: 1
; COMPUTE_PGM_RSRC2:TGID_Z_EN: 0
; COMPUTE_PGM_RSRC2:TIDIG_COMP_CNT: 1
	.section	.text._ZL8moe_q4_1IN3c104HalfELb1EEvPKvS3_PT_PKiS7_S7_iiiiiii,"axG",@progbits,_ZL8moe_q4_1IN3c104HalfELb1EEvPKvS3_PT_PKiS7_S7_iiiiiii,comdat
	.globl	_ZL8moe_q4_1IN3c104HalfELb1EEvPKvS3_PT_PKiS7_S7_iiiiiii ; -- Begin function _ZL8moe_q4_1IN3c104HalfELb1EEvPKvS3_PT_PKiS7_S7_iiiiiii
	.p2align	8
	.type	_ZL8moe_q4_1IN3c104HalfELb1EEvPKvS3_PT_PKiS7_S7_iiiiiii,@function
_ZL8moe_q4_1IN3c104HalfELb1EEvPKvS3_PT_PKiS7_S7_iiiiiii: ; @_ZL8moe_q4_1IN3c104HalfELb1EEvPKvS3_PT_PKiS7_S7_iiiiiii
; %bb.0:
	s_load_dwordx4 s[0:3], s[4:5], 0x18
	s_mov_b32 s8, s7
	s_mov_b32 s9, 0
	s_lshl_b64 s[10:11], s[8:9], 2
	s_waitcnt lgkmcnt(0)
	s_add_u32 s2, s2, s10
	s_addc_u32 s3, s3, s11
	s_load_dword s7, s[2:3], 0x0
	s_waitcnt lgkmcnt(0)
	s_cmpk_gt_u32 s7, 0xff
	s_cbranch_scc1 .LBB200_30
; %bb.1:
	s_load_dwordx2 s[2:3], s[4:5], 0x28
	s_waitcnt lgkmcnt(0)
	s_load_dword s3, s[2:3], 0x0
	s_lshl_b32 s2, s8, 3
	s_waitcnt lgkmcnt(0)
	s_cmp_gt_u32 s2, s3
	s_cbranch_scc1 .LBB200_30
; %bb.2:
	v_add_nc_u32_e32 v14, s2, v1
	v_mov_b32_e32 v15, 0
	s_lshl_b32 s6, s6, 7
	v_lshlrev_b64 v[2:3], 2, v[14:15]
	v_mov_b32_e32 v44, v15
	v_mov_b32_e32 v47, v15
	;; [unrolled: 1-line block ×3, first 2 shown]
	v_add_co_u32 v2, vcc_lo, s0, v2
	v_add_co_ci_u32_e64 v3, null, s1, v3, vcc_lo
	global_load_dword v21, v[2:3], off
	s_clause 0x1
	s_load_dwordx8 s[8:15], s[4:5], 0x30
	s_load_dwordx2 s[16:17], s[4:5], 0x10
	s_waitcnt lgkmcnt(0)
	s_cmp_lt_i32 s9, 32
	s_cbranch_scc1 .LBB200_21
; %bb.3:
	s_load_dwordx4 s[0:3], s[4:5], 0x0
	s_ashr_i32 s4, s9, 31
	s_ashr_i32 s5, s12, 31
	s_lshr_b32 s4, s4, 27
	s_lshr_b32 s5, s5, 27
	s_add_i32 s4, s9, s4
	s_mul_i32 s15, s7, s8
	s_ashr_i32 s7, s4, 5
	s_add_i32 s4, s12, s5
	s_mul_i32 s5, s7, s6
	s_ashr_i32 s18, s15, 31
	s_ashr_i32 s8, s4, 5
	s_mul_hi_i32 s4, s5, 20
	s_mul_i32 s5, s5, 20
	v_add_nc_u32_e32 v2, 8, v1
	v_add_nc_u32_e32 v3, 16, v1
	;; [unrolled: 1-line block ×4, first 2 shown]
	v_lshlrev_b32_e32 v20, 2, v0
	v_add_nc_u32_e32 v9, 40, v1
	s_waitcnt lgkmcnt(0)
	s_add_u32 s0, s0, s15
	s_addc_u32 s1, s1, s18
	s_add_u32 s12, s0, s5
	s_addc_u32 s15, s1, s4
	s_abs_i32 s1, s14
	s_not_b32 s0, s6
	v_cvt_f32_u32_e32 v17, s1
	s_add_i32 s0, s10, s0
	v_add_nc_u32_e32 v10, 48, v1
	v_min_i32_e32 v4, s0, v1
	v_min_i32_e32 v5, s0, v2
	v_rcp_iflag_f32_e32 v17, v17
	v_min_i32_e32 v6, s0, v3
	v_add_nc_u32_e32 v11, 56, v1
	v_min_i32_e32 v7, s0, v7
	v_add_nc_u32_e32 v12, 64, v1
	;; [unrolled: 2-line block ×3, first 2 shown]
	s_waitcnt vmcnt(0)
	v_mad_u64_u32 v[2:3], null, 0x84, v4, v[20:21]
	v_min_i32_e32 v9, s0, v9
	v_add_nc_u32_e32 v14, 0x50, v1
	v_mul_lo_u32 v25, v4, s7
	v_mad_u64_u32 v[3:4], null, 0x84, v5, v[20:21]
	v_min_i32_e32 v10, s0, v10
	v_add_nc_u32_e32 v15, 0x58, v1
	v_mul_lo_u32 v26, v5, s7
	v_mad_u64_u32 v[4:5], null, 0x84, v6, v[20:21]
	v_min_i32_e32 v11, s0, v11
	v_add_nc_u32_e32 v16, 0x60, v1
	v_mul_f32_e32 v41, 0x4f7ffffe, v17
	v_mul_lo_u32 v27, v6, s7
	v_mad_u64_u32 v[5:6], null, 0x84, v7, v[20:21]
	v_min_i32_e32 v12, s0, v12
	v_mul_lo_u32 v28, v7, s7
	v_mad_u64_u32 v[6:7], null, 0x84, v8, v[20:21]
	v_min_i32_e32 v13, s0, v13
	;; [unrolled: 3-line block ×5, first 2 shown]
	v_cvt_u32_f32_e32 v46, v41
	v_mul_lo_u32 v32, v11, s7
	v_mad_u64_u32 v[10:11], null, 0x84, v12, v[20:21]
	v_add_nc_u32_e32 v19, 0x70, v1
	v_mul_lo_u32 v33, v12, s7
	v_mad_u64_u32 v[11:12], null, 0x84, v13, v[20:21]
	v_lshrrev_b32_e32 v38, 3, v0
	v_mul_lo_u32 v34, v13, s7
	v_mad_u64_u32 v[12:13], null, 0x84, v14, v[20:21]
	s_sub_i32 s4, 0, s1
	v_mul_lo_u32 v35, v14, s7
	v_add_nc_u32_e32 v18, 0x68, v1
	v_mad_u64_u32 v[13:14], null, 0x84, v15, v[20:21]
	v_mul_lo_u32 v36, v15, s7
	v_mad_u64_u32 v[14:15], null, 0x84, v16, v[20:21]
	v_mul_lo_u32 v43, s4, v46
	v_min_i32_e32 v15, s0, v19
	v_add_nc_u32_e32 v19, 0x78, v1
	v_lshl_add_u32 v44, v1, 2, v38
	v_min_i32_e32 v18, s0, v18
	v_mul_lo_u32 v37, v16, s7
	v_sub_nc_u32_e32 v49, 0, v21
	v_min_i32_e32 v19, s0, v19
	v_add_nc_u32_e32 v47, 32, v44
	v_mul_hi_u32 v48, v46, v43
	v_mad_u64_u32 v[16:17], null, 0x84, v18, v[20:21]
	v_mul_lo_u32 v39, v18, s7
	v_mad_u64_u32 v[17:18], null, 0x84, v15, v[20:21]
	v_mul_lo_u32 v41, v19, s7
	v_mad_u64_u32 v[18:19], null, 0x84, v19, v[20:21]
	v_min_i32_e32 v19, s0, v47
	v_add_nc_u32_e32 v47, 64, v44
	v_max_i32_e32 v49, v21, v49
	v_add_nc_u32_e32 v46, v46, v48
	v_min_i32_e32 v45, s0, v44
	v_ashrrev_i32_e32 v50, 31, v19
	v_min_i32_e32 v47, s0, v47
	v_add_nc_u32_e32 v44, 0x60, v44
	v_mul_hi_u32 v52, v49, v46
	v_and_b32_e32 v42, 7, v0
	v_lshrrev_b32_e32 v48, 30, v50
	v_ashrrev_i32_e32 v50, 31, v47
	v_mul_lo_u32 v40, v15, s7
	v_ashrrev_i32_e32 v15, 31, v45
	v_min_i32_e32 v44, s0, v44
	v_add_nc_u32_e32 v46, v19, v48
	v_lshrrev_b32_e32 v48, 30, v50
	v_mul_lo_u32 v50, v52, s1
	v_lshlrev_b32_e32 v51, 2, v42
	v_lshrrev_b32_e32 v15, 30, v15
	v_ashrrev_i32_e32 v53, 31, v44
	v_add_nc_u32_e32 v48, v47, v48
	v_mul_lo_u32 v43, v45, s7
	v_lshlrev_b32_e32 v65, 5, v45
	v_add_nc_u32_e32 v15, v45, v15
	v_sub_nc_u32_e32 v49, v49, v50
	v_and_b32_e32 v48, -4, v48
	v_mul_lo_u32 v45, v19, s7
	v_lshlrev_b32_e32 v67, 5, v19
	v_lshrrev_b32_e32 v19, 30, v53
	v_subrev_nc_u32_e32 v50, s1, v49
	v_add3_u32 v68, v48, v51, 0x4200
	v_add_nc_u32_e32 v48, 1, v52
	v_cmp_le_u32_e32 vcc_lo, s1, v49
	v_add_nc_u32_e32 v19, v44, v19
	v_xor_b32_e32 v53, s14, v21
	v_and_b32_e32 v15, -4, v15
	v_and_b32_e32 v46, -4, v46
	v_cndmask_b32_e32 v52, v52, v48, vcc_lo
	v_cndmask_b32_e32 v49, v49, v50, vcc_lo
	v_and_b32_e32 v19, -4, v19
	v_ashrrev_i32_e32 v53, 31, v53
	v_add_nc_u32_e32 v56, 64, v0
	v_add_nc_u32_e32 v50, 1, v52
	v_cmp_le_u32_e32 vcc_lo, s1, v49
	v_add3_u32 v69, v19, v51, 0x4200
	v_and_b32_e32 v19, 31, v0
	v_lshl_add_u32 v49, v1, 7, 0x5280
	v_lshl_add_u32 v1, v1, 4, 0x5680
	v_cndmask_b32_e32 v50, v52, v50, vcc_lo
	v_add_nc_u32_e32 v57, 0x60, v0
	v_and_b32_e32 v24, 12, v20
	v_add3_u32 v15, v15, v51, 0x4200
	v_add3_u32 v66, v46, v51, 0x4200
	v_xor_b32_e32 v52, v50, v53
	v_lshl_or_b32 v50, v19, 2, v49
	v_add_nc_u32_e32 v19, 32, v0
	v_and_b32_e32 v55, 28, v20
	v_add_nc_u32_e32 v51, v1, v20
	v_sub_nc_u32_e32 v20, v52, v53
	v_lshlrev_b32_e32 v58, 5, v0
	v_and_b32_e32 v57, 0x1fc, v57
	v_and_b32_e32 v56, 0x1fc, v56
	;; [unrolled: 1-line block ×4, first 2 shown]
	v_mul_lo_u32 v54, v20, s8
	v_mul_lo_u32 v46, v47, s7
	v_lshlrev_b32_e32 v47, 5, v47
	v_mul_lo_u32 v48, v44, s7
	v_lshlrev_b32_e32 v44, 5, v44
	v_add_nc_u32_e32 v61, v58, v57
	v_add_nc_u32_e32 v62, v58, v56
	;; [unrolled: 1-line block ×4, first 2 shown]
	v_cmp_gt_u32_e32 vcc_lo, 4, v0
	v_lshrrev_b32_e32 v53, 3, v19
	v_cmp_gt_i32_e64 s0, s11, v20
	v_add_co_u32 v19, s1, s2, v55
	v_lshrrev_b32_e32 v23, 2, v0
	v_mov_b32_e32 v22, 0
	v_mul_u32_u24_e32 v52, 0x84, v0
	v_add_co_ci_u32_e64 v20, null, s3, 0, s1
	v_ashrrev_i32_e32 v55, 31, v54
	v_add_nc_u32_e32 v56, 0x4e00, v61
	v_add_nc_u32_e32 v57, 0x4a00, v62
	;; [unrolled: 1-line block ×4, first 2 shown]
	v_mad_u32_u24 v60, 0x84, v0, 64
	v_add_nc_u32_e32 v61, 0x4e10, v61
	v_add_nc_u32_e32 v62, 0x4a10, v62
	;; [unrolled: 1-line block ×8, first 2 shown]
	v_mov_b32_e32 v47, 0
	v_mov_b32_e32 v44, 0
	;; [unrolled: 1-line block ×3, first 2 shown]
	s_mov_b32 s10, 0
	s_and_b32 s18, vcc_lo, s0
	s_branch .LBB200_5
.LBB200_4:                              ;   in Loop: Header=BB200_5 Depth=1
	s_add_i32 s10, s10, 8
	s_cmp_ge_i32 s10, s7
	s_cbranch_scc1 .LBB200_21
.LBB200_5:                              ; =>This Loop Header: Depth=1
                                        ;     Child Loop BB200_11 Depth 2
                                        ;     Child Loop BB200_19 Depth 2
	s_mul_i32 s1, s10, 20
	s_mul_hi_u32 s5, s10, 20
	s_add_u32 s4, s12, s1
	s_addc_u32 s5, s15, s5
	v_mad_u64_u32 v[69:70], null, v23, 20, s[4:5]
	v_mad_i64_i32 v[71:72], null, v25, 20, v[69:70]
	v_mad_i64_i32 v[73:74], null, v26, 20, v[69:70]
	;; [unrolled: 1-line block ×4, first 2 shown]
	v_add_co_u32 v71, s1, v71, v24
	v_mad_i64_i32 v[79:80], null, v29, 20, v[69:70]
	v_add_co_ci_u32_e64 v72, null, 0, v72, s1
	v_add_co_u32 v73, s1, v73, v24
	v_mad_i64_i32 v[81:82], null, v30, 20, v[69:70]
	v_add_co_ci_u32_e64 v74, null, 0, v74, s1
	;; [unrolled: 3-line block ×4, first 2 shown]
	v_add_co_u32 v79, s1, v79, v24
	v_add_co_ci_u32_e64 v80, null, 0, v80, s1
	v_add_co_u32 v81, s1, v81, v24
	v_add_co_ci_u32_e64 v82, null, 0, v82, s1
	;; [unrolled: 2-line block ×3, first 2 shown]
	v_add_co_u32 v85, s1, v85, v24
	v_mad_i64_i32 v[87:88], null, v33, 20, v[69:70]
	v_add_co_ci_u32_e64 v86, null, 0, v86, s1
	s_clause 0x7
	global_load_dword v93, v[71:72], off offset:4
	global_load_dword v94, v[73:74], off offset:4
	;; [unrolled: 1-line block ×8, first 2 shown]
	v_mad_i64_i32 v[71:72], null, v34, 20, v[69:70]
	v_mad_i64_i32 v[75:76], null, v35, 20, v[69:70]
	;; [unrolled: 1-line block ×3, first 2 shown]
	v_add_co_u32 v73, s1, v87, v24
	v_mad_i64_i32 v[79:80], null, v37, 20, v[69:70]
	v_add_co_ci_u32_e64 v74, null, 0, v88, s1
	v_add_co_u32 v71, s1, v71, v24
	v_mad_i64_i32 v[81:82], null, v39, 20, v[69:70]
	v_add_co_ci_u32_e64 v72, null, 0, v72, s1
	;; [unrolled: 3-line block ×4, first 2 shown]
	v_add_co_u32 v79, s1, v79, v24
	v_mad_u64_u32 v[85:86], null, v42, 20, s[4:5]
	v_add_co_ci_u32_e64 v80, null, 0, v80, s1
	v_add_co_u32 v81, s1, v81, v24
	v_add_co_ci_u32_e64 v82, null, 0, v82, s1
	v_add_co_u32 v83, s1, v83, v24
	;; [unrolled: 2-line block ×3, first 2 shown]
	v_add_co_ci_u32_e64 v70, null, 0, v70, s1
	v_mad_i64_i32 v[87:88], null, v43, 20, v[85:86]
	v_mad_i64_i32 v[89:90], null, v45, 20, v[85:86]
	;; [unrolled: 1-line block ×4, first 2 shown]
	s_clause 0xb
	global_load_dword v73, v[73:74], off offset:4
	global_load_dword v71, v[71:72], off offset:4
	;; [unrolled: 1-line block ×8, first 2 shown]
	global_load_dword v70, v[87:88], off
	global_load_dword v78, v[89:90], off
	;; [unrolled: 1-line block ×4, first 2 shown]
	s_lshl_b32 s4, s10, 5
	s_waitcnt vmcnt(19)
	ds_write_b32 v2, v93
	s_waitcnt vmcnt(18)
	ds_write_b32 v3, v94
	;; [unrolled: 2-line block ×20, first 2 shown]
	s_cmp_lt_i32 s4, s9
	s_cbranch_scc0 .LBB200_4
; %bb.6:                                ;   in Loop: Header=BB200_5 Depth=1
	v_add_nc_u32_e32 v69, s10, v38
	v_cmp_gt_i32_e64 s1, s8, v69
	s_and_b32 s5, s0, s1
	s_and_saveexec_b32 s1, s5
	s_cbranch_execz .LBB200_8
; %bb.7:                                ;   in Loop: Header=BB200_5 Depth=1
	v_add_nc_u32_e32 v69, v54, v69
	v_mad_i64_i32 v[69:70], null, v69, 36, v[19:20]
	global_load_dword v69, v[69:70], off offset:4
	s_waitcnt vmcnt(0)
	ds_write_b32 v50, v69
.LBB200_8:                              ;   in Loop: Header=BB200_5 Depth=1
	s_or_b32 exec_lo, exec_lo, s1
	v_add_nc_u32_e32 v69, s10, v0
	v_cmp_gt_i32_e64 s1, s8, v69
	s_and_b32 s5, s18, s1
	s_and_saveexec_b32 s1, s5
	s_cbranch_execz .LBB200_10
; %bb.9:                                ;   in Loop: Header=BB200_5 Depth=1
	v_add_nc_u32_e32 v70, v54, v69
	v_mad_i64_i32 v[70:71], null, v70, 36, s[2:3]
	global_load_dword v70, v[70:71], off
	s_waitcnt vmcnt(0)
	ds_write_b32 v51, v70
.LBB200_10:                             ;   in Loop: Header=BB200_5 Depth=1
	s_or_b32 exec_lo, exec_lo, s1
	v_mov_b32_e32 v70, v49
	v_mov_b32_e32 v71, v1
	;; [unrolled: 1-line block ×7, first 2 shown]
	s_mov_b32 s1, -4
	s_waitcnt lgkmcnt(0)
	s_barrier
	buffer_gl0_inv
.LBB200_11:                             ;   Parent Loop BB200_5 Depth=1
                                        ; =>  This Inner Loop Header: Depth=2
	v_add_nc_u32_e32 v89, 0x1080, v76
	v_add_nc_u32_e32 v91, 0x1088, v76
	v_add_nc_u32_e32 v93, 0x2100, v76
	v_add_nc_u32_e32 v95, 0x2108, v76
	ds_read_b128 v[77:80], v70
	ds_read_b128 v[81:84], v70 offset:16
	ds_read2_b32 v[85:86], v76 offset0:2 offset1:3
	v_add_nc_u32_e32 v97, 0x3180, v76
	ds_read2_b32 v[87:88], v76 offset1:1
	ds_read_b32 v104, v71
	ds_read_b32 v105, v72
	;; [unrolled: 1-line block ×5, first 2 shown]
	v_add_nc_u32_e32 v99, 0x3188, v76
	ds_read2_b32 v[89:90], v89 offset1:1
	ds_read2_b32 v[91:92], v91 offset1:1
	;; [unrolled: 1-line block ×6, first 2 shown]
	v_mov_b32_e32 v101, 0
	v_mov_b32_e32 v102, 0
	;; [unrolled: 1-line block ×4, first 2 shown]
	v_add_nc_u32_e32 v76, 16, v76
	v_add_nc_u32_e32 v75, 4, v75
	;; [unrolled: 1-line block ×7, first 2 shown]
	s_add_i32 s1, s1, 4
	s_waitcnt lgkmcnt(11)
	v_and_b32_e32 v110, 0xf0f0f0f, v87
	v_lshrrev_b32_e32 v87, 4, v87
	s_waitcnt lgkmcnt(5)
	v_and_b32_e32 v114, 0xf0f0f0f, v90
	v_lshrrev_b32_e32 v90, 4, v90
	s_waitcnt lgkmcnt(4)
	v_and_b32_e32 v115, 0xf0f0f0f, v91
	v_dot4c_i32_i8 v101, v110, v77
	v_and_b32_e32 v87, 0xf0f0f0f, v87
	v_and_b32_e32 v110, 0xf0f0f0f, v89
	v_lshrrev_b32_e32 v89, 4, v89
	v_lshrrev_b32_e32 v91, 4, v91
	s_waitcnt lgkmcnt(3)
	v_and_b32_e32 v117, 0xf0f0f0f, v93
	v_lshrrev_b32_e32 v93, 4, v93
	s_waitcnt lgkmcnt(1)
	v_and_b32_e32 v121, 0xf0f0f0f, v97
	v_lshrrev_b32_e32 v97, 4, v97
	v_dot4c_i32_i8 v101, v87, v81
	v_and_b32_e32 v87, 0xf0f0f0f, v89
	v_dot4c_i32_i8 v102, v110, v77
	v_and_b32_e32 v89, 0xf0f0f0f, v90
	v_and_b32_e32 v90, 0xf0f0f0f, v91
	;; [unrolled: 1-line block ×3, first 2 shown]
	v_dot4c_i32_i8 v103, v117, v77
	v_and_b32_e32 v93, 0xf0f0f0f, v97
	v_dot4c_i32_i8 v109, v121, v77
	v_and_b32_e32 v111, 0xf0f0f0f, v88
	v_lshrrev_b32_e32 v88, 4, v88
	v_and_b32_e32 v116, 0xf0f0f0f, v92
	v_lshrrev_b32_e32 v92, 4, v92
	;; [unrolled: 2-line block ×4, first 2 shown]
	v_dot4c_i32_i8 v102, v87, v81
	v_dot4c_i32_i8 v103, v91, v81
	;; [unrolled: 1-line block ×3, first 2 shown]
	v_and_b32_e32 v88, 0xf0f0f0f, v88
	v_and_b32_e32 v77, 0xf0f0f0f, v92
	;; [unrolled: 1-line block ×4, first 2 shown]
	v_dot4c_i32_i8 v101, v111, v78
	v_dot4c_i32_i8 v102, v114, v78
	;; [unrolled: 1-line block ×4, first 2 shown]
	v_and_b32_e32 v112, 0xf0f0f0f, v85
	v_lshrrev_b32_e32 v85, 4, v85
	v_and_b32_e32 v119, 0xf0f0f0f, v95
	v_lshrrev_b32_e32 v95, 4, v95
	s_waitcnt lgkmcnt(0)
	v_and_b32_e32 v123, 0xf0f0f0f, v99
	v_lshrrev_b32_e32 v99, 4, v99
	v_dot4c_i32_i8 v101, v88, v82
	v_dot4c_i32_i8 v102, v89, v82
	v_dot4c_i32_i8 v103, v92, v82
	v_dot4c_i32_i8 v109, v81, v82
	v_and_b32_e32 v85, 0xf0f0f0f, v85
	v_and_b32_e32 v78, 0xf0f0f0f, v95
	;; [unrolled: 1-line block ×3, first 2 shown]
	v_dot4c_i32_i8 v101, v112, v79
	v_dot4c_i32_i8 v102, v115, v79
	;; [unrolled: 1-line block ×4, first 2 shown]
	v_and_b32_e32 v113, 0xf0f0f0f, v86
	v_lshrrev_b32_e32 v86, 4, v86
	v_and_b32_e32 v120, 0xf0f0f0f, v96
	v_lshrrev_b32_e32 v96, 4, v96
	;; [unrolled: 2-line block ×3, first 2 shown]
	v_dot4c_i32_i8 v101, v85, v83
	v_dot4c_i32_i8 v102, v90, v83
	;; [unrolled: 1-line block ×4, first 2 shown]
	v_and_b32_e32 v86, 0xf0f0f0f, v86
	v_and_b32_e32 v79, 0xf0f0f0f, v96
	;; [unrolled: 1-line block ×3, first 2 shown]
	v_dot4c_i32_i8 v101, v113, v80
	v_dot4c_i32_i8 v102, v116, v80
	;; [unrolled: 1-line block ×4, first 2 shown]
	v_pk_mul_f16 v105, v104, v105
	v_dot4c_i32_i8 v101, v86, v84
	v_dot4c_i32_i8 v102, v77, v84
	;; [unrolled: 1-line block ×4, first 2 shown]
	v_pk_mul_f16 v106, v104, v106
	v_pk_mul_f16 v80, v104, v107
	;; [unrolled: 1-line block ×3, first 2 shown]
	v_cvt_f32_i32_e32 v78, v101
	v_cvt_f32_i32_e32 v79, v102
	;; [unrolled: 1-line block ×4, first 2 shown]
	s_cmp_lt_u32 s1, 12
	v_fma_mix_f32 v78, v105, v78, v105 op_sel:[0,0,1] op_sel_hi:[1,0,1]
	v_fma_mix_f32 v79, v106, v79, v106 op_sel:[0,0,1] op_sel_hi:[1,0,1]
	;; [unrolled: 1-line block ×4, first 2 shown]
	v_add_f32_e32 v22, v22, v78
	v_add_f32_e32 v47, v47, v79
	;; [unrolled: 1-line block ×4, first 2 shown]
	s_cbranch_scc1 .LBB200_11
; %bb.12:                               ;   in Loop: Header=BB200_5 Depth=1
	s_bitset1_b32 s4, 7
	s_cmp_ge_i32 s4, s9
	s_barrier
	buffer_gl0_inv
	s_cbranch_scc1 .LBB200_4
; %bb.13:                               ;   in Loop: Header=BB200_5 Depth=1
	v_add_nc_u32_e32 v70, s10, v53
	v_cmp_gt_i32_e64 s1, s8, v70
	s_and_b32 s4, s0, s1
	s_and_saveexec_b32 s1, s4
	s_cbranch_execz .LBB200_15
; %bb.14:                               ;   in Loop: Header=BB200_5 Depth=1
	v_add_nc_u32_e32 v70, v54, v70
	v_mad_i64_i32 v[70:71], null, v70, 36, v[19:20]
	global_load_dword v70, v[70:71], off offset:4
	s_waitcnt vmcnt(0)
	ds_write_b32 v50, v70
.LBB200_15:                             ;   in Loop: Header=BB200_5 Depth=1
	s_or_b32 exec_lo, exec_lo, s1
	s_and_saveexec_b32 s4, vcc_lo
	s_cbranch_execz .LBB200_18
; %bb.16:                               ;   in Loop: Header=BB200_5 Depth=1
	v_or_b32_e32 v70, 4, v69
	v_cmp_gt_i32_e64 s1, s8, v70
	s_and_b32 s1, s0, s1
	s_and_b32 exec_lo, exec_lo, s1
	s_cbranch_execz .LBB200_18
; %bb.17:                               ;   in Loop: Header=BB200_5 Depth=1
	v_ashrrev_i32_e32 v70, 31, v69
	v_add_co_u32 v69, s1, v54, v69
	v_add_co_ci_u32_e64 v71, null, v55, v70, s1
	v_mad_u64_u32 v[69:70], null, v69, 36, s[2:3]
	v_mad_i32_i24 v70, v71, 36, v70
	global_load_dword v69, v[69:70], off offset:144
	s_waitcnt vmcnt(0)
	ds_write_b32 v51, v69
.LBB200_18:                             ;   in Loop: Header=BB200_5 Depth=1
	s_or_b32 exec_lo, exec_lo, s4
	v_mov_b32_e32 v69, v1
	v_mov_b32_e32 v70, v49
	;; [unrolled: 1-line block ×7, first 2 shown]
	s_mov_b32 s1, 12
	s_waitcnt lgkmcnt(0)
	s_barrier
	buffer_gl0_inv
.LBB200_19:                             ;   Parent Loop BB200_5 Depth=1
                                        ; =>  This Inner Loop Header: Depth=2
	ds_read_b128 v[76:79], v70
	ds_read_b128 v[80:83], v70 offset:16
	ds_read_b32 v100, v69
	ds_read2_b32 v[84:85], v75 offset1:1
	v_add_nc_u32_e32 v88, 0x1080, v75
	v_add_nc_u32_e32 v90, 0x1088, v75
	;; [unrolled: 1-line block ×6, first 2 shown]
	ds_read2_b32 v[86:87], v75 offset0:2 offset1:3
	ds_read_b32 v104, v71
	ds_read_b32 v105, v72
	;; [unrolled: 1-line block ×4, first 2 shown]
	ds_read2_b32 v[88:89], v88 offset1:1
	ds_read2_b32 v[90:91], v90 offset1:1
	;; [unrolled: 1-line block ×6, first 2 shown]
	v_mov_b32_e32 v101, 0
	v_mov_b32_e32 v102, 0
	v_mov_b32_e32 v103, 0
	v_mov_b32_e32 v108, 0
	v_add_nc_u32_e32 v75, 16, v75
	v_add_nc_u32_e32 v74, 4, v74
	v_add_nc_u32_e32 v73, 4, v73
	v_add_nc_u32_e32 v72, 4, v72
	v_add_nc_u32_e32 v71, 4, v71
	v_add_nc_u32_e32 v70, 32, v70
	s_waitcnt lgkmcnt(11)
	v_and_b32_e32 v109, 0xf0f0f0f, v84
	v_lshrrev_b32_e32 v84, 4, v84
	v_and_b32_e32 v110, 0xf0f0f0f, v85
	v_lshrrev_b32_e32 v85, 4, v85
	s_waitcnt lgkmcnt(5)
	v_and_b32_e32 v113, 0xf0f0f0f, v89
	v_dot4c_i32_i8 v101, v109, v76
	v_and_b32_e32 v84, 0xf0f0f0f, v84
	v_and_b32_e32 v109, 0xf0f0f0f, v88
	v_lshrrev_b32_e32 v88, 4, v88
	v_lshrrev_b32_e32 v89, 4, v89
	s_waitcnt lgkmcnt(4)
	v_and_b32_e32 v114, 0xf0f0f0f, v90
	v_lshrrev_b32_e32 v90, 4, v90
	s_waitcnt lgkmcnt(3)
	v_and_b32_e32 v116, 0xf0f0f0f, v92
	;; [unrolled: 3-line block ×3, first 2 shown]
	v_lshrrev_b32_e32 v96, 4, v96
	v_dot4c_i32_i8 v101, v84, v80
	v_and_b32_e32 v84, 0xf0f0f0f, v88
	v_dot4c_i32_i8 v102, v109, v76
	v_and_b32_e32 v88, 0xf0f0f0f, v89
	v_and_b32_e32 v89, 0xf0f0f0f, v90
	;; [unrolled: 1-line block ×3, first 2 shown]
	v_dot4c_i32_i8 v103, v116, v76
	v_and_b32_e32 v92, 0xf0f0f0f, v96
	v_dot4c_i32_i8 v108, v120, v76
	v_and_b32_e32 v115, 0xf0f0f0f, v91
	v_lshrrev_b32_e32 v91, 4, v91
	v_and_b32_e32 v117, 0xf0f0f0f, v93
	v_lshrrev_b32_e32 v93, 4, v93
	;; [unrolled: 2-line block ×3, first 2 shown]
	v_dot4c_i32_i8 v102, v84, v80
	v_dot4c_i32_i8 v103, v90, v80
	;; [unrolled: 1-line block ×3, first 2 shown]
	v_and_b32_e32 v85, 0xf0f0f0f, v85
	v_and_b32_e32 v76, 0xf0f0f0f, v91
	;; [unrolled: 1-line block ×4, first 2 shown]
	v_dot4c_i32_i8 v101, v110, v77
	v_dot4c_i32_i8 v102, v113, v77
	;; [unrolled: 1-line block ×4, first 2 shown]
	v_and_b32_e32 v111, 0xf0f0f0f, v86
	v_lshrrev_b32_e32 v86, 4, v86
	v_and_b32_e32 v118, 0xf0f0f0f, v94
	v_lshrrev_b32_e32 v94, 4, v94
	s_waitcnt lgkmcnt(0)
	v_and_b32_e32 v122, 0xf0f0f0f, v98
	v_lshrrev_b32_e32 v98, 4, v98
	v_dot4c_i32_i8 v101, v85, v81
	v_dot4c_i32_i8 v102, v88, v81
	;; [unrolled: 1-line block ×4, first 2 shown]
	v_and_b32_e32 v86, 0xf0f0f0f, v86
	v_and_b32_e32 v77, 0xf0f0f0f, v94
	;; [unrolled: 1-line block ×3, first 2 shown]
	v_dot4c_i32_i8 v101, v111, v78
	v_dot4c_i32_i8 v102, v114, v78
	;; [unrolled: 1-line block ×4, first 2 shown]
	v_and_b32_e32 v112, 0xf0f0f0f, v87
	v_lshrrev_b32_e32 v87, 4, v87
	v_and_b32_e32 v119, 0xf0f0f0f, v95
	v_lshrrev_b32_e32 v95, 4, v95
	;; [unrolled: 2-line block ×3, first 2 shown]
	v_dot4c_i32_i8 v101, v86, v82
	v_dot4c_i32_i8 v102, v89, v82
	;; [unrolled: 1-line block ×4, first 2 shown]
	v_and_b32_e32 v87, 0xf0f0f0f, v87
	v_and_b32_e32 v78, 0xf0f0f0f, v95
	;; [unrolled: 1-line block ×3, first 2 shown]
	v_dot4c_i32_i8 v101, v112, v79
	v_dot4c_i32_i8 v102, v115, v79
	;; [unrolled: 1-line block ×4, first 2 shown]
	v_pk_mul_f16 v104, v100, v104
	v_dot4c_i32_i8 v101, v87, v83
	v_dot4c_i32_i8 v102, v76, v83
	;; [unrolled: 1-line block ×4, first 2 shown]
	v_pk_mul_f16 v105, v100, v105
	v_pk_mul_f16 v79, v100, v106
	;; [unrolled: 1-line block ×3, first 2 shown]
	v_cvt_f32_i32_e32 v77, v101
	v_cvt_f32_i32_e32 v78, v102
	;; [unrolled: 1-line block ×4, first 2 shown]
	v_add_nc_u32_e32 v69, 4, v69
	v_fma_mix_f32 v77, v104, v77, v104 op_sel:[0,0,1] op_sel_hi:[1,0,1]
	v_fma_mix_f32 v78, v105, v78, v105 op_sel:[0,0,1] op_sel_hi:[1,0,1]
	;; [unrolled: 1-line block ×4, first 2 shown]
	s_add_i32 s1, s1, 4
	v_add_f32_e32 v22, v22, v77
	v_add_f32_e32 v47, v47, v78
	;; [unrolled: 1-line block ×4, first 2 shown]
	s_cmp_lt_u32 s1, 28
	s_cbranch_scc1 .LBB200_19
; %bb.20:                               ;   in Loop: Header=BB200_5 Depth=1
	s_barrier
	buffer_gl0_inv
	s_branch .LBB200_4
.LBB200_21:
	s_mul_i32 s0, s14, s11
	s_waitcnt vmcnt(0)
	v_cmp_gt_i32_e32 vcc_lo, s0, v21
	s_and_saveexec_b32 s0, vcc_lo
	s_cbranch_execz .LBB200_30
; %bb.22:
	v_add_nc_u32_e32 v1, s6, v0
	v_mul_lo_u32 v0, v21, s13
	s_mov_b32 s0, exec_lo
	v_cmpx_gt_u32_e64 s13, v1
	s_cbranch_execz .LBB200_24
; %bb.23:
	v_add_nc_u32_e32 v2, v0, v1
	v_mov_b32_e32 v3, 0
	v_cvt_f16_f32_e32 v4, v22
	v_lshlrev_b64 v[2:3], 1, v[2:3]
	v_add_co_u32 v2, vcc_lo, s16, v2
	v_add_co_ci_u32_e64 v3, null, s17, v3, vcc_lo
	global_store_short v[2:3], v4, off
.LBB200_24:
	s_or_b32 exec_lo, exec_lo, s0
	v_add_nc_u32_e32 v2, 32, v1
	s_mov_b32 s0, exec_lo
	v_cmpx_gt_u32_e64 s13, v2
	s_cbranch_execz .LBB200_26
; %bb.25:
	v_add_nc_u32_e32 v2, v0, v2
	v_mov_b32_e32 v3, 0
	v_cvt_f16_f32_e32 v4, v47
	v_lshlrev_b64 v[2:3], 1, v[2:3]
	v_add_co_u32 v2, vcc_lo, s16, v2
	v_add_co_ci_u32_e64 v3, null, s17, v3, vcc_lo
	global_store_short v[2:3], v4, off
.LBB200_26:
	s_or_b32 exec_lo, exec_lo, s0
	v_add_nc_u32_e32 v2, 64, v1
	;; [unrolled: 14-line block ×3, first 2 shown]
	v_cmp_gt_u32_e32 vcc_lo, s13, v1
	s_and_b32 exec_lo, exec_lo, vcc_lo
	s_cbranch_execz .LBB200_30
; %bb.29:
	v_add_nc_u32_e32 v0, v0, v1
	v_mov_b32_e32 v1, 0
	v_cvt_f16_f32_e32 v2, v15
	v_lshlrev_b64 v[0:1], 1, v[0:1]
	v_add_co_u32 v0, vcc_lo, s16, v0
	v_add_co_ci_u32_e64 v1, null, s17, v1, vcc_lo
	global_store_short v[0:1], v2, off
.LBB200_30:
	s_endpgm
	.section	.rodata,"a",@progbits
	.p2align	6, 0x0
	.amdhsa_kernel _ZL8moe_q4_1IN3c104HalfELb1EEvPKvS3_PT_PKiS7_S7_iiiiiii
		.amdhsa_group_segment_fixed_size 22272
		.amdhsa_private_segment_fixed_size 0
		.amdhsa_kernarg_size 76
		.amdhsa_user_sgpr_count 6
		.amdhsa_user_sgpr_private_segment_buffer 1
		.amdhsa_user_sgpr_dispatch_ptr 0
		.amdhsa_user_sgpr_queue_ptr 0
		.amdhsa_user_sgpr_kernarg_segment_ptr 1
		.amdhsa_user_sgpr_dispatch_id 0
		.amdhsa_user_sgpr_flat_scratch_init 0
		.amdhsa_user_sgpr_private_segment_size 0
		.amdhsa_wavefront_size32 1
		.amdhsa_uses_dynamic_stack 0
		.amdhsa_system_sgpr_private_segment_wavefront_offset 0
		.amdhsa_system_sgpr_workgroup_id_x 1
		.amdhsa_system_sgpr_workgroup_id_y 1
		.amdhsa_system_sgpr_workgroup_id_z 0
		.amdhsa_system_sgpr_workgroup_info 0
		.amdhsa_system_vgpr_workitem_id 1
		.amdhsa_next_free_vgpr 125
		.amdhsa_next_free_sgpr 19
		.amdhsa_reserve_vcc 1
		.amdhsa_reserve_flat_scratch 0
		.amdhsa_float_round_mode_32 0
		.amdhsa_float_round_mode_16_64 0
		.amdhsa_float_denorm_mode_32 3
		.amdhsa_float_denorm_mode_16_64 3
		.amdhsa_dx10_clamp 1
		.amdhsa_ieee_mode 1
		.amdhsa_fp16_overflow 0
		.amdhsa_workgroup_processor_mode 1
		.amdhsa_memory_ordered 1
		.amdhsa_forward_progress 1
		.amdhsa_shared_vgpr_count 0
		.amdhsa_exception_fp_ieee_invalid_op 0
		.amdhsa_exception_fp_denorm_src 0
		.amdhsa_exception_fp_ieee_div_zero 0
		.amdhsa_exception_fp_ieee_overflow 0
		.amdhsa_exception_fp_ieee_underflow 0
		.amdhsa_exception_fp_ieee_inexact 0
		.amdhsa_exception_int_div_zero 0
	.end_amdhsa_kernel
	.section	.text._ZL8moe_q4_1IN3c104HalfELb1EEvPKvS3_PT_PKiS7_S7_iiiiiii,"axG",@progbits,_ZL8moe_q4_1IN3c104HalfELb1EEvPKvS3_PT_PKiS7_S7_iiiiiii,comdat
.Lfunc_end200:
	.size	_ZL8moe_q4_1IN3c104HalfELb1EEvPKvS3_PT_PKiS7_S7_iiiiiii, .Lfunc_end200-_ZL8moe_q4_1IN3c104HalfELb1EEvPKvS3_PT_PKiS7_S7_iiiiiii
                                        ; -- End function
	.set _ZL8moe_q4_1IN3c104HalfELb1EEvPKvS3_PT_PKiS7_S7_iiiiiii.num_vgpr, 125
	.set _ZL8moe_q4_1IN3c104HalfELb1EEvPKvS3_PT_PKiS7_S7_iiiiiii.num_agpr, 0
	.set _ZL8moe_q4_1IN3c104HalfELb1EEvPKvS3_PT_PKiS7_S7_iiiiiii.numbered_sgpr, 19
	.set _ZL8moe_q4_1IN3c104HalfELb1EEvPKvS3_PT_PKiS7_S7_iiiiiii.num_named_barrier, 0
	.set _ZL8moe_q4_1IN3c104HalfELb1EEvPKvS3_PT_PKiS7_S7_iiiiiii.private_seg_size, 0
	.set _ZL8moe_q4_1IN3c104HalfELb1EEvPKvS3_PT_PKiS7_S7_iiiiiii.uses_vcc, 1
	.set _ZL8moe_q4_1IN3c104HalfELb1EEvPKvS3_PT_PKiS7_S7_iiiiiii.uses_flat_scratch, 0
	.set _ZL8moe_q4_1IN3c104HalfELb1EEvPKvS3_PT_PKiS7_S7_iiiiiii.has_dyn_sized_stack, 0
	.set _ZL8moe_q4_1IN3c104HalfELb1EEvPKvS3_PT_PKiS7_S7_iiiiiii.has_recursion, 0
	.set _ZL8moe_q4_1IN3c104HalfELb1EEvPKvS3_PT_PKiS7_S7_iiiiiii.has_indirect_call, 0
	.section	.AMDGPU.csdata,"",@progbits
; Kernel info:
; codeLenInByte = 4544
; TotalNumSgprs: 21
; NumVgprs: 125
; ScratchSize: 0
; MemoryBound: 0
; FloatMode: 240
; IeeeMode: 1
; LDSByteSize: 22272 bytes/workgroup (compile time only)
; SGPRBlocks: 0
; VGPRBlocks: 15
; NumSGPRsForWavesPerEU: 21
; NumVGPRsForWavesPerEU: 125
; Occupancy: 8
; WaveLimiterHint : 1
; COMPUTE_PGM_RSRC2:SCRATCH_EN: 0
; COMPUTE_PGM_RSRC2:USER_SGPR: 6
; COMPUTE_PGM_RSRC2:TRAP_HANDLER: 0
; COMPUTE_PGM_RSRC2:TGID_X_EN: 1
; COMPUTE_PGM_RSRC2:TGID_Y_EN: 1
; COMPUTE_PGM_RSRC2:TGID_Z_EN: 0
; COMPUTE_PGM_RSRC2:TIDIG_COMP_CNT: 1
	.section	.text._ZL8moe_q5_0IN3c104HalfELb0EEvPKvS3_PT_PKiS7_S7_iiiiiii,"axG",@progbits,_ZL8moe_q5_0IN3c104HalfELb0EEvPKvS3_PT_PKiS7_S7_iiiiiii,comdat
	.globl	_ZL8moe_q5_0IN3c104HalfELb0EEvPKvS3_PT_PKiS7_S7_iiiiiii ; -- Begin function _ZL8moe_q5_0IN3c104HalfELb0EEvPKvS3_PT_PKiS7_S7_iiiiiii
	.p2align	8
	.type	_ZL8moe_q5_0IN3c104HalfELb0EEvPKvS3_PT_PKiS7_S7_iiiiiii,@function
_ZL8moe_q5_0IN3c104HalfELb0EEvPKvS3_PT_PKiS7_S7_iiiiiii: ; @_ZL8moe_q5_0IN3c104HalfELb0EEvPKvS3_PT_PKiS7_S7_iiiiiii
; %bb.0:
	s_load_dwordx4 s[0:3], s[4:5], 0x18
	s_mov_b32 s8, s7
	s_mov_b32 s9, 0
	s_lshl_b64 s[10:11], s[8:9], 2
	s_waitcnt lgkmcnt(0)
	s_add_u32 s2, s2, s10
	s_addc_u32 s3, s3, s11
	s_load_dword s14, s[2:3], 0x0
	s_waitcnt lgkmcnt(0)
	s_cmpk_gt_u32 s14, 0xff
	s_cbranch_scc1 .LBB201_26
; %bb.1:
	s_load_dwordx2 s[2:3], s[4:5], 0x28
	s_waitcnt lgkmcnt(0)
	s_load_dword s3, s[2:3], 0x0
	s_lshl_b32 s2, s8, 3
	s_waitcnt lgkmcnt(0)
	s_cmp_gt_u32 s2, s3
	s_cbranch_scc1 .LBB201_26
; %bb.2:
	v_add_nc_u32_e32 v8, s2, v1
	v_mov_b32_e32 v9, 0
	s_lshl_b32 s16, s6, 7
	v_lshlrev_b64 v[2:3], 2, v[8:9]
	v_mov_b32_e32 v105, v9
	v_mov_b32_e32 v110, v9
	v_mov_b32_e32 v11, v9
	v_add_co_u32 v2, vcc_lo, s0, v2
	v_add_co_ci_u32_e64 v3, null, s1, v3, vcc_lo
	global_load_dword v10, v[2:3], off
	s_clause 0x2
	s_load_dwordx2 s[12:13], s[4:5], 0x30
	s_load_dwordx2 s[2:3], s[4:5], 0x10
	s_load_dwordx4 s[8:11], s[4:5], 0x3c
	s_waitcnt lgkmcnt(0)
	s_cmp_lt_i32 s13, 32
	s_cbranch_scc1 .LBB201_17
; %bb.3:
	s_abs_i32 s15, s11
	v_lshlrev_b32_e32 v5, 3, v0
	v_cvt_f32_u32_e32 v7, s15
	s_ashr_i32 s0, s13, 31
	s_sub_i32 s19, 0, s15
	s_lshr_b32 s0, s0, 27
	v_mad_u32_u24 v14, 0x104, v1, v5
	v_rcp_iflag_f32_e32 v5, v7
	s_add_i32 s0, s13, s0
	s_mul_i32 s12, s14, s12
	s_ashr_i32 s17, s0, 5
	s_waitcnt vmcnt(0)
	v_sub_nc_u32_e32 v6, 0, v10
	v_mul_lo_u32 v9, s17, v1
	s_lshl_b32 s14, s17, 3
	v_lshrrev_b32_e32 v12, 3, v0
	v_and_b32_e32 v2, 7, v0
	v_max_i32_e32 v6, v10, v6
	v_mul_f32_e32 v5, 0x4f7ffffe, v5
	s_ashr_i32 s1, s9, 31
	v_lshl_add_u32 v7, v1, 2, v12
	v_add_nc_u32_e32 v42, s14, v9
	v_lshlrev_b32_e32 v8, 2, v2
	v_cvt_u32_f32_e32 v5, v5
	s_lshr_b32 s1, s1, 27
	v_and_b32_e32 v31, 0x7fc, v7
	v_add_nc_u32_e32 v47, s14, v42
	v_add_nc_u32_e32 v32, 32, v7
	v_mul_lo_u32 v28, s19, v5
	v_mul_lo_u32 v103, s17, v7
	v_add3_u32 v117, v31, v8, 0x8200
	v_add_nc_u32_e32 v51, s14, v47
	v_and_b32_e32 v31, 0xffc, v32
	v_lshlrev_b32_e32 v118, 5, v32
	v_lshlrev_b32_e32 v110, 5, v7
	s_load_dwordx4 s[4:7], s[4:5], 0x0
	v_mul_hi_u32 v30, v5, v28
	v_add_nc_u32_e32 v55, s14, v51
	v_add3_u32 v120, v31, v8, 0x8200
	s_add_i32 s1, s9, s1
	v_lshlrev_b32_e32 v4, 2, v0
	s_ashr_i32 s9, s1, 5
	v_add_nc_u32_e32 v59, s14, v55
	v_add_nc_u32_e32 v34, 0x60, v0
	;; [unrolled: 1-line block ×6, first 2 shown]
	s_andn2_b32 s0, s0, 31
	v_mul_hi_u32 v5, v6, v5
	v_and_b32_e32 v32, 0xffc, v30
	v_lshlrev_b32_e32 v119, 5, v30
	v_and_b32_e32 v33, 0xffc, v7
	v_add_nc_u32_e32 v67, s14, v63
	v_add_nc_u32_e32 v107, s0, v103
	v_add3_u32 v121, v32, v8, 0x8200
	v_lshl_add_u32 v32, v1, 4, 0x9680
	v_mul_lo_u32 v30, v5, s15
	v_add3_u32 v122, v33, v8, 0x8200
	v_add_nc_u32_e32 v8, 1, v5
	v_add_nc_u32_e32 v71, s14, v67
	v_and_b32_e32 v13, 12, v4
	v_and_b32_e32 v40, 28, v4
	;; [unrolled: 1-line block ×3, first 2 shown]
	v_lshlrev_b32_e32 v39, 5, v34
	v_sub_nc_u32_e32 v6, v6, v30
	v_add_nc_u32_e32 v75, s14, v71
	v_lshl_add_u32 v30, v1, 7, 0x9280
	v_add_nc_u32_e32 v111, s0, v107
	v_lshlrev_b32_e32 v123, 5, v7
	v_subrev_nc_u32_e32 v31, s15, v6
	v_cmp_le_u32_e32 vcc_lo, s15, v6
	v_add_nc_u32_e32 v79, s14, v75
	v_and_b32_e32 v7, 31, v0
	v_lshrrev_b32_e32 v3, 2, v0
	v_add3_u32 v38, v39, v38, 0x8200
	v_cndmask_b32_e32 v5, v5, v8, vcc_lo
	v_cndmask_b32_e32 v6, v6, v31, vcc_lo
	v_xor_b32_e32 v8, s11, v10
	v_add_nc_u32_e32 v83, s14, v79
	s_mul_i32 s20, s17, s16
	v_add_nc_u32_e32 v33, 1, v5
	v_cmp_le_u32_e32 vcc_lo, s15, v6
	v_ashrrev_i32_e32 v1, 31, v8
	v_add_nc_u32_e32 v87, s14, v83
	v_add_nc_u32_e32 v8, 64, v0
	;; [unrolled: 1-line block ×3, first 2 shown]
	v_cndmask_b32_e32 v5, v5, v33, vcc_lo
	v_add_nc_u32_e32 v33, v32, v4
	v_add_nc_u32_e32 v91, s14, v87
	;; [unrolled: 1-line block ×3, first 2 shown]
	v_lshl_or_b32 v31, v7, 2, v30
	v_xor_b32_e32 v5, v5, v1
	v_and_b32_e32 v6, 0xfc, v0
	v_add_nc_u32_e32 v95, s14, v91
	v_and_b32_e32 v36, 0x1fc, v4
	v_lshrrev_b32_e32 v39, 3, v4
	v_sub_nc_u32_e32 v1, v5, v1
	v_lshlrev_b32_e32 v5, 5, v4
	v_add_nc_u32_e32 v99, s14, v95
	v_lshlrev_b32_e32 v7, 5, v0
	v_and_b32_e32 v37, 0x1fc, v8
	v_mul_lo_u32 v43, v1, s9
	v_lshlrev_b32_e32 v8, 5, v8
	v_cmp_gt_i32_e64 s0, s8, v1
	s_mul_hi_i32 s15, s20, 22
	s_mul_i32 s14, s20, 22
	v_add3_u32 v35, v7, v6, 0x8200
	v_add3_u32 v37, v8, v37, 0x8200
	;; [unrolled: 1-line block ×3, first 2 shown]
	v_ashrrev_i32_e32 v4, 31, v43
	v_add_co_u32 v1, s1, v43, v0
	v_mul_hi_u32_u24_e32 v113, 22, v2
	v_mul_u32_u24_e32 v114, 22, v2
	v_add_co_ci_u32_e64 v41, null, 0, v4, s1
	v_mad_u64_u32 v[3:4], null, v3, 22, s[14:15]
	s_waitcnt lgkmcnt(0)
	v_mad_u64_u32 v[7:8], null, v1, 36, s[6:7]
	v_add_co_u32 v5, s1, s6, v40
	v_add_co_ci_u32_e64 v6, null, s7, 0, s1
	v_mad_u64_u32 v[45:46], null, v9, 22, v[3:4]
	v_mad_i32_i24 v1, v41, 36, v8
	v_add_co_u32 v7, s1, 0x90, v7
	v_mad_u64_u32 v[49:50], null, v42, 22, v[3:4]
	v_add_co_ci_u32_e64 v8, null, 0, v1, s1
	v_add_co_u32 v1, s1, v45, v13
	v_add_co_ci_u32_e64 v9, null, 0, v46, s1
	v_add_nc_u32_e32 v40, v39, v43
	v_add_co_u32 v1, s1, s4, v1
	v_add_co_ci_u32_e64 v9, null, s5, v9, s1
	v_add_nc_u32_e32 v41, v12, v43
	v_add_nc_u32_e32 v42, v0, v43
	v_add_co_u32 v43, s1, v1, 6
	v_add_co_ci_u32_e64 v44, null, 0, v9, s1
	v_add_co_u32 v1, s1, v49, v13
	v_add_co_ci_u32_e64 v9, null, 0, v50, s1
	;; [unrolled: 2-line block ×3, first 2 shown]
	v_add_co_u32 v1, s1, s4, v1
	v_mad_u64_u32 v[53:54], null, v47, 22, v[3:4]
	v_add_co_ci_u32_e64 v9, null, s5, v9, s1
	v_add_co_u32 v47, s1, v1, 6
	v_mad_u64_u32 v[57:58], null, v51, 22, v[3:4]
	v_add_co_ci_u32_e64 v48, null, 0, v9, s1
	v_add_co_u32 v1, s1, s4, v49
	v_add_co_ci_u32_e64 v9, null, s5, v50, s1
	v_add_co_u32 v52, s1, v53, v13
	v_add_co_ci_u32_e64 v56, null, 0, v54, s1
	v_add_co_u32 v49, s1, v1, 2
	v_add_co_ci_u32_e64 v50, null, 0, v9, s1
	v_add_co_u32 v1, s1, s4, v52
	v_add_co_ci_u32_e64 v9, null, s5, v56, s1
	v_mad_u64_u32 v[61:62], null, v55, 22, v[3:4]
	v_add_co_u32 v51, s1, v1, 6
	v_add_co_ci_u32_e64 v52, null, 0, v9, s1
	v_add_co_u32 v1, s1, s4, v53
	v_add_co_ci_u32_e64 v9, null, s5, v54, s1
	v_add_co_u32 v56, s1, v57, v13
	v_add_co_ci_u32_e64 v60, null, 0, v58, s1
	v_add_co_u32 v53, s1, v1, 2
	v_add_co_ci_u32_e64 v54, null, 0, v9, s1
	v_add_co_u32 v1, s1, s4, v56
	v_add_co_ci_u32_e64 v9, null, s5, v60, s1
	v_mad_u64_u32 v[65:66], null, v59, 22, v[3:4]
	v_add_co_u32 v55, s1, v1, 6
	v_add_co_ci_u32_e64 v56, null, 0, v9, s1
	v_add_co_u32 v1, s1, s4, v57
	v_add_co_ci_u32_e64 v9, null, s5, v58, s1
	v_add_co_u32 v60, s1, v61, v13
	v_add_co_ci_u32_e64 v64, null, 0, v62, s1
	v_add_co_u32 v57, s1, v1, 2
	v_add_co_ci_u32_e64 v58, null, 0, v9, s1
	v_add_co_u32 v1, s1, s4, v60
	v_add_co_ci_u32_e64 v9, null, s5, v64, s1
	v_mad_u64_u32 v[69:70], null, v63, 22, v[3:4]
	v_add_co_u32 v59, s1, v1, 6
	v_add_co_ci_u32_e64 v60, null, 0, v9, s1
	v_add_co_u32 v1, s1, s4, v61
	v_add_co_ci_u32_e64 v9, null, s5, v62, s1
	v_add_co_u32 v64, s1, v65, v13
	v_add_co_ci_u32_e64 v68, null, 0, v66, s1
	v_add_co_u32 v61, s1, v1, 2
	v_add_co_ci_u32_e64 v62, null, 0, v9, s1
	v_add_co_u32 v1, s1, s4, v64
	v_add_co_ci_u32_e64 v9, null, s5, v68, s1
	v_mad_u64_u32 v[73:74], null, v67, 22, v[3:4]
	v_add_co_u32 v63, s1, v1, 6
	v_add_co_ci_u32_e64 v64, null, 0, v9, s1
	v_add_co_u32 v1, s1, s4, v65
	v_add_co_ci_u32_e64 v9, null, s5, v66, s1
	v_add_co_u32 v68, s1, v69, v13
	v_add_co_ci_u32_e64 v72, null, 0, v70, s1
	v_add_co_u32 v65, s1, v1, 2
	v_add_co_ci_u32_e64 v66, null, 0, v9, s1
	v_add_co_u32 v1, s1, s4, v68
	v_add_co_ci_u32_e64 v9, null, s5, v72, s1
	v_mad_u64_u32 v[77:78], null, v71, 22, v[3:4]
	v_add_co_u32 v67, s1, v1, 6
	v_add_co_ci_u32_e64 v68, null, 0, v9, s1
	v_add_co_u32 v1, s1, s4, v69
	v_add_co_ci_u32_e64 v9, null, s5, v70, s1
	v_add_co_u32 v72, s1, v73, v13
	v_add_co_ci_u32_e64 v76, null, 0, v74, s1
	v_add_co_u32 v69, s1, v1, 2
	v_add_co_ci_u32_e64 v70, null, 0, v9, s1
	v_add_co_u32 v1, s1, s4, v72
	v_add_co_ci_u32_e64 v9, null, s5, v76, s1
	v_mad_u64_u32 v[81:82], null, v75, 22, v[3:4]
	v_add_co_u32 v71, s1, v1, 6
	v_add_co_ci_u32_e64 v72, null, 0, v9, s1
	v_add_co_u32 v1, s1, s4, v73
	v_add_co_ci_u32_e64 v9, null, s5, v74, s1
	v_add_co_u32 v76, s1, v77, v13
	v_add_co_ci_u32_e64 v80, null, 0, v78, s1
	v_add_co_u32 v73, s1, v1, 2
	v_add_co_ci_u32_e64 v74, null, 0, v9, s1
	v_add_co_u32 v1, s1, s4, v76
	v_add_co_ci_u32_e64 v9, null, s5, v80, s1
	v_mad_u64_u32 v[85:86], null, v79, 22, v[3:4]
	v_add_co_u32 v75, s1, v1, 6
	v_add_co_ci_u32_e64 v76, null, 0, v9, s1
	v_add_co_u32 v1, s1, s4, v77
	v_add_co_ci_u32_e64 v9, null, s5, v78, s1
	v_add_co_u32 v80, s1, v81, v13
	v_add_co_ci_u32_e64 v84, null, 0, v82, s1
	v_add_co_u32 v77, s1, v1, 2
	v_add_co_ci_u32_e64 v78, null, 0, v9, s1
	v_add_co_u32 v1, s1, s4, v80
	v_add_co_ci_u32_e64 v9, null, s5, v84, s1
	v_mad_u64_u32 v[89:90], null, v83, 22, v[3:4]
	v_add_co_u32 v79, s1, v1, 6
	v_add_co_ci_u32_e64 v80, null, 0, v9, s1
	v_add_co_u32 v1, s1, s4, v81
	v_add_co_ci_u32_e64 v9, null, s5, v82, s1
	v_add_co_u32 v84, s1, v85, v13
	v_add_co_ci_u32_e64 v88, null, 0, v86, s1
	v_add_co_u32 v81, s1, v1, 2
	v_add_co_ci_u32_e64 v82, null, 0, v9, s1
	v_add_co_u32 v1, s1, s4, v84
	v_add_co_ci_u32_e64 v9, null, s5, v88, s1
	v_mad_u64_u32 v[93:94], null, v87, 22, v[3:4]
	v_add_co_u32 v83, s1, v1, 6
	v_add_co_ci_u32_e64 v84, null, 0, v9, s1
	v_add_co_u32 v1, s1, s4, v85
	v_add_co_ci_u32_e64 v9, null, s5, v86, s1
	v_add_co_u32 v88, s1, v89, v13
	v_add_co_ci_u32_e64 v92, null, 0, v90, s1
	v_add_co_u32 v85, s1, v1, 2
	v_add_co_ci_u32_e64 v86, null, 0, v9, s1
	v_add_co_u32 v1, s1, s4, v88
	v_add_co_ci_u32_e64 v9, null, s5, v92, s1
	v_mad_u64_u32 v[97:98], null, v91, 22, v[3:4]
	v_add_co_u32 v87, s1, v1, 6
	v_add_co_ci_u32_e64 v88, null, 0, v9, s1
	v_add_co_u32 v1, s1, s4, v89
	v_add_co_ci_u32_e64 v9, null, s5, v90, s1
	v_add_co_u32 v92, s1, v93, v13
	v_add_co_ci_u32_e64 v96, null, 0, v94, s1
	v_add_co_u32 v89, s1, v1, 2
	v_add_co_ci_u32_e64 v90, null, 0, v9, s1
	v_add_co_u32 v1, s1, s4, v92
	v_add_co_ci_u32_e64 v9, null, s5, v96, s1
	v_mad_u64_u32 v[101:102], null, v95, 22, v[3:4]
	v_add_co_u32 v91, s1, v1, 6
	v_add_co_ci_u32_e64 v92, null, 0, v9, s1
	v_add_co_u32 v1, s1, s4, v93
	v_add_co_ci_u32_e64 v9, null, s5, v94, s1
	v_add_co_u32 v96, s1, v97, v13
	v_add_co_ci_u32_e64 v100, null, 0, v98, s1
	v_add_co_u32 v93, s1, v1, 2
	v_add_co_ci_u32_e64 v94, null, 0, v9, s1
	v_add_co_u32 v1, s1, s4, v96
	v_add_co_ci_u32_e64 v9, null, s5, v100, s1
	v_mad_u64_u32 v[3:4], null, v99, 22, v[3:4]
	v_add_co_u32 v95, s1, v1, 6
	v_add_co_ci_u32_e64 v96, null, 0, v9, s1
	v_add_co_u32 v1, s1, s4, v97
	v_add_co_ci_u32_e64 v9, null, s5, v98, s1
	v_add_co_u32 v100, s1, v101, v13
	;; [unrolled: 2-line block ×4, first 2 shown]
	v_add_co_ci_u32_e64 v9, null, s5, v104, s1
	v_cmp_gt_u32_e32 vcc_lo, 4, v0
	v_add_co_u32 v99, s1, v1, 6
	v_add_co_ci_u32_e64 v100, null, 0, v9, s1
	v_add_co_u32 v1, s1, s4, v101
	v_add_co_ci_u32_e64 v9, null, s5, v102, s1
	;; [unrolled: 2-line block ×5, first 2 shown]
	v_mad_u64_u32 v[105:106], null, v103, 22, 0
	v_add_co_u32 v103, s1, v1, 6
	v_add_co_ci_u32_e64 v104, null, 0, v9, s1
	v_add_co_u32 v3, s1, s4, v3
	v_mad_u64_u32 v[1:2], null, v107, 22, 0
	v_add_co_ci_u32_e64 v4, null, s5, v4, s1
	v_add_co_u32 v9, s1, s14, v105
	v_add_co_ci_u32_e64 v105, null, s15, v106, s1
	v_add_co_u32 v106, s1, v3, 2
	;; [unrolled: 2-line block ×6, first 2 shown]
	v_add_co_ci_u32_e64 v105, null, v2, v113, s1
	v_mad_u64_u32 v[1:2], null, v111, 22, 0
	v_mad_u64_u32 v[3:4], null, v112, 22, 0
	v_add_co_u32 v111, s1, s4, v9
	v_add_co_ci_u32_e64 v112, null, s5, v105, s1
	v_add_co_u32 v1, s1, s14, v1
	v_add_co_ci_u32_e64 v2, null, s15, v2, s1
	;; [unrolled: 2-line block ×6, first 2 shown]
	v_add_co_u32 v115, s1, s4, v3
	v_mov_b32_e32 v11, 0
	v_add_nc_u32_e32 v15, 0x820, v14
	v_add_nc_u32_e32 v16, 0x1040, v14
	;; [unrolled: 1-line block ×15, first 2 shown]
	v_mul_u32_u24_e32 v34, 0x104, v0
	v_add_co_ci_u32_e64 v116, null, s5, v4, s1
	v_add_nc_u32_e32 v117, v117, v110
	v_add_nc_u32_e32 v118, v120, v118
	;; [unrolled: 1-line block ×4, first 2 shown]
	v_mov_b32_e32 v110, 0
	v_mov_b32_e32 v105, 0
	;; [unrolled: 1-line block ×3, first 2 shown]
	s_ashr_i32 s18, s12, 31
	s_mov_b32 s4, 0
	s_and_b32 s5, vcc_lo, s0
	s_movk_i32 s14, 0x80
	s_branch .LBB201_6
.LBB201_4:                              ;   in Loop: Header=BB201_6 Depth=1
	s_or_b32 exec_lo, exec_lo, s15
	s_waitcnt lgkmcnt(0)
	s_barrier
	buffer_gl0_inv
	ds_read_b128 v[121:124], v30
	ds_read2_b32 v[129:130], v34 offset0:32 offset1:33
	v_add_nc_u32_e32 v1, 0x2100, v34
	ds_read_b128 v[125:128], v30 offset:16
	ds_read2_b32 v[131:132], v1 offset1:1
	ds_read_b128 v[1:4], v32
	ds_read2_b32 v[133:134], v34 offset0:34 offset1:35
	v_add_nc_u32_e32 v137, 0x2108, v34
	ds_read2_b32 v[135:136], v34 offset0:36 offset1:37
	v_mov_b32_e32 v167, 0
	v_add_nc_u32_e32 v139, 0x4180, v34
	v_mov_b32_e32 v168, 0
	ds_read2_b32 v[137:138], v137 offset1:1
	v_add_nc_u32_e32 v141, 0x2110, v34
	v_add_nc_u32_e32 v143, 0x2118, v34
	ds_read2_b32 v[139:140], v139 offset1:1
	ds_read2_b32 v[141:142], v141 offset1:1
	;; [unrolled: 1-line block ×3, first 2 shown]
	ds_read2_b32 v[145:146], v38 offset0:4 offset1:5
	ds_read2_b32 v[147:148], v38 offset0:6 offset1:7
	;; [unrolled: 1-line block ×4, first 2 shown]
	v_mov_b32_e32 v169, 0
	s_waitcnt lgkmcnt(13)
	v_dot4c_i32_i8 v167, v129, v121
	v_add_nc_u32_e32 v129, 0x4188, v34
	v_mov_b32_e32 v173, 0
	s_waitcnt lgkmcnt(11)
	v_dot4c_i32_i8 v168, v131, v121
	v_add_nc_u32_e32 v131, 0x4198, v34
	v_dot4c_i32_i8 v167, v130, v125
	ds_read2_b32 v[153:154], v129 offset1:1
	v_add_nc_u32_e32 v129, 0x6200, v34
	v_dot4c_i32_i8 v168, v132, v125
	v_add_nc_u32_e32 v130, 0x4190, v34
	s_waitcnt lgkmcnt(10)
	v_dot4c_i32_i8 v167, v133, v122
	v_add_nc_u32_e32 v159, 0x2120, v34
	v_mov_b32_e32 v174, 0
	s_waitcnt lgkmcnt(8)
	v_dot4c_i32_i8 v168, v137, v122
	s_waitcnt lgkmcnt(7)
	v_dot4c_i32_i8 v169, v139, v121
	v_dot4c_i32_i8 v167, v134, v126
	v_add_nc_u32_e32 v139, 0x6208, v34
	v_add_nc_u32_e32 v171, 0x6220, v34
	v_dot4c_i32_i8 v168, v138, v126
	ds_read2_b32 v[137:138], v129 offset1:1
	ds_read2_b32 v[155:156], v130 offset1:1
	;; [unrolled: 1-line block ×3, first 2 shown]
	v_dot4c_i32_i8 v167, v135, v123
	v_dot4c_i32_i8 v169, v140, v125
	v_mov_b32_e32 v175, 0
	s_waitcnt lgkmcnt(9)
	v_dot4c_i32_i8 v168, v141, v123
	v_mov_b32_e32 v176, 0
	v_dot4c_i32_i8 v167, v136, v127
	ds_read_b128 v[129:132], v30 offset:32
	ds_read_b128 v[133:136], v30 offset:48
	ds_read2_b32 v[139:140], v139 offset1:1
	s_waitcnt lgkmcnt(6)
	v_dot4c_i32_i8 v169, v153, v122
	v_dot4c_i32_i8 v168, v142, v127
	;; [unrolled: 1-line block ×3, first 2 shown]
	ds_read2_b32 v[141:142], v35 offset0:4 offset1:5
	v_mov_b32_e32 v177, 0
	v_dot4c_i32_i8 v169, v154, v126
	v_dot4c_i32_i8 v168, v143, v124
	v_add_nc_u32_e32 v143, 0x6218, v34
	v_dot4c_i32_i8 v167, v150, v128
	s_waitcnt lgkmcnt(6)
	v_dot4c_i32_i8 v173, v137, v121
	v_add_nc_u32_e32 v121, 0x6210, v34
	s_waitcnt lgkmcnt(5)
	v_dot4c_i32_i8 v169, v155, v123
	ds_read2_b32 v[149:150], v36 offset0:4 offset1:5
	ds_read2_b32 v[153:154], v37 offset0:4 offset1:5
	v_dot4c_i32_i8 v168, v144, v128
	v_dot4c_i32_i8 v173, v138, v125
	ds_read2_b32 v[137:138], v121 offset1:1
	v_dot4c_i32_i8 v169, v156, v127
	ds_read2_b32 v[155:156], v143 offset1:1
	ds_read2_b32 v[159:160], v159 offset1:1
	ds_read2_b32 v[161:162], v34 offset0:58 offset1:59
	ds_read2_b32 v[163:164], v34 offset0:60 offset1:61
	;; [unrolled: 1-line block ×3, first 2 shown]
	s_waitcnt lgkmcnt(9)
	v_dot4c_i32_i8 v173, v139, v122
	v_dot4c_i32_i8 v174, v151, v129
	;; [unrolled: 1-line block ×3, first 2 shown]
	v_cvt_f32_i32_e32 v167, v167
	s_waitcnt lgkmcnt(8)
	v_mul_f32_e32 v141, v1, v141
	v_dot4c_i32_i8 v173, v140, v126
	ds_read2_b32 v[121:122], v34 offset0:42 offset1:43
	ds_read2_b32 v[139:140], v36 offset0:6 offset1:7
	;; [unrolled: 1-line block ×4, first 2 shown]
	v_dot4c_i32_i8 v174, v152, v133
	v_dot4c_i32_i8 v169, v158, v128
	v_cvt_f32_i32_e32 v157, v168
	v_fmac_f32_e32 v11, v141, v167
	s_waitcnt lgkmcnt(11)
	v_mul_f32_e32 v149, v1, v149
	v_add_nc_u32_e32 v141, 0x2138, v34
	s_waitcnt lgkmcnt(9)
	v_dot4c_i32_i8 v173, v137, v123
	v_mul_f32_e32 v123, v1, v153
	v_cvt_f32_i32_e32 v137, v169
	v_fmac_f32_e32 v110, v149, v157
	v_add_nc_u32_e32 v149, 0x41a0, v34
	v_dot4c_i32_i8 v173, v138, v127
	v_add_nc_u32_e32 v127, 0x2130, v34
	v_fmac_f32_e32 v105, v123, v137
	s_waitcnt lgkmcnt(3)
	v_dot4c_i32_i8 v174, v121, v130
	v_add_nc_u32_e32 v121, 0x2128, v34
	v_dot4c_i32_i8 v173, v155, v124
	ds_read2_b32 v[123:124], v34 offset0:46 offset1:47
	ds_read2_b32 v[137:138], v34 offset0:48 offset1:49
	v_add_nc_u32_e32 v153, 0x41b8, v34
	v_dot4c_i32_i8 v174, v122, v134
	ds_read2_b32 v[121:122], v121 offset1:1
	ds_read2_b32 v[151:152], v127 offset1:1
	;; [unrolled: 1-line block ×4, first 2 shown]
	v_mov_b32_e32 v149, 0
	v_add_nc_u32_e32 v141, 0x41b0, v34
	v_dot4c_i32_i8 v173, v156, v128
	s_waitcnt lgkmcnt(6)
	v_dot4c_i32_i8 v174, v125, v131
	v_add_nc_u32_e32 v125, 0x41a8, v34
	v_dot4c_i32_i8 v149, v159, v129
	ds_read2_b32 v[127:128], v125 offset1:1
	ds_read2_b32 v[155:156], v141 offset1:1
	;; [unrolled: 1-line block ×4, first 2 shown]
	v_dot4c_i32_i8 v149, v160, v133
	v_add_nc_u32_e32 v125, 0x6228, v34
	v_dot4c_i32_i8 v174, v126, v135
	v_mov_b32_e32 v153, 0
	ds_read2_b32 v[159:160], v37 offset0:6 offset1:7
	v_mul_f32_e32 v1, v1, v145
	s_waitcnt lgkmcnt(8)
	v_dot4c_i32_i8 v149, v121, v130
	ds_read2_b32 v[125:126], v125 offset1:1
	v_add_nc_u32_e32 v121, 0x6230, v34
	s_waitcnt lgkmcnt(6)
	v_dot4c_i32_i8 v153, v167, v129
	v_cvt_f32_i32_e32 v145, v173
	v_dot4c_i32_i8 v149, v122, v134
	v_mul_f32_e32 v173, v2, v142
	ds_read2_b32 v[141:142], v121 offset1:1
	v_dot4c_i32_i8 v153, v168, v133
	v_dot4c_i32_i8 v174, v123, v132
	;; [unrolled: 1-line block ×3, first 2 shown]
	v_add_nc_u32_e32 v121, 0x6238, v34
	v_add_nc_u32_e32 v122, 0x2140, v34
	s_waitcnt lgkmcnt(3)
	v_dot4c_i32_i8 v175, v171, v129
	v_dot4c_i32_i8 v153, v127, v130
	;; [unrolled: 1-line block ×4, first 2 shown]
	ds_read2_b32 v[151:152], v121 offset1:1
	ds_read2_b32 v[167:168], v122 offset1:1
	v_dot4c_i32_i8 v175, v172, v133
	ds_read_b128 v[121:124], v30 offset:64
	v_dot4c_i32_i8 v149, v157, v132
	v_dot4c_i32_i8 v153, v128, v134
	v_cvt_f32_i32_e32 v129, v174
	s_waitcnt lgkmcnt(4)
	v_dot4c_i32_i8 v175, v125, v130
	v_mul_f32_e32 v130, v2, v150
	v_dot4c_i32_i8 v149, v158, v136
	v_dot4c_i32_i8 v153, v155, v131
	v_fmac_f32_e32 v11, v173, v129
	v_dot4c_i32_i8 v175, v126, v134
	ds_read_b128 v[125:128], v30 offset:80
	v_cvt_f32_i32_e32 v133, v149
	v_dot4c_i32_i8 v153, v156, v135
	v_add_nc_u32_e32 v171, 0x41d8, v34
	s_waitcnt lgkmcnt(4)
	v_dot4c_i32_i8 v175, v141, v131
	v_add_nc_u32_e32 v131, 0x2148, v34
	v_fmac_f32_e32 v110, v130, v133
	ds_read2_b32 v[129:130], v34 offset0:50 offset1:51
	v_dot4c_i32_i8 v153, v169, v132
	v_dot4c_i32_i8 v175, v142, v135
	v_mov_b32_e32 v135, 0
	v_add_nc_u32_e32 v133, 0x2150, v34
	v_add_nc_u32_e32 v141, 0x41c0, v34
	v_dot4c_i32_i8 v153, v170, v136
	s_waitcnt lgkmcnt(4)
	v_dot4c_i32_i8 v175, v151, v132
	s_waitcnt lgkmcnt(2)
	v_dot4c_i32_i8 v135, v137, v121
	v_add_nc_u32_e32 v137, 0x2158, v34
	v_add_nc_u32_e32 v151, 0x41c8, v34
	;; [unrolled: 1-line block ×4, first 2 shown]
	s_waitcnt lgkmcnt(1)
	v_dot4c_i32_i8 v135, v138, v125
	ds_read2_b32 v[131:132], v131 offset1:1
	ds_read2_b32 v[133:134], v133 offset1:1
	;; [unrolled: 1-line block ×4, first 2 shown]
	ds_read2_b32 v[149:150], v34 offset0:52 offset1:53
	v_fmac_f32_e32 v9, v1, v145
	v_mul_f32_e32 v1, v2, v154
	v_cvt_f32_i32_e32 v145, v153
	ds_read2_b32 v[153:154], v34 offset0:54 offset1:55
	ds_read2_b32 v[155:156], v34 offset0:56 offset1:57
	ds_read2_b32 v[157:158], v151 offset1:1
	ds_read2_b32 v[169:170], v169 offset1:1
	;; [unrolled: 1-line block ×4, first 2 shown]
	s_waitcnt lgkmcnt(11)
	v_dot4c_i32_i8 v135, v129, v122
	v_dot4c_i32_i8 v175, v152, v136
	v_fmac_f32_e32 v105, v1, v145
	v_add_nc_u32_e32 v1, 0x6248, v34
	v_mul_f32_e32 v136, v2, v146
	v_dot4c_i32_i8 v176, v167, v121
	v_dot4c_i32_i8 v135, v130, v126
	v_mov_b32_e32 v167, 0
	ds_read2_b32 v[1:2], v1 offset1:1
	v_add_nc_u32_e32 v129, 0x6250, v34
	v_dot4c_i32_i8 v176, v168, v125
	v_add_nc_u32_e32 v151, 0x41f0, v34
	s_waitcnt lgkmcnt(8)
	v_dot4c_i32_i8 v177, v141, v121
	s_waitcnt lgkmcnt(7)
	v_dot4c_i32_i8 v135, v149, v123
	ds_read2_b32 v[129:130], v129 offset1:1
	v_dot4c_i32_i8 v176, v131, v122
	v_add_nc_u32_e32 v131, 0x2160, v34
	v_dot4c_i32_i8 v177, v142, v125
	s_waitcnt lgkmcnt(2)
	v_dot4c_i32_i8 v167, v173, v121
	v_dot4c_i32_i8 v135, v150, v127
	;; [unrolled: 1-line block ×3, first 2 shown]
	v_add_nc_u32_e32 v121, 0x6258, v34
	v_dot4c_i32_i8 v177, v157, v122
	v_dot4c_i32_i8 v167, v174, v125
	;; [unrolled: 1-line block ×4, first 2 shown]
	ds_read2_b32 v[141:142], v121 offset1:1
	ds_read2_b32 v[145:146], v131 offset1:1
	v_dot4c_i32_i8 v177, v158, v126
	s_waitcnt lgkmcnt(3)
	v_dot4c_i32_i8 v167, v1, v122
	v_dot4c_i32_i8 v135, v154, v128
	v_cvt_f32_i32_e32 v1, v175
	v_dot4c_i32_i8 v176, v134, v127
	v_dot4c_i32_i8 v177, v169, v123
	;; [unrolled: 1-line block ×3, first 2 shown]
	v_mul_f32_e32 v2, v3, v143
	v_cvt_f32_i32_e32 v121, v135
	v_dot4c_i32_i8 v176, v137, v124
	v_dot4c_i32_i8 v177, v170, v127
	s_waitcnt lgkmcnt(2)
	v_dot4c_i32_i8 v167, v129, v123
	v_fmac_f32_e32 v9, v136, v1
	v_add_nc_u32_e32 v1, 0x2168, v34
	v_fmac_f32_e32 v11, v2, v121
	v_add_nc_u32_e32 v121, 0x2170, v34
	v_add_nc_u32_e32 v123, 0x2178, v34
	v_dot4c_i32_i8 v167, v130, v127
	v_add_nc_u32_e32 v127, 0x41e0, v34
	v_add_nc_u32_e32 v143, 0x41e8, v34
	;; [unrolled: 1-line block ×4, first 2 shown]
	v_dot4c_i32_i8 v177, v171, v124
	v_dot4c_i32_i8 v176, v138, v128
	ds_read_b128 v[129:132], v30 offset:96
	ds_read_b128 v[133:136], v30 offset:112
	ds_read2_b32 v[1:2], v1 offset1:1
	ds_read2_b32 v[121:122], v121 offset1:1
	;; [unrolled: 1-line block ×8, first 2 shown]
	v_mul_f32_e32 v123, v3, v139
	v_dot4c_i32_i8 v177, v172, v128
	v_cvt_f32_i32_e32 v127, v176
	s_waitcnt lgkmcnt(11)
	v_dot4c_i32_i8 v167, v141, v124
	v_add_nc_u32_e32 v124, 0x6268, v34
	v_mul_f32_e32 v139, v3, v159
	v_cvt_f32_i32_e32 v143, v177
	v_fmac_f32_e32 v110, v123, v127
	v_mov_b32_e32 v141, 0
	ds_read2_b32 v[123:124], v124 offset1:1
	v_dot4c_i32_i8 v167, v142, v128
	v_fmac_f32_e32 v105, v139, v143
	v_mov_b32_e32 v139, 0
	v_mov_b32_e32 v142, 0
	;; [unrolled: 1-line block ×3, first 2 shown]
	v_add_nc_u32_e32 v127, 0x6270, v34
	s_waitcnt lgkmcnt(10)
	v_dot4c_i32_i8 v141, v155, v129
	v_dot4c_i32_i8 v139, v145, v129
	s_waitcnt lgkmcnt(5)
	v_dot4c_i32_i8 v142, v137, v129
	s_waitcnt lgkmcnt(1)
	v_dot4c_i32_i8 v143, v157, v129
	ds_read2_b32 v[127:128], v127 offset1:1
	v_dot4c_i32_i8 v141, v156, v133
	v_dot4c_i32_i8 v139, v146, v133
	;; [unrolled: 1-line block ×3, first 2 shown]
	v_add_nc_u32_e32 v129, 0x6278, v34
	v_dot4c_i32_i8 v143, v158, v133
	v_dot4c_i32_i8 v141, v161, v130
	;; [unrolled: 1-line block ×4, first 2 shown]
	ds_read2_b32 v[137:138], v129 offset1:1
	s_waitcnt lgkmcnt(2)
	v_dot4c_i32_i8 v143, v123, v130
	v_dot4c_i32_i8 v141, v162, v134
	;; [unrolled: 1-line block ×4, first 2 shown]
	v_mul_f32_e32 v1, v3, v147
	v_dot4c_i32_i8 v143, v124, v134
	v_dot4c_i32_i8 v141, v163, v131
	;; [unrolled: 1-line block ×4, first 2 shown]
	v_cvt_f32_i32_e32 v2, v167
	s_waitcnt lgkmcnt(1)
	v_dot4c_i32_i8 v143, v127, v131
	v_dot4c_i32_i8 v141, v164, v135
	;; [unrolled: 1-line block ×4, first 2 shown]
	v_fmac_f32_e32 v9, v1, v2
	v_dot4c_i32_i8 v143, v128, v135
	v_dot4c_i32_i8 v141, v165, v132
	;; [unrolled: 1-line block ×4, first 2 shown]
	v_mul_f32_e32 v1, v4, v144
	s_waitcnt lgkmcnt(0)
	v_dot4c_i32_i8 v143, v137, v132
	v_dot4c_i32_i8 v141, v166, v136
	;; [unrolled: 1-line block ×4, first 2 shown]
	v_mul_f32_e32 v3, v4, v140
	v_dot4c_i32_i8 v143, v138, v136
	v_cvt_f32_i32_e32 v2, v141
	v_cvt_f32_i32_e32 v121, v139
	v_mul_f32_e32 v122, v4, v160
	v_cvt_f32_i32_e32 v123, v142
	v_mul_f32_e32 v4, v4, v148
	v_cvt_f32_i32_e32 v124, v143
	v_fmac_f32_e32 v11, v1, v2
	v_fmac_f32_e32 v110, v3, v121
	;; [unrolled: 1-line block ×4, first 2 shown]
	s_barrier
	buffer_gl0_inv
.LBB201_5:                              ;   in Loop: Header=BB201_6 Depth=1
	v_add_co_u32 v7, s1, 0x120, v7
	v_add_co_ci_u32_e64 v8, null, 0, v8, s1
	v_add_co_u32 v43, s1, 0xb0, v43
	v_add_co_ci_u32_e64 v44, null, 0, v44, s1
	;; [unrolled: 2-line block ×37, first 2 shown]
	s_add_i32 s4, s4, 8
	s_addk_i32 s14, 0x100
	s_cmp_ge_i32 s4, s17
	s_cbranch_scc1 .LBB201_17
.LBB201_6:                              ; =>This Inner Loop Header: Depth=1
	v_add_co_u32 v1, s1, v43, s12
	v_add_co_ci_u32_e64 v2, null, s18, v44, s1
	v_add_co_u32 v3, s1, v45, s12
	v_add_co_ci_u32_e64 v4, null, s18, v46, s1
	;; [unrolled: 2-line block ×3, first 2 shown]
	global_load_dword v128, v[1:2], off
	global_load_dword v130, v[3:4], off offset:2
	global_load_dword v129, v[121:122], off
	v_add_co_u32 v1, s1, v49, s12
	v_add_co_ci_u32_e64 v2, null, s18, v50, s1
	v_add_co_u32 v3, s1, v51, s12
	v_add_co_ci_u32_e64 v4, null, s18, v52, s1
	;; [unrolled: 2-line block ×5, first 2 shown]
	global_load_dword v145, v[1:2], off
	global_load_dword v146, v[3:4], off
	;; [unrolled: 1-line block ×5, first 2 shown]
	v_add_co_u32 v1, s1, v59, s12
	v_add_co_ci_u32_e64 v2, null, s18, v60, s1
	v_add_co_u32 v3, s1, v61, s12
	v_add_co_ci_u32_e64 v4, null, s18, v62, s1
	;; [unrolled: 2-line block ×4, first 2 shown]
	global_load_dword v150, v[3:4], off
	global_load_dword v151, v[1:2], off
	;; [unrolled: 1-line block ×4, first 2 shown]
	v_add_co_u32 v1, s1, v67, s12
	v_add_co_ci_u32_e64 v2, null, s18, v68, s1
	v_add_co_u32 v3, s1, v69, s12
	v_add_co_ci_u32_e64 v4, null, s18, v70, s1
	global_load_dword v125, v[1:2], off
	v_add_co_u32 v121, s1, v71, s12
	global_load_dword v126, v[3:4], off
	v_add_co_ci_u32_e64 v122, null, s18, v72, s1
	v_add_co_u32 v131, s1, v73, s12
	v_add_co_ci_u32_e64 v132, null, s18, v74, s1
	v_add_co_u32 v133, s1, v75, s12
	;; [unrolled: 2-line block ×7, first 2 shown]
	v_add_co_ci_u32_e64 v144, null, s18, v86, s1
	global_load_dword v123, v[121:122], off
	global_load_dword v124, v[131:132], off
	;; [unrolled: 1-line block ×8, first 2 shown]
	s_waitcnt vmcnt(21)
	v_lshrrev_b32_e32 v132, 4, v128
	s_waitcnt vmcnt(20)
	v_ashrrev_i32_e32 v130, v13, v130
	v_and_b32_e32 v131, 0xf0f0f0f, v128
	s_waitcnt vmcnt(19)
	v_and_b32_e32 v134, 0xf0f0f0f, v129
	v_lshrrev_b32_e32 v129, 4, v129
	v_and_b32_e32 v132, 0xf0f0f0f, v132
	v_and_b32_e32 v129, 0xf0f0f0f, v129
	s_waitcnt vmcnt(18)
	v_ashrrev_i32_e32 v133, v13, v145
	s_waitcnt vmcnt(17)
	v_and_b32_e32 v136, 0xf0f0f0f, v146
	s_waitcnt vmcnt(16)
	v_ashrrev_i32_e32 v135, v13, v147
	v_lshrrev_b32_e32 v137, 4, v146
	s_waitcnt vmcnt(14)
	v_ashrrev_i32_e32 v138, v13, v149
	v_and_b32_e32 v139, 0xf0f0f0f, v148
	v_lshrrev_b32_e32 v140, 4, v148
	v_lshlrev_b32_e32 v145, 4, v130
	v_lshlrev_b32_e32 v146, 11, v130
	;; [unrolled: 1-line block ×4, first 2 shown]
	v_lshrrev_b32_e32 v149, 12, v130
	v_lshlrev_b32_e32 v153, 11, v133
	v_lshlrev_b32_e32 v154, 18, v133
	;; [unrolled: 1-line block ×3, first 2 shown]
	v_lshrrev_b32_e32 v156, 12, v133
	v_lshrrev_b32_e32 v157, 5, v133
	v_lshlrev_b32_e32 v158, 2, v133
	s_waitcnt vmcnt(13)
	v_ashrrev_i32_e32 v141, v13, v150
	v_lshrrev_b32_e32 v150, 5, v130
	s_waitcnt vmcnt(12)
	v_and_b32_e32 v142, 0xf0f0f0f, v151
	v_lshrrev_b32_e32 v143, 4, v151
	s_waitcnt vmcnt(11)
	v_ashrrev_i32_e32 v128, v13, v152
	v_lshlrev_b32_e32 v151, 2, v130
	v_lshlrev_b32_e32 v130, 9, v130
	;; [unrolled: 1-line block ×8, first 2 shown]
	v_lshrrev_b32_e32 v163, 12, v135
	v_lshrrev_b32_e32 v164, 5, v135
	v_lshlrev_b32_e32 v165, 2, v135
	v_lshlrev_b32_e32 v135, 9, v135
	;; [unrolled: 1-line block ×6, first 2 shown]
	v_lshrrev_b32_e32 v170, 12, v138
	v_lshrrev_b32_e32 v171, 5, v138
	v_and_b32_e32 v145, 16, v145
	v_and_b32_e32 v146, 0x1000, v146
	;; [unrolled: 1-line block ×24, first 2 shown]
	v_lshlrev_b32_e32 v172, 2, v138
	v_lshlrev_b32_e32 v138, 9, v138
	v_and_b32_e32 v165, 0x100000, v165
	v_and_b32_e32 v135, 0x10000000, v135
	v_and_b32_e32 v166, 16, v166
	v_and_b32_e32 v167, 0x1000, v167
	v_and_b32_e32 v168, 0x100000, v168
	v_and_b32_e32 v169, 0x10000000, v169
	v_and_b32_e32 v170, 16, v170
	v_and_b32_e32 v171, 0x1000, v171
	v_or3_b32 v145, v145, v131, v146
	v_or3_b32 v131, v131, v147, v148
	;; [unrolled: 1-line block ×11, first 2 shown]
	v_and_b32_e32 v172, 0x100000, v172
	v_and_b32_e32 v138, 0x10000000, v138
	v_or3_b32 v135, v137, v165, v135
	v_or3_b32 v137, v166, v139, v167
	;; [unrolled: 1-line block ×4, first 2 shown]
	v_lshrrev_b32_e32 v131, 16, v131
	v_and_b32_e32 v151, 0x1f00, v145
	v_lshlrev_b16 v145, 8, v145
	v_and_b32_e32 v152, 0x1f00, v146
	v_lshlrev_b16 v146, 8, v146
	v_lshrrev_b32_e32 v134, 16, v134
	v_and_b32_e32 v154, 0x1f00, v147
	v_lshlrev_b16 v147, 8, v147
	v_lshrrev_b32_e32 v136, 16, v136
	v_and_b32_e32 v156, 0x1f00, v148
	v_lshlrev_b16 v148, 8, v148
	v_or3_b32 v138, v140, v172, v138
	v_lshrrev_b32_e32 v139, 16, v139
	v_and_b32_e32 v158, 0x1f00, v149
	v_lshlrev_b16 v149, 8, v149
	v_lshrrev_b32_e32 v130, 16, v130
	v_add_nc_u16 v151, 0xf000, v151
	v_add_nc_u16 v145, 0xf000, v145
	v_and_b32_e32 v162, 0x1f00, v131
	v_lshlrev_b16 v131, 8, v131
	v_add_nc_u16 v146, 0xf000, v146
	v_and_b32_e32 v153, 0x1f00, v132
	v_lshlrev_b16 v132, 8, v132
	v_lshrrev_b32_e32 v129, 16, v129
	v_and_b32_e32 v164, 0x1f00, v134
	v_lshlrev_b16 v134, 8, v134
	v_add_nc_u16 v147, 0xf000, v147
	v_and_b32_e32 v155, 0x1f00, v133
	v_lshlrev_b16 v133, 8, v133
	v_lshrrev_b32_e32 v135, 16, v135
	v_and_b32_e32 v166, 0x1f00, v136
	v_lshlrev_b16 v136, 8, v136
	v_add_nc_u16 v148, 0xf000, v148
	v_and_b32_e32 v157, 0x1f00, v137
	v_lshlrev_b16 v137, 8, v137
	v_lshrrev_b32_e32 v138, 16, v138
	v_and_b32_e32 v168, 0x1f00, v139
	v_lshlrev_b16 v139, 8, v139
	v_add_nc_u16 v149, 0xf000, v149
	v_and_b32_e32 v163, 0x1f00, v130
	v_lshlrev_b16 v130, 8, v130
	v_perm_b32 v145, v145, v151, 0xc0c0105
	v_add_nc_u16 v151, 0xf000, v162
	v_add_nc_u16 v131, 0xf000, v131
	v_or_b32_sdwa v146, v152, v146 dst_sel:DWORD dst_unused:UNUSED_PAD src0_sel:DWORD src1_sel:BYTE_1
	v_add_nc_u16 v153, 0xf000, v153
	v_add_nc_u16 v132, 0xf000, v132
	v_and_b32_e32 v165, 0x1f00, v129
	v_lshlrev_b16 v129, 8, v129
	v_add_nc_u16 v152, 0xf000, v164
	v_add_nc_u16 v134, 0xf000, v134
	v_or_b32_sdwa v147, v154, v147 dst_sel:DWORD dst_unused:UNUSED_PAD src0_sel:DWORD src1_sel:BYTE_1
	v_lshlrev_b32_e32 v173, 4, v141
	v_lshlrev_b32_e32 v174, 11, v141
	;; [unrolled: 1-line block ×4, first 2 shown]
	v_lshrrev_b32_e32 v177, 12, v141
	v_lshrrev_b32_e32 v178, 5, v141
	v_add_nc_u16 v155, 0xf000, v155
	v_add_nc_u16 v133, 0xf000, v133
	v_and_b32_e32 v167, 0x1f00, v135
	v_lshlrev_b16 v135, 8, v135
	v_add_nc_u16 v154, 0xf000, v166
	v_add_nc_u16 v136, 0xf000, v136
	v_or_b32_sdwa v148, v156, v148 dst_sel:DWORD dst_unused:UNUSED_PAD src0_sel:DWORD src1_sel:BYTE_1
	v_add_nc_u16 v157, 0xf000, v157
	v_add_nc_u16 v137, 0xf000, v137
	v_and_b32_e32 v169, 0x1f00, v138
	v_lshlrev_b16 v138, 8, v138
	v_add_nc_u16 v156, 0xf000, v168
	v_add_nc_u16 v139, 0xf000, v139
	v_or_b32_sdwa v149, v158, v149 dst_sel:DWORD dst_unused:UNUSED_PAD src0_sel:DWORD src1_sel:BYTE_1
	v_add_nc_u16 v162, 0xf000, v163
	v_add_nc_u16 v130, 0xf000, v130
	v_perm_b32 v131, v131, v151, 0xc0c0105
	v_add_nc_u16 v146, 0xf000, v146
	v_perm_b32 v132, v132, v153, 0xc0c0105
	v_add_nc_u16 v153, 0xf000, v165
	v_add_nc_u16 v129, 0xf000, v129
	v_perm_b32 v134, v134, v152, 0xc0c0105
	v_add_nc_u16 v147, 0xf000, v147
	v_and_b32_e32 v143, 0xf0f0f0f, v143
	v_lshlrev_b32_e32 v179, 2, v141
	v_lshlrev_b32_e32 v141, 9, v141
	v_and_b32_e32 v173, 16, v173
	v_and_b32_e32 v174, 0x1000, v174
	;; [unrolled: 1-line block ×6, first 2 shown]
	v_perm_b32 v133, v133, v155, 0xc0c0105
	v_add_nc_u16 v155, 0xf000, v167
	v_add_nc_u16 v135, 0xf000, v135
	v_perm_b32 v136, v136, v154, 0xc0c0105
	v_add_nc_u16 v148, 0xf000, v148
	v_perm_b32 v137, v137, v157, 0xc0c0105
	v_add_nc_u16 v157, 0xf000, v169
	v_add_nc_u16 v138, 0xf000, v138
	v_perm_b32 v139, v139, v156, 0xc0c0105
	v_add_nc_u16 v149, 0xf000, v149
	v_perm_b32 v130, v130, v162, 0xc0c0105
	v_lshl_or_b32 v131, v131, 16, v145
	v_and_b32_e32 v145, 0xffff, v146
	v_perm_b32 v129, v129, v153, 0xc0c0105
	v_lshl_or_b32 v132, v134, 16, v132
	v_and_b32_e32 v134, 0xffff, v147
	v_and_b32_e32 v179, 0x100000, v179
	;; [unrolled: 1-line block ×3, first 2 shown]
	v_or3_b32 v140, v173, v142, v174
	v_or3_b32 v142, v142, v175, v176
	;; [unrolled: 1-line block ×3, first 2 shown]
	v_perm_b32 v135, v135, v155, 0xc0c0105
	v_lshl_or_b32 v133, v136, 16, v133
	v_and_b32_e32 v136, 0xffff, v148
	v_perm_b32 v138, v138, v157, 0xc0c0105
	v_lshl_or_b32 v137, v139, 16, v137
	v_and_b32_e32 v139, 0xffff, v149
	v_lshl_or_b32 v130, v130, 16, v145
	v_lshl_or_b32 v129, v129, 16, v134
	v_lshlrev_b32_e32 v180, 4, v128
	v_lshlrev_b32_e32 v181, 11, v128
	;; [unrolled: 1-line block ×4, first 2 shown]
	v_or3_b32 v141, v143, v179, v141
	v_lshrrev_b32_e32 v142, 16, v142
	v_and_b32_e32 v160, 0x1f00, v150
	v_lshlrev_b16 v150, 8, v150
	v_lshl_or_b32 v134, v135, 16, v136
	v_lshl_or_b32 v135, v138, 16, v139
	s_waitcnt vmcnt(10)
	v_and_b32_e32 v144, 0xf0f0f0f, v127
	v_lshrrev_b32_e32 v127, 4, v127
	v_lshrrev_b32_e32 v184, 12, v128
	ds_write2_b32 v14, v131, v130 offset1:1
	ds_write2_b32 v15, v132, v129 offset1:1
	;; [unrolled: 1-line block ×4, first 2 shown]
	v_lshrrev_b32_e32 v129, 5, v128
	v_lshlrev_b32_e32 v130, 2, v128
	v_lshlrev_b32_e32 v128, 9, v128
	v_and_b32_e32 v180, 16, v180
	v_and_b32_e32 v181, 0x1000, v181
	;; [unrolled: 1-line block ×5, first 2 shown]
	v_lshlrev_b16 v140, 8, v140
	v_lshrrev_b32_e32 v141, 16, v141
	v_and_b32_e32 v170, 0x1f00, v142
	v_lshlrev_b16 v142, 8, v142
	v_add_nc_u16 v150, 0xf000, v150
	v_and_b32_e32 v127, 0xf0f0f0f, v127
	v_and_b32_e32 v131, 16, v184
	;; [unrolled: 1-line block ×5, first 2 shown]
	v_or3_b32 v143, v180, v144, v181
	v_or3_b32 v144, v144, v182, v183
	v_add_nc_u16 v159, 0xf000, v159
	v_add_nc_u16 v140, 0xf000, v140
	v_and_b32_e32 v171, 0x1f00, v141
	v_lshlrev_b16 v141, 8, v141
	v_add_nc_u16 v158, 0xf000, v170
	v_add_nc_u16 v142, 0xf000, v142
	v_or_b32_sdwa v150, v160, v150 dst_sel:DWORD dst_unused:UNUSED_PAD src0_sel:DWORD src1_sel:BYTE_1
	v_or3_b32 v129, v131, v127, v129
	v_or3_b32 v130, v127, v130, v128
	v_add_co_u32 v127, s1, v89, s12
	v_lshrrev_b32_e32 v144, 16, v144
	v_perm_b32 v140, v140, v159, 0xc0c0105
	v_add_nc_u16 v159, 0xf000, v171
	v_add_nc_u16 v141, 0xf000, v141
	v_perm_b32 v142, v142, v158, 0xc0c0105
	v_add_nc_u16 v150, 0xf000, v150
	v_add_co_ci_u32_e64 v128, null, s18, v90, s1
	v_perm_b32 v141, v141, v159, 0xc0c0105
	v_lshl_or_b32 v140, v142, 16, v140
	v_and_b32_e32 v142, 0xffff, v150
	v_and_b32_e32 v133, 0x1f00, v144
	v_lshlrev_b16 v135, 8, v129
	global_load_dword v128, v[127:128], off
	v_and_b32_e32 v134, 0x1f00, v129
	v_add_co_u32 v129, s1, v87, s12
	v_lshl_or_b32 v136, v141, 16, v142
	v_add_nc_u16 v131, 0xf000, v133
	v_lshrrev_b32_e32 v133, 16, v130
	v_add_co_ci_u32_e64 v130, null, s18, v88, s1
	v_add_nc_u16 v135, 0xf000, v135
	v_and_b32_e32 v161, 0x1f00, v143
	v_lshlrev_b16 v143, 8, v143
	ds_write2_b32 v18, v140, v136 offset1:1
	v_lshlrev_b16 v136, 8, v144
	v_and_b32_e32 v137, 0x1f00, v133
	v_lshlrev_b16 v133, 8, v133
	global_load_dword v127, v[129:130], off
	v_or_b32_sdwa v129, v134, v135 dst_sel:DWORD dst_unused:UNUSED_PAD src0_sel:DWORD src1_sel:BYTE_1
	v_add_nc_u16 v161, 0xf000, v161
	v_add_nc_u16 v143, 0xf000, v143
	s_waitcnt vmcnt(10)
	v_ashrrev_i32_e32 v126, v13, v126
	v_add_nc_u16 v130, 0xf000, v136
	v_add_nc_u16 v134, 0xf000, v137
	;; [unrolled: 1-line block ×4, first 2 shown]
	v_perm_b32 v132, v143, v161, 0xc0c0105
	v_lshlrev_b32_e32 v135, 4, v126
	v_lshlrev_b32_e32 v136, 18, v126
	;; [unrolled: 1-line block ×4, first 2 shown]
	v_perm_b32 v130, v130, v131, 0xc0c0105
	v_perm_b32 v131, v133, v134, 0xc0c0105
	v_and_b32_e32 v129, 0xffff, v129
	v_and_b32_e32 v139, 0xf0f0f0f, v125
	;; [unrolled: 1-line block ×6, first 2 shown]
	v_lshrrev_b32_e32 v125, 4, v125
	v_lshl_or_b32 v132, v130, 16, v132
	v_lshl_or_b32 v131, v131, 16, v129
	v_lshrrev_b32_e32 v129, 12, v126
	v_lshrrev_b32_e32 v130, 5, v126
	v_or3_b32 v133, v139, v136, v137
	v_or3_b32 v134, v135, v139, v138
	v_and_b32_e32 v136, 0xf0f0f0f, v125
	v_and_b32_e32 v139, 16, v129
	;; [unrolled: 1-line block ×3, first 2 shown]
	v_add_co_u32 v125, s1, v93, s12
	v_lshlrev_b32_e32 v137, 2, v126
	v_lshlrev_b32_e32 v138, 9, v126
	v_add_co_ci_u32_e64 v126, null, s18, v94, s1
	v_add_co_u32 v129, s1, v91, s12
	v_add_co_ci_u32_e64 v130, null, s18, v92, s1
	v_or3_b32 v139, v139, v136, v140
	v_lshrrev_b32_e32 v133, 16, v133
	v_and_b32_e32 v135, 0x1f00, v134
	v_lshlrev_b16 v134, 8, v134
	v_and_b32_e32 v137, 0x100000, v137
	v_and_b32_e32 v138, 0x10000000, v138
	global_load_dword v126, v[125:126], off
	global_load_dword v125, v[129:130], off
	v_lshlrev_b16 v130, 8, v139
	v_add_nc_u16 v129, 0xf000, v134
	v_and_b32_e32 v134, 0x1f00, v133
	v_lshlrev_b16 v133, 8, v133
	v_or3_b32 v136, v136, v137, v138
	v_and_b32_e32 v137, 0x1f00, v139
	v_add_nc_u16 v130, 0xf000, v130
	v_add_nc_u16 v135, 0xf000, v135
	;; [unrolled: 1-line block ×4, first 2 shown]
	v_lshrrev_b32_e32 v136, 16, v136
	v_or_b32_sdwa v130, v137, v130 dst_sel:DWORD dst_unused:UNUSED_PAD src0_sel:DWORD src1_sel:BYTE_1
	v_perm_b32 v129, v129, v135, 0xc0c0105
	s_waitcnt vmcnt(10)
	v_ashrrev_i32_e32 v124, v13, v124
	v_perm_b32 v133, v133, v134, 0xc0c0105
	v_and_b32_e32 v138, 0x1f00, v136
	v_lshlrev_b16 v136, 8, v136
	v_add_nc_u16 v130, 0xf000, v130
	ds_write2_b32 v19, v132, v131 offset1:1
	v_lshl_or_b32 v131, v133, 16, v129
	v_lshlrev_b32_e32 v129, 18, v124
	v_add_nc_u16 v134, 0xf000, v138
	v_add_nc_u16 v135, 0xf000, v136
	v_and_b32_e32 v133, 0xffff, v130
	v_lshlrev_b32_e32 v130, 25, v124
	v_and_b32_e32 v137, 0x100000, v129
	v_add_co_u32 v129, s1, v97, s12
	v_perm_b32 v132, v135, v134, 0xc0c0105
	v_and_b32_e32 v134, 0xf0f0f0f, v123
	v_lshlrev_b32_e32 v135, 4, v124
	v_lshlrev_b32_e32 v136, 11, v124
	v_and_b32_e32 v138, 0x10000000, v130
	v_add_co_ci_u32_e64 v130, null, s18, v98, s1
	v_lshl_or_b32 v132, v132, 16, v133
	v_and_b32_e32 v133, 16, v135
	v_and_b32_e32 v135, 0x1000, v136
	v_or3_b32 v136, v134, v137, v138
	global_load_dword v137, v[129:130], off
	v_add_co_u32 v129, s1, v95, s12
	v_add_co_ci_u32_e64 v130, null, s18, v96, s1
	ds_write2_b32 v20, v131, v132 offset1:1
	v_or3_b32 v131, v133, v134, v135
	v_lshrrev_b32_e32 v132, 16, v136
	global_load_dword v129, v[129:130], off
	v_lshrrev_b32_e32 v123, 4, v123
	v_lshlrev_b32_e32 v130, 2, v124
	v_lshlrev_b32_e32 v133, 9, v124
	v_and_b32_e32 v135, 0x1f00, v132
	v_lshlrev_b16 v132, 8, v132
	v_and_b32_e32 v123, 0xf0f0f0f, v123
	v_and_b32_e32 v130, 0x100000, v130
	;; [unrolled: 1-line block ×4, first 2 shown]
	v_lshlrev_b16 v131, 8, v131
	v_add_nc_u16 v132, 0xf000, v132
	s_waitcnt vmcnt(11)
	v_and_b32_e32 v136, 0xf0f0f0f, v121
	v_or3_b32 v130, v123, v130, v133
	v_add_nc_u16 v133, 0xf000, v135
	v_lshrrev_b32_e32 v135, 12, v124
	v_lshrrev_b32_e32 v124, 5, v124
	v_add_nc_u16 v134, 0xf000, v134
	v_add_nc_u16 v131, 0xf000, v131
	v_lshrrev_b32_e32 v130, 16, v130
	v_perm_b32 v132, v132, v133, 0xc0c0105
	v_and_b32_e32 v133, 16, v135
	v_and_b32_e32 v124, 0x1000, v124
	v_perm_b32 v131, v131, v134, 0xc0c0105
	s_waitcnt vmcnt(10)
	v_ashrrev_i32_e32 v135, v13, v122
	v_and_b32_e32 v134, 0x1f00, v130
	v_lshrrev_b32_e32 v121, 4, v121
	v_or3_b32 v122, v133, v123, v124
	v_lshl_or_b32 v131, v132, 16, v131
	v_lshlrev_b32_e32 v123, 4, v135
	v_lshlrev_b32_e32 v132, 11, v135
	v_add_nc_u16 v124, 0xf000, v134
	v_and_b32_e32 v133, 0x1f00, v122
	v_lshlrev_b16 v134, 8, v122
	v_add_co_u32 v122, s1, v101, s12
	v_and_b32_e32 v138, 16, v123
	v_and_b32_e32 v132, 0x1000, v132
	v_lshlrev_b32_e32 v139, 18, v135
	v_lshlrev_b32_e32 v140, 25, v135
	v_add_co_ci_u32_e64 v123, null, s18, v102, s1
	v_or3_b32 v132, v138, v136, v132
	v_and_b32_e32 v138, 0x100000, v139
	v_and_b32_e32 v139, 0x10000000, v140
	global_load_dword v140, v[122:123], off
	v_add_nc_u16 v134, 0xf000, v134
	v_add_co_u32 v122, s1, v99, s12
	v_add_co_ci_u32_e64 v123, null, s18, v100, s1
	v_or_b32_sdwa v133, v133, v134 dst_sel:DWORD dst_unused:UNUSED_PAD src0_sel:DWORD src1_sel:BYTE_1
	v_or3_b32 v134, v136, v138, v139
	v_lshrrev_b32_e32 v138, 12, v135
	global_load_dword v136, v[122:123], off
	v_and_b32_e32 v121, 0xf0f0f0f, v121
	v_add_nc_u16 v122, 0xf000, v133
	v_lshrrev_b32_e32 v123, 16, v134
	v_lshlrev_b32_e32 v133, 2, v135
	v_lshlrev_b32_e32 v134, 9, v135
	v_lshrrev_b32_e32 v135, 5, v135
	v_and_b32_e32 v138, 16, v138
	v_and_b32_e32 v139, 0x1f00, v123
	;; [unrolled: 1-line block ×5, first 2 shown]
	v_lshlrev_b16 v123, 8, v123
	v_lshlrev_b16 v130, 8, v130
	s_waitcnt vmcnt(10)
	v_ashrrev_i32_e32 v4, v13, v4
	v_or3_b32 v133, v121, v133, v134
	v_or3_b32 v121, v138, v121, v135
	v_add_nc_u16 v134, 0xf000, v139
	v_add_nc_u16 v123, 0xf000, v123
	v_and_b32_e32 v135, 0xffff, v122
	v_add_nc_u16 v130, 0xf000, v130
	v_lshlrev_b16 v122, 8, v121
	v_lshrrev_b32_e32 v133, 16, v133
	v_perm_b32 v123, v123, v134, 0xc0c0105
	v_and_b32_e32 v134, 0x1f00, v121
	v_add_co_u32 v121, s1, v106, s12
	v_add_nc_u16 v138, 0xf000, v122
	v_add_co_ci_u32_e64 v122, null, s18, v107, s1
	v_perm_b32 v124, v130, v124, 0xc0c0105
	v_and_b32_e32 v130, 0x1f00, v132
	v_or_b32_sdwa v134, v134, v138 dst_sel:DWORD dst_unused:UNUSED_PAD src0_sel:DWORD src1_sel:BYTE_1
	global_load_dword v138, v[121:122], off
	v_add_co_u32 v121, s1, v103, s12
	v_lshlrev_b16 v132, 8, v132
	v_add_co_ci_u32_e64 v122, null, s18, v104, s1
	v_add_nc_u16 v130, 0xf000, v130
	v_lshlrev_b32_e32 v139, 4, v4
	v_add_nc_u16 v132, 0xf000, v132
	global_load_dword v143, v[121:122], off
	v_lshlrev_b32_e32 v141, 11, v4
	v_add_nc_u16 v134, 0xf000, v134
	v_lshlrev_b32_e32 v142, 18, v4
	v_perm_b32 v130, v132, v130, 0xc0c0105
	v_and_b32_e32 v132, 0x1f00, v133
	v_lshlrev_b16 v133, 8, v133
	v_lshlrev_b32_e32 v121, 25, v4
	v_and_b32_e32 v122, 0xf0f0f0f, v3
	v_and_b32_e32 v139, 16, v139
	v_add_nc_u16 v132, 0xf000, v132
	v_add_nc_u16 v133, 0xf000, v133
	v_and_b32_e32 v141, 0x1000, v141
	v_and_b32_e32 v142, 0x100000, v142
	;; [unrolled: 1-line block ×3, first 2 shown]
	v_lshl_or_b32 v124, v124, 16, v135
	v_perm_b32 v132, v133, v132, 0xc0c0105
	v_and_b32_e32 v133, 0xffff, v134
	v_or3_b32 v134, v139, v122, v141
	v_or3_b32 v121, v122, v142, v121
	v_lshl_or_b32 v122, v123, 16, v130
	v_lshrrev_b32_e32 v3, 4, v3
	v_lshl_or_b32 v123, v132, 16, v133
	v_lshlrev_b16 v132, 8, v134
	ds_write2_b32 v21, v131, v124 offset1:1
	ds_write2_b32 v22, v122, v123 offset1:1
	v_lshrrev_b32_e32 v123, 12, v4
	v_add_nc_u16 v131, 0xf000, v132
	v_lshrrev_b32_e32 v124, 5, v4
	v_lshlrev_b32_e32 v132, 2, v4
	v_lshlrev_b32_e32 v4, 9, v4
	v_lshrrev_b32_e32 v121, 16, v121
	v_and_b32_e32 v133, 0xf0f0f0f, v3
	v_add_co_u32 v3, s1, v108, s12
	v_and_b32_e32 v130, 0x1f00, v134
	v_and_b32_e32 v123, 16, v123
	;; [unrolled: 1-line block ×5, first 2 shown]
	v_add_co_ci_u32_e64 v4, null, s18, v109, s1
	v_and_b32_e32 v122, 0x1f00, v121
	v_lshlrev_b16 v121, 8, v121
	v_or3_b32 v141, v123, v133, v124
	v_or3_b32 v132, v133, v132, v134
	global_load_ushort v133, v[3:4], off
	v_add_co_u32 v3, s1, v111, s12
	v_add_nc_u16 v139, 0xf000, v121
	v_add_co_ci_u32_e64 v4, null, s18, v112, s1
	v_add_co_u32 v121, s1, v113, s12
	v_add_nc_u16 v135, 0xf000, v122
	v_add_co_ci_u32_e64 v122, null, s18, v114, s1
	v_add_co_u32 v123, s1, v115, s12
	v_add_co_ci_u32_e64 v124, null, s18, v116, s1
	global_load_ushort v3, v[3:4], off
	global_load_ushort v4, v[121:122], off
	;; [unrolled: 1-line block ×3, first 2 shown]
	v_add_nc_u16 v130, 0xf000, v130
	s_waitcnt vmcnt(14)
	v_ashrrev_i32_e32 v2, v13, v2
	v_lshlrev_b16 v123, 8, v141
	v_perm_b32 v124, v139, v135, 0xc0c0105
	v_lshrrev_b32_e32 v132, 16, v132
	v_perm_b32 v122, v131, v130, 0xc0c0105
	v_lshlrev_b32_e32 v131, 4, v2
	v_lshlrev_b32_e32 v135, 11, v2
	v_and_b32_e32 v134, 0x1f00, v141
	v_add_nc_u16 v123, 0xf000, v123
	v_and_b32_e32 v139, 0xf0f0f0f, v1
	v_and_b32_e32 v131, 16, v131
	v_lshlrev_b32_e32 v141, 18, v2
	v_lshlrev_b32_e32 v142, 25, v2
	v_and_b32_e32 v135, 0x1000, v135
	v_and_b32_e32 v130, 0x1f00, v132
	v_lshlrev_b16 v132, 8, v132
	v_or_b32_sdwa v123, v134, v123 dst_sel:DWORD dst_unused:UNUSED_PAD src0_sel:DWORD src1_sel:BYTE_1
	v_and_b32_e32 v134, 0x100000, v141
	v_and_b32_e32 v141, 0x10000000, v142
	v_or3_b32 v131, v131, v139, v135
	v_add_nc_u16 v130, 0xf000, v130
	v_add_nc_u16 v132, 0xf000, v132
	v_lshl_or_b32 v122, v124, 16, v122
	v_or3_b32 v134, v139, v134, v141
	v_and_b32_e32 v135, 0x1f00, v131
	v_lshrrev_b32_e32 v1, 4, v1
	v_perm_b32 v124, v132, v130, 0xc0c0105
	v_lshlrev_b32_e32 v139, 2, v2
	v_lshrrev_b32_e32 v130, 16, v134
	v_add_nc_u16 v132, 0xf000, v135
	v_lshrrev_b32_e32 v134, 12, v2
	v_lshrrev_b32_e32 v135, 5, v2
	v_lshlrev_b32_e32 v2, 9, v2
	v_add_nc_u16 v123, 0xf000, v123
	v_and_b32_e32 v1, 0xf0f0f0f, v1
	v_and_b32_e32 v134, 16, v134
	;; [unrolled: 1-line block ×6, first 2 shown]
	v_lshlrev_b16 v131, 8, v131
	v_and_b32_e32 v141, 0x1f00, v130
	v_lshlrev_b16 v130, 8, v130
	v_or3_b32 v134, v134, v1, v135
	v_or3_b32 v1, v1, v139, v2
	v_add_nc_u16 v131, 0xf000, v131
	v_add_nc_u16 v2, 0xf000, v141
	;; [unrolled: 1-line block ×3, first 2 shown]
	v_lshl_or_b32 v123, v124, 16, v123
	v_lshlrev_b16 v124, 8, v134
	v_lshrrev_b32_e32 v1, 16, v1
	v_perm_b32 v131, v131, v132, 0xc0c0105
	v_perm_b32 v2, v130, v2, 0xc0c0105
	v_and_b32_e32 v130, 0x1f00, v134
	v_add_nc_u16 v124, 0xf000, v124
	v_and_b32_e32 v132, 0x1f00, v1
	s_waitcnt vmcnt(13)
	v_ashrrev_i32_e32 v128, v13, v128
	v_lshlrev_b16 v1, 8, v1
	v_lshl_or_b32 v2, v2, 16, v131
	v_or_b32_sdwa v124, v130, v124 dst_sel:DWORD dst_unused:UNUSED_PAD src0_sel:DWORD src1_sel:BYTE_1
	v_add_nc_u16 v130, 0xf000, v132
	v_lshlrev_b32_e32 v131, 4, v128
	v_lshlrev_b32_e32 v132, 11, v128
	v_add_nc_u16 v1, 0xf000, v1
	s_waitcnt vmcnt(12)
	v_and_b32_e32 v134, 0xf0f0f0f, v127
	v_lshlrev_b32_e32 v135, 25, v128
	v_and_b32_e32 v131, 16, v131
	v_and_b32_e32 v132, 0x1000, v132
	v_perm_b32 v1, v1, v130, 0xc0c0105
	v_lshlrev_b32_e32 v130, 18, v128
	v_lshrrev_b32_e32 v127, 4, v127
	v_lshlrev_b32_e32 v139, 9, v128
	v_or3_b32 v131, v131, v134, v132
	v_and_b32_e32 v132, 0x10000000, v135
	v_lshlrev_b32_e32 v135, 2, v128
	v_and_b32_e32 v130, 0x100000, v130
	v_lshrrev_b32_e32 v141, 12, v128
	v_lshrrev_b32_e32 v128, 5, v128
	v_and_b32_e32 v127, 0xf0f0f0f, v127
	v_and_b32_e32 v135, 0x100000, v135
	v_and_b32_e32 v139, 0x10000000, v139
	v_or3_b32 v130, v134, v130, v132
	v_and_b32_e32 v132, 16, v141
	v_and_b32_e32 v128, 0x1000, v128
	;; [unrolled: 1-line block ×3, first 2 shown]
	v_or3_b32 v135, v127, v135, v139
	v_lshrrev_b32_e32 v130, 16, v130
	v_lshlrev_b16 v131, 8, v131
	v_or3_b32 v127, v132, v127, v128
	v_add_nc_u16 v128, 0xf000, v134
	v_lshrrev_b32_e32 v132, 16, v135
	v_and_b32_e32 v134, 0x1f00, v130
	v_lshlrev_b16 v130, 8, v130
	v_lshlrev_b16 v135, 8, v127
	v_and_b32_e32 v127, 0x1f00, v127
	v_and_b32_e32 v139, 0x1f00, v132
	v_lshlrev_b16 v132, 8, v132
	v_add_nc_u16 v131, 0xf000, v131
	v_add_nc_u16 v135, 0xf000, v135
	v_add_nc_u16 v134, 0xf000, v134
	v_add_nc_u16 v130, 0xf000, v130
	v_add_nc_u16 v139, 0xf000, v139
	v_add_nc_u16 v132, 0xf000, v132
	v_or_b32_sdwa v127, v127, v135 dst_sel:DWORD dst_unused:UNUSED_PAD src0_sel:DWORD src1_sel:BYTE_1
	v_add_nc_u16 v124, 0xf000, v124
	v_perm_b32 v128, v131, v128, 0xc0c0105
	v_perm_b32 v130, v130, v134, 0xc0c0105
	;; [unrolled: 1-line block ×3, first 2 shown]
	v_add_nc_u16 v127, 0xf000, v127
	s_waitcnt vmcnt(11)
	v_ashrrev_i32_e32 v126, v13, v126
	v_and_b32_e32 v124, 0xffff, v124
	s_waitcnt vmcnt(10)
	v_and_b32_e32 v135, 0xf0f0f0f, v125
	v_lshl_or_b32 v128, v130, 16, v128
	v_and_b32_e32 v127, 0xffff, v127
	v_lshlrev_b32_e32 v132, 4, v126
	v_lshlrev_b32_e32 v134, 11, v126
	;; [unrolled: 1-line block ×4, first 2 shown]
	v_lshl_or_b32 v1, v1, 16, v124
	v_and_b32_e32 v132, 16, v132
	v_and_b32_e32 v134, 0x1000, v134
	;; [unrolled: 1-line block ×4, first 2 shown]
	v_lshl_or_b32 v127, v131, 16, v127
	ds_write2_b32 v23, v122, v123 offset1:1
	v_or3_b32 v124, v132, v135, v134
	ds_write2_b32 v24, v2, v1 offset1:1
	ds_write2_b32 v25, v128, v127 offset1:1
	v_or3_b32 v130, v135, v139, v141
	v_lshrrev_b32_e32 v2, 4, v125
	v_and_b32_e32 v122, 0x1f00, v124
	v_lshlrev_b16 v123, 8, v124
	v_lshlrev_b32_e32 v124, 2, v126
	v_lshlrev_b32_e32 v125, 9, v126
	v_lshrrev_b32_e32 v127, 12, v126
	v_lshrrev_b32_e32 v126, 5, v126
	;; [unrolled: 1-line block ×3, first 2 shown]
	v_and_b32_e32 v2, 0xf0f0f0f, v2
	v_and_b32_e32 v124, 0x100000, v124
	v_and_b32_e32 v125, 0x10000000, v125
	v_and_b32_e32 v127, 16, v127
	v_and_b32_e32 v126, 0x1000, v126
	v_add_nc_u16 v122, 0xf000, v122
	v_and_b32_e32 v128, 0x1f00, v1
	v_or3_b32 v124, v2, v124, v125
	v_add_nc_u16 v123, 0xf000, v123
	v_or3_b32 v2, v127, v2, v126
	v_lshlrev_b16 v1, 8, v1
	v_add_nc_u16 v125, 0xf000, v128
	v_lshrrev_b32_e32 v124, 16, v124
	s_waitcnt vmcnt(9)
	v_ashrrev_i32_e32 v126, v13, v137
	v_perm_b32 v122, v123, v122, 0xc0c0105
	v_lshlrev_b16 v123, 8, v2
	v_add_nc_u16 v1, 0xf000, v1
	v_and_b32_e32 v2, 0x1f00, v2
	v_lshlrev_b32_e32 v127, 4, v126
	v_lshlrev_b32_e32 v128, 11, v126
	v_add_nc_u16 v123, 0xf000, v123
	s_waitcnt vmcnt(8)
	v_and_b32_e32 v130, 0xf0f0f0f, v129
	v_lshlrev_b32_e32 v131, 18, v126
	v_and_b32_e32 v127, 16, v127
	v_lshlrev_b32_e32 v132, 25, v126
	v_and_b32_e32 v128, 0x1000, v128
	v_perm_b32 v1, v1, v125, 0xc0c0105
	v_and_b32_e32 v125, 0x1f00, v124
	v_lshlrev_b16 v124, 8, v124
	v_or_b32_sdwa v2, v2, v123 dst_sel:DWORD dst_unused:UNUSED_PAD src0_sel:DWORD src1_sel:BYTE_1
	v_and_b32_e32 v123, 0x100000, v131
	v_and_b32_e32 v131, 0x10000000, v132
	v_or3_b32 v127, v127, v130, v128
	v_add_nc_u16 v125, 0xf000, v125
	v_add_nc_u16 v124, 0xf000, v124
	v_lshl_or_b32 v1, v1, 16, v122
	v_or3_b32 v123, v130, v123, v131
	v_and_b32_e32 v128, 0x1f00, v127
	v_lshlrev_b32_e32 v130, 2, v126
	v_perm_b32 v122, v124, v125, 0xc0c0105
	v_lshlrev_b16 v125, 8, v127
	v_lshrrev_b32_e32 v123, 16, v123
	v_add_nc_u16 v124, 0xf000, v128
	v_lshrrev_b32_e32 v127, 4, v129
	v_lshrrev_b32_e32 v128, 12, v126
	;; [unrolled: 1-line block ×3, first 2 shown]
	v_lshlrev_b32_e32 v126, 9, v126
	v_add_nc_u16 v2, 0xf000, v2
	v_and_b32_e32 v127, 0xf0f0f0f, v127
	v_and_b32_e32 v128, 16, v128
	;; [unrolled: 1-line block ×6, first 2 shown]
	v_lshlrev_b16 v123, 8, v123
	v_and_b32_e32 v2, 0xffff, v2
	v_add_nc_u16 v125, 0xf000, v125
	v_or3_b32 v128, v128, v127, v129
	v_or3_b32 v126, v127, v130, v126
	v_add_nc_u16 v127, 0xf000, v131
	v_add_nc_u16 v123, 0xf000, v123
	v_lshl_or_b32 v2, v122, 16, v2
	v_lshlrev_b16 v122, 8, v128
	v_lshrrev_b32_e32 v126, 16, v126
	v_perm_b32 v124, v125, v124, 0xc0c0105
	v_perm_b32 v123, v123, v127, 0xc0c0105
	v_and_b32_e32 v125, 0x1f00, v128
	v_add_nc_u16 v122, 0xf000, v122
	v_and_b32_e32 v127, 0x1f00, v126
	s_waitcnt vmcnt(7)
	v_ashrrev_i32_e32 v128, v13, v140
	v_lshl_or_b32 v123, v123, 16, v124
	v_lshlrev_b16 v124, 8, v126
	v_or_b32_sdwa v122, v125, v122 dst_sel:DWORD dst_unused:UNUSED_PAD src0_sel:DWORD src1_sel:BYTE_1
	v_add_nc_u16 v125, 0xf000, v127
	v_lshlrev_b32_e32 v126, 4, v128
	v_lshlrev_b32_e32 v127, 11, v128
	v_add_nc_u16 v124, 0xf000, v124
	s_waitcnt vmcnt(6)
	v_and_b32_e32 v129, 0xf0f0f0f, v136
	v_lshlrev_b32_e32 v130, 25, v128
	v_and_b32_e32 v126, 16, v126
	v_and_b32_e32 v127, 0x1000, v127
	v_perm_b32 v124, v124, v125, 0xc0c0105
	v_lshlrev_b32_e32 v125, 18, v128
	v_and_b32_e32 v130, 0x10000000, v130
	v_lshlrev_b32_e32 v131, 2, v128
	v_or3_b32 v126, v126, v129, v127
	v_lshrrev_b32_e32 v127, 4, v136
	v_and_b32_e32 v125, 0x100000, v125
	v_lshlrev_b32_e32 v132, 9, v128
	v_lshrrev_b32_e32 v134, 12, v128
	v_lshrrev_b32_e32 v128, 5, v128
	v_and_b32_e32 v127, 0xf0f0f0f, v127
	v_and_b32_e32 v131, 0x100000, v131
	;; [unrolled: 1-line block ×3, first 2 shown]
	v_or3_b32 v125, v129, v125, v130
	v_and_b32_e32 v129, 16, v134
	v_and_b32_e32 v128, 0x1000, v128
	;; [unrolled: 1-line block ×3, first 2 shown]
	v_or3_b32 v131, v127, v131, v132
	v_lshrrev_b32_e32 v125, 16, v125
	v_lshlrev_b16 v126, 8, v126
	v_or3_b32 v127, v129, v127, v128
	v_add_nc_u16 v128, 0xf000, v130
	v_lshrrev_b32_e32 v129, 16, v131
	v_and_b32_e32 v130, 0x1f00, v125
	v_lshlrev_b16 v125, 8, v125
	v_lshlrev_b16 v131, 8, v127
	v_and_b32_e32 v127, 0x1f00, v127
	v_and_b32_e32 v132, 0x1f00, v129
	v_lshlrev_b16 v129, 8, v129
	v_add_nc_u16 v126, 0xf000, v126
	v_add_nc_u16 v131, 0xf000, v131
	;; [unrolled: 1-line block ×6, first 2 shown]
	v_or_b32_sdwa v127, v127, v131 dst_sel:DWORD dst_unused:UNUSED_PAD src0_sel:DWORD src1_sel:BYTE_1
	s_waitcnt vmcnt(5)
	v_ashrrev_i32_e32 v131, v13, v138
	v_perm_b32 v126, v126, v128, 0xc0c0105
	v_perm_b32 v125, v125, v130, 0xc0c0105
	;; [unrolled: 1-line block ×3, first 2 shown]
	s_waitcnt vmcnt(4)
	v_lshrrev_b32_e32 v136, 4, v143
	v_lshlrev_b32_e32 v129, 4, v131
	v_lshlrev_b32_e32 v130, 11, v131
	;; [unrolled: 1-line block ×4, first 2 shown]
	v_lshrrev_b32_e32 v137, 12, v131
	v_lshrrev_b32_e32 v138, 5, v131
	v_and_b32_e32 v132, 0xf0f0f0f, v143
	v_and_b32_e32 v129, 16, v129
	;; [unrolled: 1-line block ×6, first 2 shown]
	v_lshlrev_b32_e32 v139, 2, v131
	v_lshlrev_b32_e32 v131, 9, v131
	v_and_b32_e32 v137, 16, v137
	v_and_b32_e32 v138, 0x1000, v138
	v_or3_b32 v129, v129, v132, v130
	v_and_b32_e32 v130, 0x100000, v139
	v_and_b32_e32 v131, 0x10000000, v131
	v_or3_b32 v132, v132, v134, v135
	v_or3_b32 v134, v137, v136, v138
	v_and_b32_e32 v135, 0x1f00, v129
	v_lshlrev_b16 v129, 8, v129
	v_or3_b32 v130, v136, v130, v131
	v_lshrrev_b32_e32 v131, 16, v132
	v_lshlrev_b16 v132, 8, v134
	v_and_b32_e32 v134, 0x1f00, v134
	v_add_nc_u16 v122, 0xf000, v122
	v_lshrrev_b32_e32 v130, 16, v130
	v_and_b32_e32 v136, 0x1f00, v131
	v_add_nc_u16 v132, 0xf000, v132
	v_lshlrev_b16 v131, 8, v131
	v_add_nc_u16 v127, 0xf000, v127
	v_and_b32_e32 v137, 0x1f00, v130
	v_lshlrev_b16 v130, 8, v130
	v_or_b32_sdwa v132, v134, v132 dst_sel:DWORD dst_unused:UNUSED_PAD src0_sel:DWORD src1_sel:BYTE_1
	v_add_nc_u16 v135, 0xf000, v135
	v_add_nc_u16 v129, 0xf000, v129
	v_add_nc_u16 v134, 0xf000, v136
	v_add_nc_u16 v131, 0xf000, v131
	v_add_nc_u16 v136, 0xf000, v137
	v_add_nc_u16 v130, 0xf000, v130
	v_add_nc_u16 v132, 0xf000, v132
	v_and_b32_e32 v122, 0xffff, v122
	v_and_b32_e32 v127, 0xffff, v127
	v_perm_b32 v129, v129, v135, 0xc0c0105
	v_perm_b32 v131, v131, v134, 0xc0c0105
	;; [unrolled: 1-line block ×3, first 2 shown]
	v_and_b32_e32 v132, 0xffff, v132
	v_lshl_or_b32 v122, v124, 16, v122
	ds_write2_b32 v26, v1, v2 offset1:1
	s_waitcnt vmcnt(3)
	v_cvt_f32_f16_e32 v1, v133
	v_lshl_or_b32 v124, v125, 16, v126
	v_lshl_or_b32 v125, v128, 16, v127
	;; [unrolled: 1-line block ×4, first 2 shown]
	ds_write2_b32 v27, v123, v122 offset1:1
	ds_write2_b32 v28, v124, v125 offset1:1
	;; [unrolled: 1-line block ×3, first 2 shown]
	s_waitcnt vmcnt(2)
	v_cvt_f32_f16_e32 v2, v3
	ds_write_b32 v117, v1
	s_waitcnt vmcnt(1)
	v_cvt_f32_f16_e32 v1, v4
	s_waitcnt vmcnt(0)
	v_cvt_f32_f16_e32 v3, v121
	s_add_i32 s1, s14, 0xffffff80
	ds_write_b32 v118, v2
	s_cmp_lt_i32 s1, s13
	ds_write_b32 v119, v1
	ds_write_b32 v120, v3
	s_cbranch_scc0 .LBB201_5
; %bb.7:                                ;   in Loop: Header=BB201_6 Depth=1
	v_add_nc_u32_e32 v1, s4, v12
	v_cmp_gt_i32_e64 s1, s9, v1
	s_and_b32 s15, s0, s1
	s_and_saveexec_b32 s1, s15
	s_cbranch_execz .LBB201_9
; %bb.8:                                ;   in Loop: Header=BB201_6 Depth=1
	v_add_nc_u32_e32 v1, s4, v41
	v_mad_i64_i32 v[1:2], null, v1, 36, v[5:6]
	global_load_dword v1, v[1:2], off offset:4
	s_waitcnt vmcnt(0)
	ds_write_b32 v31, v1
.LBB201_9:                              ;   in Loop: Header=BB201_6 Depth=1
	s_or_b32 exec_lo, exec_lo, s1
	v_add_nc_u32_e32 v121, s4, v0
	v_cmp_gt_i32_e64 s1, s9, v121
	s_and_b32 s15, s5, s1
	s_and_saveexec_b32 s1, s15
	s_cbranch_execz .LBB201_11
; %bb.10:                               ;   in Loop: Header=BB201_6 Depth=1
	v_add_nc_u32_e32 v1, s4, v42
	v_mad_i64_i32 v[1:2], null, v1, 36, s[6:7]
	global_load_dword v1, v[1:2], off
	s_waitcnt vmcnt(0)
	v_cvt_f32_f16_e32 v1, v1
	ds_write_b32 v33, v1
.LBB201_11:                             ;   in Loop: Header=BB201_6 Depth=1
	s_or_b32 exec_lo, exec_lo, s1
	s_waitcnt lgkmcnt(0)
	s_barrier
	buffer_gl0_inv
	ds_read_b128 v[122:125], v30
	ds_read2_b32 v[130:131], v34 offset1:1
	v_add_nc_u32_e32 v1, 0x2080, v34
	ds_read_b128 v[126:129], v30 offset:16
	ds_read2_b32 v[132:133], v1 offset1:1
	ds_read_b128 v[1:4], v32
	ds_read2_b32 v[134:135], v34 offset0:2 offset1:3
	v_add_nc_u32_e32 v138, 0x2088, v34
	ds_read2_b32 v[136:137], v34 offset0:4 offset1:5
	v_mov_b32_e32 v168, 0
	v_add_nc_u32_e32 v140, 0x4100, v34
	v_mov_b32_e32 v169, 0
	ds_read2_b32 v[138:139], v138 offset1:1
	v_add_nc_u32_e32 v142, 0x2090, v34
	v_add_nc_u32_e32 v144, 0x2098, v34
	ds_read2_b32 v[140:141], v140 offset1:1
	ds_read2_b32 v[142:143], v142 offset1:1
	;; [unrolled: 1-line block ×4, first 2 shown]
	ds_read2_b32 v[148:149], v38 offset0:2 offset1:3
	ds_read2_b32 v[150:151], v34 offset0:6 offset1:7
	;; [unrolled: 1-line block ×3, first 2 shown]
	v_mov_b32_e32 v170, 0
	s_waitcnt lgkmcnt(13)
	v_dot4c_i32_i8 v168, v130, v122
	v_add_nc_u32_e32 v130, 0x4108, v34
	v_mov_b32_e32 v174, 0
	s_waitcnt lgkmcnt(11)
	v_dot4c_i32_i8 v169, v132, v122
	v_add_nc_u32_e32 v132, 0x4118, v34
	v_dot4c_i32_i8 v168, v131, v126
	ds_read2_b32 v[154:155], v130 offset1:1
	v_add_nc_u32_e32 v130, 0x6180, v34
	v_dot4c_i32_i8 v169, v133, v126
	v_add_nc_u32_e32 v131, 0x4110, v34
	s_waitcnt lgkmcnt(10)
	v_dot4c_i32_i8 v168, v134, v123
	v_add_nc_u32_e32 v160, 0x20a0, v34
	v_mov_b32_e32 v175, 0
	s_waitcnt lgkmcnt(8)
	v_dot4c_i32_i8 v169, v138, v123
	s_waitcnt lgkmcnt(7)
	v_dot4c_i32_i8 v170, v140, v122
	v_dot4c_i32_i8 v168, v135, v127
	v_add_nc_u32_e32 v140, 0x6188, v34
	v_add_nc_u32_e32 v172, 0x61a0, v34
	v_dot4c_i32_i8 v169, v139, v127
	ds_read2_b32 v[138:139], v130 offset1:1
	ds_read2_b32 v[156:157], v131 offset1:1
	;; [unrolled: 1-line block ×3, first 2 shown]
	v_dot4c_i32_i8 v168, v136, v124
	v_dot4c_i32_i8 v170, v141, v126
	v_mov_b32_e32 v176, 0
	s_waitcnt lgkmcnt(9)
	v_dot4c_i32_i8 v169, v142, v124
	v_mov_b32_e32 v177, 0
	v_dot4c_i32_i8 v168, v137, v128
	ds_read_b128 v[130:133], v30 offset:32
	ds_read_b128 v[134:137], v30 offset:48
	ds_read2_b32 v[140:141], v140 offset1:1
	s_waitcnt lgkmcnt(6)
	v_dot4c_i32_i8 v170, v154, v123
	v_dot4c_i32_i8 v169, v143, v128
	;; [unrolled: 1-line block ×3, first 2 shown]
	ds_read2_b32 v[142:143], v35 offset1:1
	v_mov_b32_e32 v178, 0
	v_dot4c_i32_i8 v170, v155, v127
	v_dot4c_i32_i8 v169, v144, v125
	v_add_nc_u32_e32 v144, 0x6198, v34
	v_dot4c_i32_i8 v168, v151, v129
	s_waitcnt lgkmcnt(6)
	v_dot4c_i32_i8 v174, v138, v122
	v_add_nc_u32_e32 v122, 0x6190, v34
	s_waitcnt lgkmcnt(5)
	v_dot4c_i32_i8 v170, v156, v124
	ds_read2_b32 v[150:151], v36 offset1:1
	ds_read2_b32 v[154:155], v37 offset1:1
	v_dot4c_i32_i8 v169, v145, v129
	v_dot4c_i32_i8 v174, v139, v126
	ds_read2_b32 v[138:139], v122 offset1:1
	v_dot4c_i32_i8 v170, v157, v128
	ds_read2_b32 v[156:157], v144 offset1:1
	ds_read2_b32 v[160:161], v160 offset1:1
	ds_read2_b32 v[162:163], v34 offset0:26 offset1:27
	ds_read2_b32 v[164:165], v34 offset0:28 offset1:29
	;; [unrolled: 1-line block ×3, first 2 shown]
	s_waitcnt lgkmcnt(9)
	v_dot4c_i32_i8 v174, v140, v123
	v_dot4c_i32_i8 v175, v152, v130
	;; [unrolled: 1-line block ×3, first 2 shown]
	v_cvt_f32_i32_e32 v168, v168
	s_waitcnt lgkmcnt(8)
	v_mul_f32_e32 v142, v1, v142
	v_dot4c_i32_i8 v174, v141, v127
	ds_read2_b32 v[122:123], v34 offset0:10 offset1:11
	ds_read2_b32 v[140:141], v36 offset0:2 offset1:3
	;; [unrolled: 1-line block ×4, first 2 shown]
	v_dot4c_i32_i8 v175, v153, v134
	v_dot4c_i32_i8 v170, v159, v129
	v_cvt_f32_i32_e32 v158, v169
	v_fmac_f32_e32 v11, v142, v168
	s_waitcnt lgkmcnt(11)
	v_mul_f32_e32 v150, v1, v150
	v_add_nc_u32_e32 v142, 0x20b8, v34
	s_cmp_ge_i32 s14, s13
	s_waitcnt lgkmcnt(9)
	v_dot4c_i32_i8 v174, v138, v124
	v_mul_f32_e32 v124, v1, v154
	v_cvt_f32_i32_e32 v138, v170
	v_fmac_f32_e32 v110, v150, v158
	v_add_nc_u32_e32 v150, 0x4120, v34
	v_dot4c_i32_i8 v174, v139, v128
	v_add_nc_u32_e32 v128, 0x20b0, v34
	v_fmac_f32_e32 v105, v124, v138
	s_waitcnt lgkmcnt(3)
	v_dot4c_i32_i8 v175, v122, v131
	v_add_nc_u32_e32 v122, 0x20a8, v34
	v_dot4c_i32_i8 v174, v156, v125
	ds_read2_b32 v[124:125], v34 offset0:14 offset1:15
	ds_read2_b32 v[138:139], v34 offset0:16 offset1:17
	v_add_nc_u32_e32 v154, 0x4138, v34
	v_dot4c_i32_i8 v175, v123, v135
	ds_read2_b32 v[122:123], v122 offset1:1
	ds_read2_b32 v[152:153], v128 offset1:1
	;; [unrolled: 1-line block ×4, first 2 shown]
	v_mov_b32_e32 v150, 0
	v_add_nc_u32_e32 v142, 0x4130, v34
	v_dot4c_i32_i8 v174, v157, v129
	s_waitcnt lgkmcnt(6)
	v_dot4c_i32_i8 v175, v126, v132
	v_add_nc_u32_e32 v126, 0x4128, v34
	v_dot4c_i32_i8 v150, v160, v130
	ds_read2_b32 v[128:129], v126 offset1:1
	ds_read2_b32 v[156:157], v142 offset1:1
	;; [unrolled: 1-line block ×4, first 2 shown]
	v_dot4c_i32_i8 v150, v161, v134
	v_add_nc_u32_e32 v126, 0x61a8, v34
	v_dot4c_i32_i8 v175, v127, v136
	v_mov_b32_e32 v154, 0
	ds_read2_b32 v[160:161], v37 offset0:2 offset1:3
	v_mul_f32_e32 v1, v1, v146
	s_waitcnt lgkmcnt(8)
	v_dot4c_i32_i8 v150, v122, v131
	ds_read2_b32 v[126:127], v126 offset1:1
	v_add_nc_u32_e32 v122, 0x61b0, v34
	s_waitcnt lgkmcnt(6)
	v_dot4c_i32_i8 v154, v168, v130
	v_cvt_f32_i32_e32 v146, v174
	v_dot4c_i32_i8 v150, v123, v135
	v_mul_f32_e32 v174, v2, v143
	ds_read2_b32 v[142:143], v122 offset1:1
	v_dot4c_i32_i8 v154, v169, v134
	v_dot4c_i32_i8 v175, v124, v133
	;; [unrolled: 1-line block ×3, first 2 shown]
	v_add_nc_u32_e32 v122, 0x61b8, v34
	v_add_nc_u32_e32 v123, 0x20c0, v34
	s_waitcnt lgkmcnt(3)
	v_dot4c_i32_i8 v176, v172, v130
	v_dot4c_i32_i8 v154, v128, v131
	;; [unrolled: 1-line block ×4, first 2 shown]
	ds_read2_b32 v[152:153], v122 offset1:1
	ds_read2_b32 v[168:169], v123 offset1:1
	v_dot4c_i32_i8 v176, v173, v134
	ds_read_b128 v[122:125], v30 offset:64
	v_dot4c_i32_i8 v150, v158, v133
	v_dot4c_i32_i8 v154, v129, v135
	v_cvt_f32_i32_e32 v130, v175
	s_waitcnt lgkmcnt(4)
	v_dot4c_i32_i8 v176, v126, v131
	v_mul_f32_e32 v131, v2, v151
	v_dot4c_i32_i8 v150, v159, v137
	v_dot4c_i32_i8 v154, v156, v132
	v_fmac_f32_e32 v11, v174, v130
	v_dot4c_i32_i8 v176, v127, v135
	ds_read_b128 v[126:129], v30 offset:80
	v_cvt_f32_i32_e32 v134, v150
	v_dot4c_i32_i8 v154, v157, v136
	v_add_nc_u32_e32 v172, 0x4158, v34
	s_waitcnt lgkmcnt(4)
	v_dot4c_i32_i8 v176, v142, v132
	v_add_nc_u32_e32 v132, 0x20c8, v34
	v_fmac_f32_e32 v110, v131, v134
	ds_read2_b32 v[130:131], v34 offset0:18 offset1:19
	v_dot4c_i32_i8 v154, v170, v133
	v_dot4c_i32_i8 v176, v143, v136
	v_mov_b32_e32 v136, 0
	v_add_nc_u32_e32 v134, 0x20d0, v34
	v_add_nc_u32_e32 v142, 0x4140, v34
	v_dot4c_i32_i8 v154, v171, v137
	s_waitcnt lgkmcnt(4)
	v_dot4c_i32_i8 v176, v152, v133
	s_waitcnt lgkmcnt(2)
	v_dot4c_i32_i8 v136, v138, v122
	v_add_nc_u32_e32 v138, 0x20d8, v34
	v_add_nc_u32_e32 v152, 0x4148, v34
	;; [unrolled: 1-line block ×4, first 2 shown]
	s_waitcnt lgkmcnt(1)
	v_dot4c_i32_i8 v136, v139, v126
	ds_read2_b32 v[132:133], v132 offset1:1
	ds_read2_b32 v[134:135], v134 offset1:1
	;; [unrolled: 1-line block ×4, first 2 shown]
	ds_read2_b32 v[150:151], v34 offset0:20 offset1:21
	v_fmac_f32_e32 v9, v1, v146
	v_mul_f32_e32 v1, v2, v155
	v_cvt_f32_i32_e32 v146, v154
	ds_read2_b32 v[154:155], v34 offset0:22 offset1:23
	ds_read2_b32 v[156:157], v34 offset0:24 offset1:25
	ds_read2_b32 v[158:159], v152 offset1:1
	ds_read2_b32 v[170:171], v170 offset1:1
	;; [unrolled: 1-line block ×4, first 2 shown]
	s_waitcnt lgkmcnt(11)
	v_dot4c_i32_i8 v136, v130, v123
	v_dot4c_i32_i8 v176, v153, v137
	v_fmac_f32_e32 v105, v1, v146
	v_add_nc_u32_e32 v1, 0x61c8, v34
	v_mul_f32_e32 v137, v2, v147
	v_dot4c_i32_i8 v177, v168, v122
	v_dot4c_i32_i8 v136, v131, v127
	v_mov_b32_e32 v168, 0
	ds_read2_b32 v[1:2], v1 offset1:1
	v_add_nc_u32_e32 v130, 0x61d0, v34
	v_dot4c_i32_i8 v177, v169, v126
	v_add_nc_u32_e32 v152, 0x4170, v34
	s_waitcnt lgkmcnt(8)
	v_dot4c_i32_i8 v178, v142, v122
	s_waitcnt lgkmcnt(7)
	v_dot4c_i32_i8 v136, v150, v124
	ds_read2_b32 v[130:131], v130 offset1:1
	v_dot4c_i32_i8 v177, v132, v123
	v_add_nc_u32_e32 v132, 0x20e0, v34
	v_dot4c_i32_i8 v178, v143, v126
	s_waitcnt lgkmcnt(2)
	v_dot4c_i32_i8 v168, v174, v122
	v_dot4c_i32_i8 v136, v151, v128
	;; [unrolled: 1-line block ×3, first 2 shown]
	v_add_nc_u32_e32 v122, 0x61d8, v34
	v_dot4c_i32_i8 v178, v158, v123
	v_dot4c_i32_i8 v168, v175, v126
	;; [unrolled: 1-line block ×4, first 2 shown]
	ds_read2_b32 v[142:143], v122 offset1:1
	ds_read2_b32 v[146:147], v132 offset1:1
	v_dot4c_i32_i8 v178, v159, v127
	s_waitcnt lgkmcnt(3)
	v_dot4c_i32_i8 v168, v1, v123
	v_dot4c_i32_i8 v136, v155, v129
	v_cvt_f32_i32_e32 v1, v176
	v_dot4c_i32_i8 v177, v135, v128
	v_dot4c_i32_i8 v178, v170, v124
	;; [unrolled: 1-line block ×3, first 2 shown]
	v_mul_f32_e32 v2, v3, v144
	v_cvt_f32_i32_e32 v122, v136
	v_dot4c_i32_i8 v177, v138, v125
	v_dot4c_i32_i8 v178, v171, v128
	s_waitcnt lgkmcnt(2)
	v_dot4c_i32_i8 v168, v130, v124
	v_fmac_f32_e32 v9, v137, v1
	v_add_nc_u32_e32 v1, 0x20e8, v34
	v_fmac_f32_e32 v11, v2, v122
	v_add_nc_u32_e32 v122, 0x20f0, v34
	v_add_nc_u32_e32 v124, 0x20f8, v34
	v_dot4c_i32_i8 v168, v131, v128
	v_add_nc_u32_e32 v128, 0x4160, v34
	v_add_nc_u32_e32 v144, 0x4168, v34
	;; [unrolled: 1-line block ×4, first 2 shown]
	v_dot4c_i32_i8 v178, v172, v125
	v_dot4c_i32_i8 v177, v139, v129
	ds_read_b128 v[130:133], v30 offset:96
	ds_read_b128 v[134:137], v30 offset:112
	ds_read2_b32 v[1:2], v1 offset1:1
	ds_read2_b32 v[122:123], v122 offset1:1
	;; [unrolled: 1-line block ×8, first 2 shown]
	v_mul_f32_e32 v124, v3, v140
	v_dot4c_i32_i8 v178, v173, v129
	v_cvt_f32_i32_e32 v128, v177
	s_waitcnt lgkmcnt(11)
	v_dot4c_i32_i8 v168, v142, v125
	v_add_nc_u32_e32 v125, 0x61e8, v34
	v_mul_f32_e32 v140, v3, v160
	v_cvt_f32_i32_e32 v144, v178
	v_fmac_f32_e32 v110, v124, v128
	v_mov_b32_e32 v142, 0
	ds_read2_b32 v[124:125], v125 offset1:1
	v_dot4c_i32_i8 v168, v143, v129
	v_fmac_f32_e32 v105, v140, v144
	v_mov_b32_e32 v140, 0
	v_mov_b32_e32 v143, 0
	;; [unrolled: 1-line block ×3, first 2 shown]
	v_add_nc_u32_e32 v128, 0x61f0, v34
	s_waitcnt lgkmcnt(10)
	v_dot4c_i32_i8 v142, v156, v130
	v_dot4c_i32_i8 v140, v146, v130
	s_waitcnt lgkmcnt(5)
	v_dot4c_i32_i8 v143, v138, v130
	s_waitcnt lgkmcnt(1)
	v_dot4c_i32_i8 v144, v158, v130
	ds_read2_b32 v[128:129], v128 offset1:1
	v_dot4c_i32_i8 v142, v157, v134
	v_dot4c_i32_i8 v140, v147, v134
	;; [unrolled: 1-line block ×3, first 2 shown]
	v_add_nc_u32_e32 v130, 0x61f8, v34
	v_dot4c_i32_i8 v144, v159, v134
	v_dot4c_i32_i8 v142, v162, v131
	;; [unrolled: 1-line block ×4, first 2 shown]
	ds_read2_b32 v[138:139], v130 offset1:1
	s_waitcnt lgkmcnt(2)
	v_dot4c_i32_i8 v144, v124, v131
	v_dot4c_i32_i8 v142, v163, v135
	v_dot4c_i32_i8 v140, v2, v135
	v_dot4c_i32_i8 v143, v151, v135
	v_mul_f32_e32 v1, v3, v148
	v_dot4c_i32_i8 v144, v125, v135
	v_dot4c_i32_i8 v142, v164, v132
	;; [unrolled: 1-line block ×4, first 2 shown]
	v_cvt_f32_i32_e32 v2, v168
	s_waitcnt lgkmcnt(1)
	v_dot4c_i32_i8 v144, v128, v132
	v_dot4c_i32_i8 v142, v165, v136
	;; [unrolled: 1-line block ×4, first 2 shown]
	v_fmac_f32_e32 v9, v1, v2
	v_dot4c_i32_i8 v144, v129, v136
	v_dot4c_i32_i8 v142, v166, v133
	;; [unrolled: 1-line block ×4, first 2 shown]
	v_mul_f32_e32 v1, v4, v145
	s_waitcnt lgkmcnt(0)
	v_dot4c_i32_i8 v144, v138, v133
	v_dot4c_i32_i8 v142, v167, v137
	;; [unrolled: 1-line block ×4, first 2 shown]
	v_mul_f32_e32 v3, v4, v141
	v_dot4c_i32_i8 v144, v139, v137
	v_cvt_f32_i32_e32 v2, v142
	v_cvt_f32_i32_e32 v122, v140
	v_mul_f32_e32 v123, v4, v161
	v_cvt_f32_i32_e32 v124, v143
	v_mul_f32_e32 v4, v4, v149
	v_cvt_f32_i32_e32 v125, v144
	v_fmac_f32_e32 v11, v1, v2
	v_fmac_f32_e32 v110, v3, v122
	;; [unrolled: 1-line block ×4, first 2 shown]
	s_barrier
	buffer_gl0_inv
	s_cbranch_scc1 .LBB201_5
; %bb.12:                               ;   in Loop: Header=BB201_6 Depth=1
	v_add_nc_u32_e32 v1, s4, v39
	v_cmp_gt_i32_e64 s1, s9, v1
	s_and_b32 s15, s0, s1
	s_and_saveexec_b32 s1, s15
	s_cbranch_execz .LBB201_14
; %bb.13:                               ;   in Loop: Header=BB201_6 Depth=1
	v_add_nc_u32_e32 v1, s4, v40
	v_mad_i64_i32 v[1:2], null, v1, 36, v[5:6]
	global_load_dword v1, v[1:2], off offset:4
	s_waitcnt vmcnt(0)
	ds_write_b32 v31, v1
.LBB201_14:                             ;   in Loop: Header=BB201_6 Depth=1
	s_or_b32 exec_lo, exec_lo, s1
	s_and_saveexec_b32 s15, vcc_lo
	s_cbranch_execz .LBB201_4
; %bb.15:                               ;   in Loop: Header=BB201_6 Depth=1
	v_add_nc_u32_e32 v1, 4, v121
	v_cmp_gt_i32_e64 s1, s9, v1
	s_and_b32 s1, s0, s1
	s_and_b32 exec_lo, exec_lo, s1
	s_cbranch_execz .LBB201_4
; %bb.16:                               ;   in Loop: Header=BB201_6 Depth=1
	global_load_dword v1, v[7:8], off
	s_waitcnt vmcnt(0)
	v_cvt_f32_f16_e32 v1, v1
	ds_write_b32 v33, v1
	s_branch .LBB201_4
.LBB201_17:
	s_mul_i32 s0, s11, s8
	s_waitcnt vmcnt(0)
	v_cmp_gt_i32_e32 vcc_lo, s0, v10
	s_and_saveexec_b32 s0, vcc_lo
	s_cbranch_execz .LBB201_26
; %bb.18:
	v_add_nc_u32_e32 v1, s16, v0
	v_mul_lo_u32 v0, v10, s10
	s_mov_b32 s0, exec_lo
	v_cmpx_gt_u32_e64 s10, v1
	s_cbranch_execz .LBB201_20
; %bb.19:
	v_add_nc_u32_e32 v2, v0, v1
	v_mov_b32_e32 v3, 0
	v_cvt_f16_f32_e32 v4, v11
	v_lshlrev_b64 v[2:3], 1, v[2:3]
	v_add_co_u32 v2, vcc_lo, s2, v2
	v_add_co_ci_u32_e64 v3, null, s3, v3, vcc_lo
	global_store_short v[2:3], v4, off
.LBB201_20:
	s_or_b32 exec_lo, exec_lo, s0
	v_add_nc_u32_e32 v2, 32, v1
	s_mov_b32 s0, exec_lo
	v_cmpx_gt_u32_e64 s10, v2
	s_cbranch_execz .LBB201_22
; %bb.21:
	v_add_nc_u32_e32 v2, v0, v2
	v_mov_b32_e32 v3, 0
	v_cvt_f16_f32_e32 v4, v110
	v_lshlrev_b64 v[2:3], 1, v[2:3]
	v_add_co_u32 v2, vcc_lo, s2, v2
	v_add_co_ci_u32_e64 v3, null, s3, v3, vcc_lo
	global_store_short v[2:3], v4, off
.LBB201_22:
	s_or_b32 exec_lo, exec_lo, s0
	v_add_nc_u32_e32 v2, 64, v1
	;; [unrolled: 14-line block ×3, first 2 shown]
	v_cmp_gt_u32_e32 vcc_lo, s10, v1
	s_and_b32 exec_lo, exec_lo, vcc_lo
	s_cbranch_execz .LBB201_26
; %bb.25:
	v_add_nc_u32_e32 v0, v0, v1
	v_mov_b32_e32 v1, 0
	v_cvt_f16_f32_e32 v2, v9
	v_lshlrev_b64 v[0:1], 1, v[0:1]
	v_add_co_u32 v0, vcc_lo, s2, v0
	v_add_co_ci_u32_e64 v1, null, s3, v1, vcc_lo
	global_store_short v[0:1], v2, off
.LBB201_26:
	s_endpgm
	.section	.rodata,"a",@progbits
	.p2align	6, 0x0
	.amdhsa_kernel _ZL8moe_q5_0IN3c104HalfELb0EEvPKvS3_PT_PKiS7_S7_iiiiiii
		.amdhsa_group_segment_fixed_size 38656
		.amdhsa_private_segment_fixed_size 0
		.amdhsa_kernarg_size 76
		.amdhsa_user_sgpr_count 6
		.amdhsa_user_sgpr_private_segment_buffer 1
		.amdhsa_user_sgpr_dispatch_ptr 0
		.amdhsa_user_sgpr_queue_ptr 0
		.amdhsa_user_sgpr_kernarg_segment_ptr 1
		.amdhsa_user_sgpr_dispatch_id 0
		.amdhsa_user_sgpr_flat_scratch_init 0
		.amdhsa_user_sgpr_private_segment_size 0
		.amdhsa_wavefront_size32 1
		.amdhsa_uses_dynamic_stack 0
		.amdhsa_system_sgpr_private_segment_wavefront_offset 0
		.amdhsa_system_sgpr_workgroup_id_x 1
		.amdhsa_system_sgpr_workgroup_id_y 1
		.amdhsa_system_sgpr_workgroup_id_z 0
		.amdhsa_system_sgpr_workgroup_info 0
		.amdhsa_system_vgpr_workitem_id 1
		.amdhsa_next_free_vgpr 185
		.amdhsa_next_free_sgpr 21
		.amdhsa_reserve_vcc 1
		.amdhsa_reserve_flat_scratch 0
		.amdhsa_float_round_mode_32 0
		.amdhsa_float_round_mode_16_64 0
		.amdhsa_float_denorm_mode_32 3
		.amdhsa_float_denorm_mode_16_64 3
		.amdhsa_dx10_clamp 1
		.amdhsa_ieee_mode 1
		.amdhsa_fp16_overflow 0
		.amdhsa_workgroup_processor_mode 1
		.amdhsa_memory_ordered 1
		.amdhsa_forward_progress 1
		.amdhsa_shared_vgpr_count 0
		.amdhsa_exception_fp_ieee_invalid_op 0
		.amdhsa_exception_fp_denorm_src 0
		.amdhsa_exception_fp_ieee_div_zero 0
		.amdhsa_exception_fp_ieee_overflow 0
		.amdhsa_exception_fp_ieee_underflow 0
		.amdhsa_exception_fp_ieee_inexact 0
		.amdhsa_exception_int_div_zero 0
	.end_amdhsa_kernel
	.section	.text._ZL8moe_q5_0IN3c104HalfELb0EEvPKvS3_PT_PKiS7_S7_iiiiiii,"axG",@progbits,_ZL8moe_q5_0IN3c104HalfELb0EEvPKvS3_PT_PKiS7_S7_iiiiiii,comdat
.Lfunc_end201:
	.size	_ZL8moe_q5_0IN3c104HalfELb0EEvPKvS3_PT_PKiS7_S7_iiiiiii, .Lfunc_end201-_ZL8moe_q5_0IN3c104HalfELb0EEvPKvS3_PT_PKiS7_S7_iiiiiii
                                        ; -- End function
	.set _ZL8moe_q5_0IN3c104HalfELb0EEvPKvS3_PT_PKiS7_S7_iiiiiii.num_vgpr, 185
	.set _ZL8moe_q5_0IN3c104HalfELb0EEvPKvS3_PT_PKiS7_S7_iiiiiii.num_agpr, 0
	.set _ZL8moe_q5_0IN3c104HalfELb0EEvPKvS3_PT_PKiS7_S7_iiiiiii.numbered_sgpr, 21
	.set _ZL8moe_q5_0IN3c104HalfELb0EEvPKvS3_PT_PKiS7_S7_iiiiiii.num_named_barrier, 0
	.set _ZL8moe_q5_0IN3c104HalfELb0EEvPKvS3_PT_PKiS7_S7_iiiiiii.private_seg_size, 0
	.set _ZL8moe_q5_0IN3c104HalfELb0EEvPKvS3_PT_PKiS7_S7_iiiiiii.uses_vcc, 1
	.set _ZL8moe_q5_0IN3c104HalfELb0EEvPKvS3_PT_PKiS7_S7_iiiiiii.uses_flat_scratch, 0
	.set _ZL8moe_q5_0IN3c104HalfELb0EEvPKvS3_PT_PKiS7_S7_iiiiiii.has_dyn_sized_stack, 0
	.set _ZL8moe_q5_0IN3c104HalfELb0EEvPKvS3_PT_PKiS7_S7_iiiiiii.has_recursion, 0
	.set _ZL8moe_q5_0IN3c104HalfELb0EEvPKvS3_PT_PKiS7_S7_iiiiiii.has_indirect_call, 0
	.section	.AMDGPU.csdata,"",@progbits
; Kernel info:
; codeLenInByte = 15220
; TotalNumSgprs: 23
; NumVgprs: 185
; ScratchSize: 0
; MemoryBound: 0
; FloatMode: 240
; IeeeMode: 1
; LDSByteSize: 38656 bytes/workgroup (compile time only)
; SGPRBlocks: 0
; VGPRBlocks: 23
; NumSGPRsForWavesPerEU: 23
; NumVGPRsForWavesPerEU: 185
; Occupancy: 5
; WaveLimiterHint : 1
; COMPUTE_PGM_RSRC2:SCRATCH_EN: 0
; COMPUTE_PGM_RSRC2:USER_SGPR: 6
; COMPUTE_PGM_RSRC2:TRAP_HANDLER: 0
; COMPUTE_PGM_RSRC2:TGID_X_EN: 1
; COMPUTE_PGM_RSRC2:TGID_Y_EN: 1
; COMPUTE_PGM_RSRC2:TGID_Z_EN: 0
; COMPUTE_PGM_RSRC2:TIDIG_COMP_CNT: 1
	.section	.text._ZL8moe_q5_0IN3c104HalfELb1EEvPKvS3_PT_PKiS7_S7_iiiiiii,"axG",@progbits,_ZL8moe_q5_0IN3c104HalfELb1EEvPKvS3_PT_PKiS7_S7_iiiiiii,comdat
	.globl	_ZL8moe_q5_0IN3c104HalfELb1EEvPKvS3_PT_PKiS7_S7_iiiiiii ; -- Begin function _ZL8moe_q5_0IN3c104HalfELb1EEvPKvS3_PT_PKiS7_S7_iiiiiii
	.p2align	8
	.type	_ZL8moe_q5_0IN3c104HalfELb1EEvPKvS3_PT_PKiS7_S7_iiiiiii,@function
_ZL8moe_q5_0IN3c104HalfELb1EEvPKvS3_PT_PKiS7_S7_iiiiiii: ; @_ZL8moe_q5_0IN3c104HalfELb1EEvPKvS3_PT_PKiS7_S7_iiiiiii
; %bb.0:
	s_load_dwordx4 s[0:3], s[4:5], 0x18
	s_mov_b32 s8, s7
	s_mov_b32 s9, 0
	s_lshl_b64 s[10:11], s[8:9], 2
	s_waitcnt lgkmcnt(0)
	s_add_u32 s2, s2, s10
	s_addc_u32 s3, s3, s11
	s_load_dword s16, s[2:3], 0x0
	s_waitcnt lgkmcnt(0)
	s_cmpk_gt_u32 s16, 0xff
	s_cbranch_scc1 .LBB202_26
; %bb.1:
	s_load_dwordx2 s[2:3], s[4:5], 0x28
	s_waitcnt lgkmcnt(0)
	s_load_dword s3, s[2:3], 0x0
	s_lshl_b32 s2, s8, 3
	s_waitcnt lgkmcnt(0)
	s_cmp_gt_u32 s2, s3
	s_cbranch_scc1 .LBB202_26
; %bb.2:
	v_add_nc_u32_e32 v24, s2, v1
	v_mov_b32_e32 v25, 0
	v_lshlrev_b64 v[2:3], 2, v[24:25]
	v_mov_b32_e32 v105, v25
	v_mov_b32_e32 v110, v25
	;; [unrolled: 1-line block ×3, first 2 shown]
	v_add_co_u32 v2, vcc_lo, s0, v2
	v_add_co_ci_u32_e64 v3, null, s1, v3, vcc_lo
	global_load_dword v26, v[2:3], off
	s_clause 0x1
	s_load_dwordx8 s[8:15], s[4:5], 0x30
	s_load_dwordx2 s[2:3], s[4:5], 0x10
	s_waitcnt lgkmcnt(0)
	s_lshl_b32 s15, s6, 7
	s_cmp_lt_i32 s9, 32
	s_cbranch_scc1 .LBB202_17
; %bb.3:
	s_ashr_i32 s0, s9, 31
	s_ashr_i32 s1, s12, 31
	s_lshr_b32 s0, s0, 27
	s_lshr_b32 s1, s1, 27
	s_add_i32 s0, s9, s0
	v_add_nc_u32_e32 v6, 8, v1
	s_ashr_i32 s18, s0, 5
	s_add_i32 s0, s12, s1
	v_add_nc_u32_e32 v7, 16, v1
	s_ashr_i32 s12, s0, 5
	s_not_b32 s0, s15
	v_lshlrev_b32_e32 v3, 2, v0
	s_add_i32 s0, s10, s0
	v_lshlrev_b32_e32 v2, 3, v0
	v_min_i32_e32 v5, s0, v1
	v_min_i32_e32 v8, s0, v6
	;; [unrolled: 1-line block ×3, first 2 shown]
	v_add_nc_u32_e32 v9, 24, v1
	v_add_nc_u32_e32 v11, 32, v1
	v_mul_lo_u32 v23, v5, s18
	v_mad_u64_u32 v[5:6], null, 0x104, v5, v[2:3]
	v_mad_u64_u32 v[6:7], null, 0x104, v8, v[2:3]
	v_mul_lo_u32 v25, v8, s18
	v_mul_lo_u32 v47, v10, s18
	v_mad_u64_u32 v[7:8], null, 0x104, v10, v[2:3]
	v_add_nc_u32_e32 v10, 40, v1
	v_min_i32_e32 v9, s0, v9
	v_min_i32_e32 v11, s0, v11
	v_add_nc_u32_e32 v12, 48, v1
	v_add_nc_u32_e32 v14, 56, v1
	v_min_i32_e32 v13, s0, v10
	v_mul_lo_u32 v51, v9, s18
	v_mad_u64_u32 v[8:9], null, 0x104, v9, v[2:3]
	v_mad_u64_u32 v[9:10], null, 0x104, v11, v[2:3]
	v_mul_lo_u32 v55, v11, s18
	v_mul_lo_u32 v59, v13, s18
	v_mad_u64_u32 v[10:11], null, 0x104, v13, v[2:3]
	v_add_nc_u32_e32 v13, 64, v1
	v_min_i32_e32 v12, s0, v12
	v_min_i32_e32 v14, s0, v14
	v_add_nc_u32_e32 v15, 0x48, v1
	v_add_nc_u32_e32 v17, 0x50, v1
	v_min_i32_e32 v16, s0, v13
	v_mul_lo_u32 v63, v12, s18
	v_mad_u64_u32 v[11:12], null, 0x104, v12, v[2:3]
	v_mad_u64_u32 v[12:13], null, 0x104, v14, v[2:3]
	v_mul_lo_u32 v67, v14, s18
	v_mul_lo_u32 v71, v16, s18
	v_mad_u64_u32 v[13:14], null, 0x104, v16, v[2:3]
	v_add_nc_u32_e32 v16, 0x58, v1
	v_min_i32_e32 v15, s0, v15
	v_min_i32_e32 v17, s0, v17
	v_add_nc_u32_e32 v20, 0x68, v1
	s_abs_i32 s1, s14
	v_min_i32_e32 v19, s0, v16
	v_mul_lo_u32 v75, v15, s18
	v_mad_u64_u32 v[14:15], null, 0x104, v15, v[2:3]
	v_mad_u64_u32 v[15:16], null, 0x104, v17, v[2:3]
	v_mul_lo_u32 v79, v17, s18
	v_mul_lo_u32 v83, v19, s18
	v_mad_u64_u32 v[16:17], null, 0x104, v19, v[2:3]
	v_min_i32_e32 v19, s0, v20
	v_cvt_f32_u32_e32 v20, s1
	v_lshrrev_b32_e32 v29, 3, v0
	v_add_nc_u32_e32 v18, 0x60, v1
	v_add_nc_u32_e32 v21, 0x70, v1
	;; [unrolled: 1-line block ×3, first 2 shown]
	v_rcp_iflag_f32_e32 v20, v20
	v_lshl_add_u32 v22, v1, 2, v29
	v_min_i32_e32 v18, s0, v18
	v_min_i32_e32 v21, s0, v21
	;; [unrolled: 1-line block ×3, first 2 shown]
	v_mul_lo_u32 v91, v19, s18
	v_min_i32_e32 v24, s0, v22
	v_mul_lo_u32 v87, v18, s18
	v_mad_u64_u32 v[17:18], null, 0x104, v18, v[2:3]
	v_mul_f32_e32 v32, 0x4f7ffffe, v20
	v_ashrrev_i32_e32 v31, 31, v24
	v_mad_u64_u32 v[18:19], null, 0x104, v19, v[2:3]
	s_sub_i32 s10, 0, s1
	v_cvt_u32_f32_e32 v32, v32
	v_mad_u64_u32 v[19:20], null, 0x104, v21, v[2:3]
	v_lshrrev_b32_e32 v31, 30, v31
	v_mul_lo_u32 v95, v21, s18
	v_mul_lo_u32 v99, v30, s18
	v_mad_u64_u32 v[20:21], null, 0x104, v30, v[2:3]
	v_mul_lo_u32 v30, s10, v32
	v_add_nc_u32_e32 v2, v24, v31
	v_add_nc_u32_e32 v21, 32, v22
	;; [unrolled: 1-line block ×4, first 2 shown]
	s_waitcnt vmcnt(0)
	v_sub_nc_u32_e32 v34, 0, v26
	v_and_b32_e32 v105, 7, v0
	v_min_i32_e32 v21, s0, v21
	v_mul_hi_u32 v30, v32, v30
	v_min_i32_e32 v31, s0, v31
	v_min_i32_e32 v22, s0, v22
	v_max_i32_e32 v34, v26, v34
	v_ashrrev_i32_e32 v33, 31, v21
	v_and_b32_e32 v2, -4, v2
	v_ashrrev_i32_e32 v36, 31, v31
	v_lshlrev_b32_e32 v35, 2, v105
	v_add_nc_u32_e32 v30, v32, v30
	v_lshrrev_b32_e32 v33, 30, v33
	v_mul_lo_u32 v103, v24, s18
	v_lshrrev_b32_e32 v32, 30, v36
	v_ashrrev_i32_e32 v36, 31, v22
	v_mul_hi_u32 v30, v34, v30
	v_add3_u32 v110, v2, v35, 0x8200
	v_add_nc_u32_e32 v2, v21, v33
	v_add_nc_u32_e32 v32, v31, v32
	v_lshrrev_b32_e32 v33, 30, v36
	v_lshlrev_b32_e32 v117, 5, v24
	v_mul_lo_u32 v106, v21, s18
	v_and_b32_e32 v2, -4, v2
	v_and_b32_e32 v24, -4, v32
	v_add_nc_u32_e32 v32, v22, v33
	v_mul_lo_u32 v33, v30, s1
	v_lshlrev_b32_e32 v119, 5, v21
	v_add3_u32 v118, v2, v35, 0x8200
	v_add3_u32 v120, v24, v35, 0x8200
	v_and_b32_e32 v2, -4, v32
	v_lshl_add_u32 v32, v1, 4, 0x9680
	s_load_dwordx4 s[4:7], s[4:5], 0x0
	v_and_b32_e32 v28, 12, v3
	v_sub_nc_u32_e32 v21, v34, v33
	v_add3_u32 v122, v2, v35, 0x8200
	v_add_nc_u32_e32 v2, 1, v30
	v_xor_b32_e32 v33, s14, v26
	v_and_b32_e32 v40, 28, v3
	v_subrev_nc_u32_e32 v24, s1, v21
	v_cmp_le_u32_e32 vcc_lo, s1, v21
	v_add_nc_u32_e32 v34, 0x60, v0
	v_lshrrev_b32_e32 v4, 2, v0
	s_mul_i32 s8, s16, s8
	s_mul_i32 s16, s18, s15
	v_cndmask_b32_e32 v2, v30, v2, vcc_lo
	v_cndmask_b32_e32 v21, v21, v24, vcc_lo
	v_lshl_add_u32 v30, v1, 7, 0x9280
	v_ashrrev_i32_e32 v1, 31, v33
	v_add_nc_u32_e32 v33, v32, v3
	v_add_nc_u32_e32 v24, 1, v2
	v_cmp_le_u32_e32 vcc_lo, s1, v21
	v_add_nc_u32_e32 v3, 32, v0
	v_and_b32_e32 v38, 0x1fc, v34
	v_lshlrev_b32_e32 v39, 5, v34
	s_mul_hi_i32 s17, s16, 22
	v_cndmask_b32_e32 v2, v2, v24, vcc_lo
	v_add_nc_u32_e32 v24, 64, v0
	v_and_b32_e32 v36, 0x1fc, v3
	v_add3_u32 v38, v39, v38, 0x8200
	v_lshrrev_b32_e32 v39, 3, v3
	v_xor_b32_e32 v2, v2, v1
	v_and_b32_e32 v37, 0x1fc, v24
	v_lshlrev_b32_e32 v24, 5, v24
	s_mul_i32 s16, s16, 22
	v_mul_lo_u32 v112, v22, s18
	v_sub_nc_u32_e32 v1, v2, v1
	v_lshlrev_b32_e32 v2, 5, v3
	v_add3_u32 v37, v24, v37, 0x8200
	v_lshlrev_b32_e32 v123, 5, v22
	v_and_b32_e32 v22, 31, v0
	v_mul_lo_u32 v42, v1, s12
	v_add3_u32 v36, v2, v36, 0x8200
	v_cmp_gt_i32_e64 s0, s11, v1
	v_mul_lo_u32 v111, v31, s18
	v_lshlrev_b32_e32 v121, 5, v31
	v_lshl_or_b32 v31, v22, 2, v30
	v_and_b32_e32 v21, 0xfc, v0
	v_lshlrev_b32_e32 v22, 5, v0
	v_ashrrev_i32_e32 v2, 31, v42
	v_add_co_u32 v3, s1, v42, v0
	v_mul_hi_u32_u24_e32 v113, 22, v105
	v_add3_u32 v35, v22, v21, 0x8200
	v_add_co_ci_u32_e64 v24, null, 0, v2, s1
	v_mad_u64_u32 v[1:2], null, v4, 22, s[16:17]
	s_waitcnt lgkmcnt(0)
	v_mad_u64_u32 v[3:4], null, v3, 36, s[6:7]
	v_add_co_u32 v21, s1, s6, v40
	v_add_co_ci_u32_e64 v22, null, s7, 0, s1
	v_mad_i64_i32 v[45:46], null, v23, 22, v[1:2]
	v_mad_i32_i24 v4, v24, 36, v4
	v_add_co_u32 v23, s1, 0x90, v3
	v_mad_i64_i32 v[53:54], null, v47, 22, v[1:2]
	v_add_co_ci_u32_e64 v24, null, 0, v4, s1
	v_add_co_u32 v43, s1, v45, v28
	v_add_co_ci_u32_e64 v44, null, 0, v46, s1
	v_mad_i64_i32 v[3:4], null, v25, 22, v[1:2]
	v_add_co_u32 v25, s1, s4, v43
	v_add_co_ci_u32_e64 v44, null, s5, v44, s1
	v_mad_i64_i32 v[61:62], null, v55, 22, v[1:2]
	v_add_co_u32 v43, s1, v25, 6
	v_add_co_ci_u32_e64 v44, null, 0, v44, s1
	v_add_co_u32 v25, s1, v3, v28
	v_add_co_ci_u32_e64 v48, null, 0, v4, s1
	;; [unrolled: 2-line block ×4, first 2 shown]
	v_mad_i64_i32 v[69:70], null, v63, 22, v[1:2]
	v_add_co_u32 v47, s1, v25, 6
	v_add_co_ci_u32_e64 v48, null, 0, v48, s1
	v_add_co_u32 v3, s1, s4, v3
	v_add_co_ci_u32_e64 v4, null, s5, v4, s1
	;; [unrolled: 2-line block ×4, first 2 shown]
	v_add_co_u32 v25, s1, s4, v25
	v_mad_i64_i32 v[3:4], null, v51, 22, v[1:2]
	v_add_co_ci_u32_e64 v52, null, s5, v52, s1
	v_add_co_u32 v51, s1, v25, 6
	v_mad_i64_i32 v[77:78], null, v71, 22, v[1:2]
	v_add_co_ci_u32_e64 v52, null, 0, v52, s1
	v_add_co_u32 v25, s1, s4, v53
	v_add_co_ci_u32_e64 v54, null, s5, v54, s1
	v_add_co_u32 v56, s1, v3, v28
	;; [unrolled: 2-line block ×4, first 2 shown]
	v_add_co_ci_u32_e64 v56, null, s5, v57, s1
	v_mad_i64_i32 v[85:86], null, v79, 22, v[1:2]
	v_add_co_u32 v55, s1, v25, 6
	v_add_co_ci_u32_e64 v56, null, 0, v56, s1
	v_add_co_u32 v3, s1, s4, v3
	v_add_co_ci_u32_e64 v4, null, s5, v4, s1
	;; [unrolled: 2-line block ×4, first 2 shown]
	v_add_co_u32 v25, s1, s4, v25
	v_mad_i64_i32 v[3:4], null, v59, 22, v[1:2]
	v_add_co_ci_u32_e64 v60, null, s5, v60, s1
	v_add_co_u32 v59, s1, v25, 6
	v_mad_i64_i32 v[93:94], null, v87, 22, v[1:2]
	v_add_co_ci_u32_e64 v60, null, 0, v60, s1
	v_add_co_u32 v25, s1, s4, v61
	v_add_co_ci_u32_e64 v62, null, s5, v62, s1
	v_add_co_u32 v64, s1, v3, v28
	;; [unrolled: 2-line block ×4, first 2 shown]
	v_add_co_ci_u32_e64 v64, null, s5, v65, s1
	v_mad_i64_i32 v[101:102], null, v95, 22, v[1:2]
	v_add_co_u32 v63, s1, v25, 6
	v_add_co_ci_u32_e64 v64, null, 0, v64, s1
	v_add_co_u32 v3, s1, s4, v3
	v_add_co_ci_u32_e64 v4, null, s5, v4, s1
	;; [unrolled: 2-line block ×4, first 2 shown]
	v_add_co_u32 v25, s1, s4, v25
	v_mad_i64_i32 v[3:4], null, v67, 22, v[1:2]
	v_add_co_ci_u32_e64 v68, null, s5, v68, s1
	v_add_co_u32 v67, s1, v25, 6
	v_mul_u32_u24_e32 v105, 22, v105
	v_add_co_ci_u32_e64 v68, null, 0, v68, s1
	v_add_co_u32 v25, s1, s4, v69
	v_add_co_ci_u32_e64 v70, null, s5, v70, s1
	v_add_co_u32 v72, s1, v3, v28
	;; [unrolled: 2-line block ×4, first 2 shown]
	v_add_co_ci_u32_e64 v72, null, s5, v73, s1
	v_cmp_gt_u32_e32 vcc_lo, 4, v0
	v_add_co_u32 v71, s1, v25, 6
	v_add_co_ci_u32_e64 v72, null, 0, v72, s1
	v_add_co_u32 v3, s1, s4, v3
	v_add_co_ci_u32_e64 v4, null, s5, v4, s1
	;; [unrolled: 2-line block ×4, first 2 shown]
	v_add_co_u32 v25, s1, s4, v25
	v_mad_i64_i32 v[3:4], null, v75, 22, v[1:2]
	v_add_co_ci_u32_e64 v76, null, s5, v76, s1
	v_add_co_u32 v75, s1, v25, 6
	v_mov_b32_e32 v27, 0
	v_add_co_ci_u32_e64 v76, null, 0, v76, s1
	v_add_co_u32 v25, s1, s4, v77
	v_add_co_ci_u32_e64 v78, null, s5, v78, s1
	v_add_co_u32 v80, s1, v3, v28
	;; [unrolled: 2-line block ×4, first 2 shown]
	v_add_co_ci_u32_e64 v80, null, s5, v81, s1
	v_mul_u32_u24_e32 v34, 0x104, v0
	v_add_co_u32 v79, s1, v25, 6
	v_add_co_ci_u32_e64 v80, null, 0, v80, s1
	v_add_co_u32 v3, s1, s4, v3
	v_add_co_ci_u32_e64 v4, null, s5, v4, s1
	;; [unrolled: 2-line block ×4, first 2 shown]
	v_add_co_u32 v25, s1, s4, v25
	v_mad_i64_i32 v[3:4], null, v83, 22, v[1:2]
	v_add_co_ci_u32_e64 v84, null, s5, v84, s1
	v_add_co_u32 v83, s1, v25, 6
	v_add_nc_u32_e32 v40, v39, v42
	v_add_co_ci_u32_e64 v84, null, 0, v84, s1
	v_add_co_u32 v25, s1, s4, v85
	v_add_co_ci_u32_e64 v86, null, s5, v86, s1
	v_add_co_u32 v88, s1, v3, v28
	;; [unrolled: 2-line block ×4, first 2 shown]
	v_add_co_ci_u32_e64 v88, null, s5, v89, s1
	v_add_nc_u32_e32 v41, v29, v42
	v_add_co_u32 v87, s1, v25, 6
	v_add_co_ci_u32_e64 v88, null, 0, v88, s1
	v_add_co_u32 v3, s1, s4, v3
	v_add_co_ci_u32_e64 v4, null, s5, v4, s1
	;; [unrolled: 2-line block ×4, first 2 shown]
	v_add_co_u32 v25, s1, s4, v25
	v_mad_i64_i32 v[3:4], null, v91, 22, v[1:2]
	v_add_co_ci_u32_e64 v92, null, s5, v92, s1
	v_add_co_u32 v91, s1, v25, 6
	v_mad_i64_i32 v[1:2], null, v99, 22, v[1:2]
	v_add_co_ci_u32_e64 v92, null, 0, v92, s1
	v_add_co_u32 v25, s1, s4, v93
	v_add_co_ci_u32_e64 v94, null, s5, v94, s1
	v_add_co_u32 v96, s1, v3, v28
	;; [unrolled: 2-line block ×4, first 2 shown]
	v_add_co_ci_u32_e64 v96, null, s5, v97, s1
	v_add_nc_u32_e32 v42, v0, v42
	v_add_co_u32 v95, s1, v25, 6
	v_add_co_ci_u32_e64 v96, null, 0, v96, s1
	v_add_co_u32 v3, s1, s4, v3
	v_add_co_ci_u32_e64 v4, null, s5, v4, s1
	;; [unrolled: 2-line block ×5, first 2 shown]
	v_add_nc_u32_e32 v117, v110, v117
	v_add_co_u32 v99, s1, v3, 6
	v_add_co_ci_u32_e64 v100, null, 0, v4, s1
	v_add_co_u32 v3, s1, s4, v101
	v_add_co_ci_u32_e64 v4, null, s5, v102, s1
	;; [unrolled: 2-line block ×5, first 2 shown]
	v_mad_i64_i32 v[3:4], null, v103, 22, 0
	v_add_co_u32 v103, s1, v25, 6
	v_add_co_ci_u32_e64 v104, null, 0, v104, s1
	v_add_co_u32 v25, s1, s4, v1
	v_add_co_ci_u32_e64 v107, null, s5, v2, s1
	v_mad_i64_i32 v[1:2], null, v106, 22, 0
	v_add_co_u32 v3, s1, s16, v3
	v_add_co_ci_u32_e64 v4, null, s17, v4, s1
	v_add_co_u32 v106, s1, v25, 2
	v_add_co_ci_u32_e64 v107, null, 0, v107, s1
	;; [unrolled: 2-line block ×6, first 2 shown]
	v_mad_i64_i32 v[1:2], null, v111, 22, 0
	v_mad_i64_i32 v[3:4], null, v112, 22, 0
	v_add_co_u32 v111, s1, s4, v25
	v_add_co_ci_u32_e64 v112, null, s5, v114, s1
	v_add_co_u32 v1, s1, s16, v1
	v_add_co_ci_u32_e64 v2, null, s17, v2, s1
	;; [unrolled: 2-line block ×7, first 2 shown]
	v_add_nc_u32_e32 v118, v118, v119
	v_add_nc_u32_e32 v119, v120, v121
	;; [unrolled: 1-line block ×3, first 2 shown]
	v_mov_b32_e32 v110, 0
	v_mov_b32_e32 v105, 0
	;; [unrolled: 1-line block ×3, first 2 shown]
	s_ashr_i32 s19, s8, 31
	s_mov_b32 s4, 0
	s_and_b32 s5, vcc_lo, s0
	s_movk_i32 s10, 0x80
	s_branch .LBB202_6
.LBB202_4:                              ;   in Loop: Header=BB202_6 Depth=1
	s_or_b32 exec_lo, exec_lo, s16
	s_waitcnt lgkmcnt(0)
	s_barrier
	buffer_gl0_inv
	ds_read_b128 v[121:124], v30
	ds_read2_b32 v[129:130], v34 offset0:32 offset1:33
	v_add_nc_u32_e32 v1, 0x2100, v34
	ds_read_b128 v[125:128], v30 offset:16
	ds_read2_b32 v[131:132], v1 offset1:1
	ds_read_b128 v[1:4], v32
	ds_read2_b32 v[133:134], v34 offset0:34 offset1:35
	v_add_nc_u32_e32 v137, 0x2108, v34
	ds_read2_b32 v[135:136], v34 offset0:36 offset1:37
	v_mov_b32_e32 v167, 0
	v_add_nc_u32_e32 v139, 0x4180, v34
	v_mov_b32_e32 v168, 0
	ds_read2_b32 v[137:138], v137 offset1:1
	v_add_nc_u32_e32 v141, 0x2110, v34
	v_add_nc_u32_e32 v143, 0x2118, v34
	ds_read2_b32 v[139:140], v139 offset1:1
	ds_read2_b32 v[141:142], v141 offset1:1
	;; [unrolled: 1-line block ×3, first 2 shown]
	ds_read2_b32 v[145:146], v38 offset0:4 offset1:5
	ds_read2_b32 v[147:148], v38 offset0:6 offset1:7
	ds_read2_b32 v[149:150], v34 offset0:38 offset1:39
	ds_read2_b32 v[151:152], v34 offset0:40 offset1:41
	v_mov_b32_e32 v169, 0
	s_waitcnt lgkmcnt(13)
	v_dot4c_i32_i8 v167, v129, v121
	v_add_nc_u32_e32 v129, 0x4188, v34
	v_mov_b32_e32 v173, 0
	s_waitcnt lgkmcnt(11)
	v_dot4c_i32_i8 v168, v131, v121
	v_add_nc_u32_e32 v131, 0x4198, v34
	v_dot4c_i32_i8 v167, v130, v125
	ds_read2_b32 v[153:154], v129 offset1:1
	v_add_nc_u32_e32 v129, 0x6200, v34
	v_dot4c_i32_i8 v168, v132, v125
	v_add_nc_u32_e32 v130, 0x4190, v34
	s_waitcnt lgkmcnt(10)
	v_dot4c_i32_i8 v167, v133, v122
	v_add_nc_u32_e32 v159, 0x2120, v34
	v_mov_b32_e32 v174, 0
	s_waitcnt lgkmcnt(8)
	v_dot4c_i32_i8 v168, v137, v122
	s_waitcnt lgkmcnt(7)
	v_dot4c_i32_i8 v169, v139, v121
	v_dot4c_i32_i8 v167, v134, v126
	v_add_nc_u32_e32 v139, 0x6208, v34
	v_add_nc_u32_e32 v171, 0x6220, v34
	v_dot4c_i32_i8 v168, v138, v126
	ds_read2_b32 v[137:138], v129 offset1:1
	ds_read2_b32 v[155:156], v130 offset1:1
	;; [unrolled: 1-line block ×3, first 2 shown]
	v_dot4c_i32_i8 v167, v135, v123
	v_dot4c_i32_i8 v169, v140, v125
	v_mov_b32_e32 v175, 0
	s_waitcnt lgkmcnt(9)
	v_dot4c_i32_i8 v168, v141, v123
	v_mov_b32_e32 v176, 0
	v_dot4c_i32_i8 v167, v136, v127
	ds_read_b128 v[129:132], v30 offset:32
	ds_read_b128 v[133:136], v30 offset:48
	ds_read2_b32 v[139:140], v139 offset1:1
	s_waitcnt lgkmcnt(6)
	v_dot4c_i32_i8 v169, v153, v122
	v_dot4c_i32_i8 v168, v142, v127
	;; [unrolled: 1-line block ×3, first 2 shown]
	ds_read2_b32 v[141:142], v35 offset0:4 offset1:5
	v_mov_b32_e32 v177, 0
	v_dot4c_i32_i8 v169, v154, v126
	v_dot4c_i32_i8 v168, v143, v124
	v_add_nc_u32_e32 v143, 0x6218, v34
	v_dot4c_i32_i8 v167, v150, v128
	s_waitcnt lgkmcnt(6)
	v_dot4c_i32_i8 v173, v137, v121
	v_add_nc_u32_e32 v121, 0x6210, v34
	s_waitcnt lgkmcnt(5)
	v_dot4c_i32_i8 v169, v155, v123
	ds_read2_b32 v[149:150], v36 offset0:4 offset1:5
	ds_read2_b32 v[153:154], v37 offset0:4 offset1:5
	v_dot4c_i32_i8 v168, v144, v128
	v_dot4c_i32_i8 v173, v138, v125
	ds_read2_b32 v[137:138], v121 offset1:1
	v_dot4c_i32_i8 v169, v156, v127
	ds_read2_b32 v[155:156], v143 offset1:1
	ds_read2_b32 v[159:160], v159 offset1:1
	ds_read2_b32 v[161:162], v34 offset0:58 offset1:59
	ds_read2_b32 v[163:164], v34 offset0:60 offset1:61
	;; [unrolled: 1-line block ×3, first 2 shown]
	s_waitcnt lgkmcnt(9)
	v_dot4c_i32_i8 v173, v139, v122
	v_dot4c_i32_i8 v174, v151, v129
	;; [unrolled: 1-line block ×3, first 2 shown]
	v_cvt_f32_i32_e32 v167, v167
	s_waitcnt lgkmcnt(8)
	v_mul_f32_e32 v141, v1, v141
	v_dot4c_i32_i8 v173, v140, v126
	ds_read2_b32 v[121:122], v34 offset0:42 offset1:43
	ds_read2_b32 v[139:140], v36 offset0:6 offset1:7
	;; [unrolled: 1-line block ×4, first 2 shown]
	v_dot4c_i32_i8 v174, v152, v133
	v_dot4c_i32_i8 v169, v158, v128
	v_cvt_f32_i32_e32 v157, v168
	v_fmac_f32_e32 v27, v141, v167
	s_waitcnt lgkmcnt(11)
	v_mul_f32_e32 v149, v1, v149
	v_add_nc_u32_e32 v141, 0x2138, v34
	s_waitcnt lgkmcnt(9)
	v_dot4c_i32_i8 v173, v137, v123
	v_mul_f32_e32 v123, v1, v153
	v_cvt_f32_i32_e32 v137, v169
	v_fmac_f32_e32 v110, v149, v157
	v_add_nc_u32_e32 v149, 0x41a0, v34
	v_dot4c_i32_i8 v173, v138, v127
	v_add_nc_u32_e32 v127, 0x2130, v34
	v_fmac_f32_e32 v105, v123, v137
	s_waitcnt lgkmcnt(3)
	v_dot4c_i32_i8 v174, v121, v130
	v_add_nc_u32_e32 v121, 0x2128, v34
	v_dot4c_i32_i8 v173, v155, v124
	ds_read2_b32 v[123:124], v34 offset0:46 offset1:47
	ds_read2_b32 v[137:138], v34 offset0:48 offset1:49
	v_add_nc_u32_e32 v153, 0x41b8, v34
	v_dot4c_i32_i8 v174, v122, v134
	ds_read2_b32 v[121:122], v121 offset1:1
	ds_read2_b32 v[151:152], v127 offset1:1
	;; [unrolled: 1-line block ×4, first 2 shown]
	v_mov_b32_e32 v149, 0
	v_add_nc_u32_e32 v141, 0x41b0, v34
	v_dot4c_i32_i8 v173, v156, v128
	s_waitcnt lgkmcnt(6)
	v_dot4c_i32_i8 v174, v125, v131
	v_add_nc_u32_e32 v125, 0x41a8, v34
	v_dot4c_i32_i8 v149, v159, v129
	ds_read2_b32 v[127:128], v125 offset1:1
	ds_read2_b32 v[155:156], v141 offset1:1
	;; [unrolled: 1-line block ×4, first 2 shown]
	v_dot4c_i32_i8 v149, v160, v133
	v_add_nc_u32_e32 v125, 0x6228, v34
	v_dot4c_i32_i8 v174, v126, v135
	v_mov_b32_e32 v153, 0
	ds_read2_b32 v[159:160], v37 offset0:6 offset1:7
	v_mul_f32_e32 v1, v1, v145
	s_waitcnt lgkmcnt(8)
	v_dot4c_i32_i8 v149, v121, v130
	ds_read2_b32 v[125:126], v125 offset1:1
	v_add_nc_u32_e32 v121, 0x6230, v34
	s_waitcnt lgkmcnt(6)
	v_dot4c_i32_i8 v153, v167, v129
	v_cvt_f32_i32_e32 v145, v173
	v_dot4c_i32_i8 v149, v122, v134
	v_mul_f32_e32 v173, v2, v142
	ds_read2_b32 v[141:142], v121 offset1:1
	v_dot4c_i32_i8 v153, v168, v133
	v_dot4c_i32_i8 v174, v123, v132
	;; [unrolled: 1-line block ×3, first 2 shown]
	v_add_nc_u32_e32 v121, 0x6238, v34
	v_add_nc_u32_e32 v122, 0x2140, v34
	s_waitcnt lgkmcnt(3)
	v_dot4c_i32_i8 v175, v171, v129
	v_dot4c_i32_i8 v153, v127, v130
	;; [unrolled: 1-line block ×4, first 2 shown]
	ds_read2_b32 v[151:152], v121 offset1:1
	ds_read2_b32 v[167:168], v122 offset1:1
	v_dot4c_i32_i8 v175, v172, v133
	ds_read_b128 v[121:124], v30 offset:64
	v_dot4c_i32_i8 v149, v157, v132
	v_dot4c_i32_i8 v153, v128, v134
	v_cvt_f32_i32_e32 v129, v174
	s_waitcnt lgkmcnt(4)
	v_dot4c_i32_i8 v175, v125, v130
	v_mul_f32_e32 v130, v2, v150
	v_dot4c_i32_i8 v149, v158, v136
	v_dot4c_i32_i8 v153, v155, v131
	v_fmac_f32_e32 v27, v173, v129
	v_dot4c_i32_i8 v175, v126, v134
	ds_read_b128 v[125:128], v30 offset:80
	v_cvt_f32_i32_e32 v133, v149
	v_dot4c_i32_i8 v153, v156, v135
	v_add_nc_u32_e32 v171, 0x41d8, v34
	s_waitcnt lgkmcnt(4)
	v_dot4c_i32_i8 v175, v141, v131
	v_add_nc_u32_e32 v131, 0x2148, v34
	v_fmac_f32_e32 v110, v130, v133
	ds_read2_b32 v[129:130], v34 offset0:50 offset1:51
	v_dot4c_i32_i8 v153, v169, v132
	v_dot4c_i32_i8 v175, v142, v135
	v_mov_b32_e32 v135, 0
	v_add_nc_u32_e32 v133, 0x2150, v34
	v_add_nc_u32_e32 v141, 0x41c0, v34
	v_dot4c_i32_i8 v153, v170, v136
	s_waitcnt lgkmcnt(4)
	v_dot4c_i32_i8 v175, v151, v132
	s_waitcnt lgkmcnt(2)
	v_dot4c_i32_i8 v135, v137, v121
	v_add_nc_u32_e32 v137, 0x2158, v34
	v_add_nc_u32_e32 v151, 0x41c8, v34
	;; [unrolled: 1-line block ×4, first 2 shown]
	s_waitcnt lgkmcnt(1)
	v_dot4c_i32_i8 v135, v138, v125
	ds_read2_b32 v[131:132], v131 offset1:1
	ds_read2_b32 v[133:134], v133 offset1:1
	ds_read2_b32 v[137:138], v137 offset1:1
	ds_read2_b32 v[141:142], v141 offset1:1
	ds_read2_b32 v[149:150], v34 offset0:52 offset1:53
	v_fmac_f32_e32 v25, v1, v145
	v_mul_f32_e32 v1, v2, v154
	v_cvt_f32_i32_e32 v145, v153
	ds_read2_b32 v[153:154], v34 offset0:54 offset1:55
	ds_read2_b32 v[155:156], v34 offset0:56 offset1:57
	ds_read2_b32 v[157:158], v151 offset1:1
	ds_read2_b32 v[169:170], v169 offset1:1
	;; [unrolled: 1-line block ×4, first 2 shown]
	s_waitcnt lgkmcnt(11)
	v_dot4c_i32_i8 v135, v129, v122
	v_dot4c_i32_i8 v175, v152, v136
	v_fmac_f32_e32 v105, v1, v145
	v_add_nc_u32_e32 v1, 0x6248, v34
	v_mul_f32_e32 v136, v2, v146
	v_dot4c_i32_i8 v176, v167, v121
	v_dot4c_i32_i8 v135, v130, v126
	v_mov_b32_e32 v167, 0
	ds_read2_b32 v[1:2], v1 offset1:1
	v_add_nc_u32_e32 v129, 0x6250, v34
	v_dot4c_i32_i8 v176, v168, v125
	v_add_nc_u32_e32 v151, 0x41f0, v34
	s_waitcnt lgkmcnt(8)
	v_dot4c_i32_i8 v177, v141, v121
	s_waitcnt lgkmcnt(7)
	v_dot4c_i32_i8 v135, v149, v123
	ds_read2_b32 v[129:130], v129 offset1:1
	v_dot4c_i32_i8 v176, v131, v122
	v_add_nc_u32_e32 v131, 0x2160, v34
	v_dot4c_i32_i8 v177, v142, v125
	s_waitcnt lgkmcnt(2)
	v_dot4c_i32_i8 v167, v173, v121
	v_dot4c_i32_i8 v135, v150, v127
	;; [unrolled: 1-line block ×3, first 2 shown]
	v_add_nc_u32_e32 v121, 0x6258, v34
	v_dot4c_i32_i8 v177, v157, v122
	v_dot4c_i32_i8 v167, v174, v125
	v_dot4c_i32_i8 v135, v153, v124
	v_dot4c_i32_i8 v176, v133, v123
	ds_read2_b32 v[141:142], v121 offset1:1
	ds_read2_b32 v[145:146], v131 offset1:1
	v_dot4c_i32_i8 v177, v158, v126
	s_waitcnt lgkmcnt(3)
	v_dot4c_i32_i8 v167, v1, v122
	v_dot4c_i32_i8 v135, v154, v128
	v_cvt_f32_i32_e32 v1, v175
	v_dot4c_i32_i8 v176, v134, v127
	v_dot4c_i32_i8 v177, v169, v123
	v_dot4c_i32_i8 v167, v2, v126
	v_mul_f32_e32 v2, v3, v143
	v_cvt_f32_i32_e32 v121, v135
	v_dot4c_i32_i8 v176, v137, v124
	v_dot4c_i32_i8 v177, v170, v127
	s_waitcnt lgkmcnt(2)
	v_dot4c_i32_i8 v167, v129, v123
	v_fmac_f32_e32 v25, v136, v1
	v_add_nc_u32_e32 v1, 0x2168, v34
	v_fmac_f32_e32 v27, v2, v121
	v_add_nc_u32_e32 v121, 0x2170, v34
	v_add_nc_u32_e32 v123, 0x2178, v34
	v_dot4c_i32_i8 v167, v130, v127
	v_add_nc_u32_e32 v127, 0x41e0, v34
	v_add_nc_u32_e32 v143, 0x41e8, v34
	;; [unrolled: 1-line block ×4, first 2 shown]
	v_dot4c_i32_i8 v177, v171, v124
	v_dot4c_i32_i8 v176, v138, v128
	ds_read_b128 v[129:132], v30 offset:96
	ds_read_b128 v[133:136], v30 offset:112
	ds_read2_b32 v[1:2], v1 offset1:1
	ds_read2_b32 v[121:122], v121 offset1:1
	;; [unrolled: 1-line block ×8, first 2 shown]
	v_mul_f32_e32 v123, v3, v139
	v_dot4c_i32_i8 v177, v172, v128
	v_cvt_f32_i32_e32 v127, v176
	s_waitcnt lgkmcnt(11)
	v_dot4c_i32_i8 v167, v141, v124
	v_add_nc_u32_e32 v124, 0x6268, v34
	v_mul_f32_e32 v139, v3, v159
	v_cvt_f32_i32_e32 v143, v177
	v_fmac_f32_e32 v110, v123, v127
	v_mov_b32_e32 v141, 0
	ds_read2_b32 v[123:124], v124 offset1:1
	v_dot4c_i32_i8 v167, v142, v128
	v_fmac_f32_e32 v105, v139, v143
	v_mov_b32_e32 v139, 0
	v_mov_b32_e32 v142, 0
	;; [unrolled: 1-line block ×3, first 2 shown]
	v_add_nc_u32_e32 v127, 0x6270, v34
	s_waitcnt lgkmcnt(10)
	v_dot4c_i32_i8 v141, v155, v129
	v_dot4c_i32_i8 v139, v145, v129
	s_waitcnt lgkmcnt(5)
	v_dot4c_i32_i8 v142, v137, v129
	s_waitcnt lgkmcnt(1)
	v_dot4c_i32_i8 v143, v157, v129
	ds_read2_b32 v[127:128], v127 offset1:1
	v_dot4c_i32_i8 v141, v156, v133
	v_dot4c_i32_i8 v139, v146, v133
	;; [unrolled: 1-line block ×3, first 2 shown]
	v_add_nc_u32_e32 v129, 0x6278, v34
	v_dot4c_i32_i8 v143, v158, v133
	v_dot4c_i32_i8 v141, v161, v130
	;; [unrolled: 1-line block ×4, first 2 shown]
	ds_read2_b32 v[137:138], v129 offset1:1
	s_waitcnt lgkmcnt(2)
	v_dot4c_i32_i8 v143, v123, v130
	v_dot4c_i32_i8 v141, v162, v134
	;; [unrolled: 1-line block ×4, first 2 shown]
	v_mul_f32_e32 v1, v3, v147
	v_dot4c_i32_i8 v143, v124, v134
	v_dot4c_i32_i8 v141, v163, v131
	v_dot4c_i32_i8 v139, v121, v131
	v_dot4c_i32_i8 v142, v151, v131
	v_cvt_f32_i32_e32 v2, v167
	s_waitcnt lgkmcnt(1)
	v_dot4c_i32_i8 v143, v127, v131
	v_dot4c_i32_i8 v141, v164, v135
	;; [unrolled: 1-line block ×4, first 2 shown]
	v_fmac_f32_e32 v25, v1, v2
	v_dot4c_i32_i8 v143, v128, v135
	v_dot4c_i32_i8 v141, v165, v132
	;; [unrolled: 1-line block ×4, first 2 shown]
	v_mul_f32_e32 v1, v4, v144
	s_waitcnt lgkmcnt(0)
	v_dot4c_i32_i8 v143, v137, v132
	v_dot4c_i32_i8 v141, v166, v136
	;; [unrolled: 1-line block ×4, first 2 shown]
	v_mul_f32_e32 v3, v4, v140
	v_dot4c_i32_i8 v143, v138, v136
	v_cvt_f32_i32_e32 v2, v141
	v_cvt_f32_i32_e32 v121, v139
	v_mul_f32_e32 v122, v4, v160
	v_cvt_f32_i32_e32 v123, v142
	v_mul_f32_e32 v4, v4, v148
	v_cvt_f32_i32_e32 v124, v143
	v_fmac_f32_e32 v27, v1, v2
	v_fmac_f32_e32 v110, v3, v121
	;; [unrolled: 1-line block ×4, first 2 shown]
	s_barrier
	buffer_gl0_inv
.LBB202_5:                              ;   in Loop: Header=BB202_6 Depth=1
	v_add_co_u32 v23, s1, 0x120, v23
	v_add_co_ci_u32_e64 v24, null, 0, v24, s1
	v_add_co_u32 v43, s1, 0xb0, v43
	v_add_co_ci_u32_e64 v44, null, 0, v44, s1
	;; [unrolled: 2-line block ×37, first 2 shown]
	s_add_i32 s4, s4, 8
	s_addk_i32 s10, 0x100
	s_cmp_ge_i32 s4, s18
	s_cbranch_scc1 .LBB202_17
.LBB202_6:                              ; =>This Inner Loop Header: Depth=1
	v_add_co_u32 v1, s1, v43, s8
	v_add_co_ci_u32_e64 v2, null, s19, v44, s1
	v_add_co_u32 v3, s1, v45, s8
	v_add_co_ci_u32_e64 v4, null, s19, v46, s1
	;; [unrolled: 2-line block ×3, first 2 shown]
	global_load_dword v127, v[1:2], off
	global_load_dword v130, v[3:4], off offset:2
	global_load_dword v129, v[121:122], off
	v_add_co_u32 v1, s1, v49, s8
	v_add_co_ci_u32_e64 v2, null, s19, v50, s1
	v_add_co_u32 v3, s1, v51, s8
	v_add_co_ci_u32_e64 v4, null, s19, v52, s1
	;; [unrolled: 2-line block ×5, first 2 shown]
	global_load_dword v145, v[1:2], off
	global_load_dword v146, v[3:4], off
	;; [unrolled: 1-line block ×5, first 2 shown]
	v_add_co_u32 v1, s1, v59, s8
	v_add_co_ci_u32_e64 v2, null, s19, v60, s1
	v_add_co_u32 v3, s1, v61, s8
	v_add_co_ci_u32_e64 v4, null, s19, v62, s1
	;; [unrolled: 2-line block ×4, first 2 shown]
	global_load_dword v150, v[3:4], off
	global_load_dword v151, v[1:2], off
	;; [unrolled: 1-line block ×4, first 2 shown]
	v_add_co_u32 v1, s1, v67, s8
	v_add_co_ci_u32_e64 v2, null, s19, v68, s1
	v_add_co_u32 v3, s1, v69, s8
	v_add_co_ci_u32_e64 v4, null, s19, v70, s1
	global_load_dword v125, v[1:2], off
	v_add_co_u32 v121, s1, v71, s8
	global_load_dword v126, v[3:4], off
	v_add_co_ci_u32_e64 v122, null, s19, v72, s1
	v_add_co_u32 v131, s1, v73, s8
	v_add_co_ci_u32_e64 v132, null, s19, v74, s1
	v_add_co_u32 v133, s1, v75, s8
	v_add_co_ci_u32_e64 v134, null, s19, v76, s1
	v_add_co_u32 v135, s1, v77, s8
	v_add_co_ci_u32_e64 v136, null, s19, v78, s1
	v_add_co_u32 v137, s1, v79, s8
	v_add_co_ci_u32_e64 v138, null, s19, v80, s1
	v_add_co_u32 v139, s1, v81, s8
	v_add_co_ci_u32_e64 v140, null, s19, v82, s1
	v_add_co_u32 v141, s1, v83, s8
	v_add_co_ci_u32_e64 v142, null, s19, v84, s1
	v_add_co_u32 v143, s1, v85, s8
	v_add_co_ci_u32_e64 v144, null, s19, v86, s1
	global_load_dword v123, v[121:122], off
	global_load_dword v124, v[131:132], off
	;; [unrolled: 1-line block ×8, first 2 shown]
	s_waitcnt vmcnt(21)
	v_lshrrev_b32_e32 v132, 4, v127
	s_waitcnt vmcnt(20)
	v_ashrrev_i32_e32 v130, v28, v130
	v_and_b32_e32 v131, 0xf0f0f0f, v127
	s_waitcnt vmcnt(19)
	v_and_b32_e32 v134, 0xf0f0f0f, v129
	v_lshrrev_b32_e32 v129, 4, v129
	v_and_b32_e32 v132, 0xf0f0f0f, v132
	v_and_b32_e32 v129, 0xf0f0f0f, v129
	s_waitcnt vmcnt(18)
	v_ashrrev_i32_e32 v133, v28, v145
	s_waitcnt vmcnt(17)
	v_and_b32_e32 v136, 0xf0f0f0f, v146
	s_waitcnt vmcnt(16)
	v_ashrrev_i32_e32 v135, v28, v147
	v_lshrrev_b32_e32 v137, 4, v146
	s_waitcnt vmcnt(14)
	v_ashrrev_i32_e32 v138, v28, v149
	v_and_b32_e32 v139, 0xf0f0f0f, v148
	v_lshrrev_b32_e32 v140, 4, v148
	v_lshlrev_b32_e32 v145, 4, v130
	v_lshlrev_b32_e32 v146, 11, v130
	;; [unrolled: 1-line block ×4, first 2 shown]
	v_lshrrev_b32_e32 v149, 12, v130
	v_lshlrev_b32_e32 v153, 11, v133
	v_lshlrev_b32_e32 v154, 18, v133
	;; [unrolled: 1-line block ×3, first 2 shown]
	v_lshrrev_b32_e32 v156, 12, v133
	v_lshrrev_b32_e32 v157, 5, v133
	v_lshlrev_b32_e32 v158, 2, v133
	s_waitcnt vmcnt(13)
	v_ashrrev_i32_e32 v141, v28, v150
	v_lshrrev_b32_e32 v150, 5, v130
	s_waitcnt vmcnt(12)
	v_and_b32_e32 v142, 0xf0f0f0f, v151
	v_lshrrev_b32_e32 v143, 4, v151
	s_waitcnt vmcnt(11)
	v_ashrrev_i32_e32 v127, v28, v152
	v_lshlrev_b32_e32 v151, 2, v130
	v_lshlrev_b32_e32 v130, 9, v130
	v_lshlrev_b32_e32 v152, 4, v133
	v_lshlrev_b32_e32 v133, 9, v133
	v_lshlrev_b32_e32 v159, 4, v135
	v_lshlrev_b32_e32 v160, 11, v135
	v_lshlrev_b32_e32 v161, 18, v135
	v_lshlrev_b32_e32 v162, 25, v135
	v_lshrrev_b32_e32 v163, 12, v135
	v_lshrrev_b32_e32 v164, 5, v135
	v_lshlrev_b32_e32 v165, 2, v135
	v_lshlrev_b32_e32 v135, 9, v135
	;; [unrolled: 1-line block ×6, first 2 shown]
	v_lshrrev_b32_e32 v170, 12, v138
	v_lshrrev_b32_e32 v171, 5, v138
	v_and_b32_e32 v145, 16, v145
	v_and_b32_e32 v146, 0x1000, v146
	;; [unrolled: 1-line block ×24, first 2 shown]
	v_lshlrev_b32_e32 v172, 2, v138
	v_lshlrev_b32_e32 v138, 9, v138
	v_and_b32_e32 v165, 0x100000, v165
	v_and_b32_e32 v135, 0x10000000, v135
	v_and_b32_e32 v166, 16, v166
	v_and_b32_e32 v167, 0x1000, v167
	v_and_b32_e32 v168, 0x100000, v168
	v_and_b32_e32 v169, 0x10000000, v169
	v_and_b32_e32 v170, 16, v170
	v_and_b32_e32 v171, 0x1000, v171
	v_or3_b32 v145, v145, v131, v146
	v_or3_b32 v131, v131, v147, v148
	;; [unrolled: 1-line block ×11, first 2 shown]
	v_and_b32_e32 v172, 0x100000, v172
	v_and_b32_e32 v138, 0x10000000, v138
	v_or3_b32 v135, v137, v165, v135
	v_or3_b32 v137, v166, v139, v167
	;; [unrolled: 1-line block ×4, first 2 shown]
	v_lshrrev_b32_e32 v131, 16, v131
	v_and_b32_e32 v151, 0x1f00, v145
	v_lshlrev_b16 v145, 8, v145
	v_and_b32_e32 v152, 0x1f00, v146
	v_lshlrev_b16 v146, 8, v146
	v_lshrrev_b32_e32 v134, 16, v134
	v_and_b32_e32 v153, 0x1f00, v132
	v_lshlrev_b16 v132, 8, v132
	v_and_b32_e32 v154, 0x1f00, v147
	v_lshlrev_b16 v147, 8, v147
	;; [unrolled: 5-line block ×3, first 2 shown]
	v_or3_b32 v138, v140, v172, v138
	v_lshrrev_b32_e32 v139, 16, v139
	v_and_b32_e32 v157, 0x1f00, v137
	v_lshlrev_b16 v137, 8, v137
	v_and_b32_e32 v158, 0x1f00, v149
	v_lshlrev_b16 v149, 8, v149
	v_lshrrev_b32_e32 v130, 16, v130
	v_add_nc_u16 v151, 0xf000, v151
	v_add_nc_u16 v145, 0xf000, v145
	v_add_nc_u16 v146, 0xf000, v146
	v_and_b32_e32 v162, 0x1f00, v131
	v_lshlrev_b16 v131, 8, v131
	v_lshrrev_b32_e32 v129, 16, v129
	v_add_nc_u16 v153, 0xf000, v153
	v_add_nc_u16 v132, 0xf000, v132
	v_add_nc_u16 v147, 0xf000, v147
	;; [unrolled: 6-line block ×4, first 2 shown]
	v_and_b32_e32 v168, 0x1f00, v139
	v_lshlrev_b16 v139, 8, v139
	v_and_b32_e32 v163, 0x1f00, v130
	v_lshlrev_b16 v130, 8, v130
	v_perm_b32 v145, v145, v151, 0xc0c0105
	v_or_b32_sdwa v146, v152, v146 dst_sel:DWORD dst_unused:UNUSED_PAD src0_sel:DWORD src1_sel:BYTE_1
	v_add_nc_u16 v151, 0xf000, v162
	v_add_nc_u16 v131, 0xf000, v131
	v_and_b32_e32 v165, 0x1f00, v129
	v_lshlrev_b16 v129, 8, v129
	v_perm_b32 v132, v132, v153, 0xc0c0105
	v_or_b32_sdwa v147, v154, v147 dst_sel:DWORD dst_unused:UNUSED_PAD src0_sel:DWORD src1_sel:BYTE_1
	v_add_nc_u16 v153, 0xf000, v164
	v_add_nc_u16 v134, 0xf000, v134
	v_lshlrev_b32_e32 v173, 4, v141
	v_lshlrev_b32_e32 v174, 11, v141
	;; [unrolled: 1-line block ×4, first 2 shown]
	v_lshrrev_b32_e32 v177, 12, v141
	v_lshrrev_b32_e32 v178, 5, v141
	v_and_b32_e32 v167, 0x1f00, v135
	v_lshlrev_b16 v135, 8, v135
	v_perm_b32 v133, v133, v155, 0xc0c0105
	v_or_b32_sdwa v148, v156, v148 dst_sel:DWORD dst_unused:UNUSED_PAD src0_sel:DWORD src1_sel:BYTE_1
	v_add_nc_u16 v155, 0xf000, v166
	v_add_nc_u16 v136, 0xf000, v136
	v_and_b32_e32 v169, 0x1f00, v138
	v_lshlrev_b16 v138, 8, v138
	v_perm_b32 v137, v137, v157, 0xc0c0105
	v_or_b32_sdwa v149, v158, v149 dst_sel:DWORD dst_unused:UNUSED_PAD src0_sel:DWORD src1_sel:BYTE_1
	v_add_nc_u16 v157, 0xf000, v168
	v_add_nc_u16 v139, 0xf000, v139
	;; [unrolled: 1-line block ×4, first 2 shown]
	v_perm_b32 v131, v131, v151, 0xc0c0105
	v_add_nc_u16 v146, 0xf000, v146
	v_add_nc_u16 v154, 0xf000, v165
	;; [unrolled: 1-line block ×3, first 2 shown]
	v_perm_b32 v134, v134, v153, 0xc0c0105
	v_add_nc_u16 v147, 0xf000, v147
	v_and_b32_e32 v143, 0xf0f0f0f, v143
	v_lshlrev_b32_e32 v179, 2, v141
	v_lshlrev_b32_e32 v141, 9, v141
	v_and_b32_e32 v173, 16, v173
	v_and_b32_e32 v174, 0x1000, v174
	;; [unrolled: 1-line block ×6, first 2 shown]
	v_add_nc_u16 v156, 0xf000, v167
	v_add_nc_u16 v135, 0xf000, v135
	v_perm_b32 v136, v136, v155, 0xc0c0105
	v_add_nc_u16 v148, 0xf000, v148
	v_add_nc_u16 v158, 0xf000, v169
	;; [unrolled: 1-line block ×3, first 2 shown]
	v_perm_b32 v139, v139, v157, 0xc0c0105
	v_add_nc_u16 v149, 0xf000, v149
	v_perm_b32 v130, v130, v152, 0xc0c0105
	v_lshl_or_b32 v131, v131, 16, v145
	v_and_b32_e32 v145, 0xffff, v146
	v_perm_b32 v129, v129, v154, 0xc0c0105
	v_lshl_or_b32 v132, v134, 16, v132
	v_and_b32_e32 v134, 0xffff, v147
	v_and_b32_e32 v179, 0x100000, v179
	;; [unrolled: 1-line block ×3, first 2 shown]
	v_or3_b32 v140, v173, v142, v174
	v_or3_b32 v142, v142, v175, v176
	;; [unrolled: 1-line block ×3, first 2 shown]
	v_perm_b32 v135, v135, v156, 0xc0c0105
	v_lshl_or_b32 v133, v136, 16, v133
	v_and_b32_e32 v136, 0xffff, v148
	v_perm_b32 v138, v138, v158, 0xc0c0105
	v_lshl_or_b32 v137, v139, 16, v137
	v_and_b32_e32 v139, 0xffff, v149
	v_lshl_or_b32 v130, v130, 16, v145
	v_lshl_or_b32 v129, v129, 16, v134
	v_lshlrev_b32_e32 v180, 4, v127
	v_lshlrev_b32_e32 v181, 11, v127
	;; [unrolled: 1-line block ×4, first 2 shown]
	v_or3_b32 v141, v143, v179, v141
	v_lshrrev_b32_e32 v142, 16, v142
	v_and_b32_e32 v159, 0x1f00, v140
	v_lshlrev_b16 v140, 8, v140
	v_and_b32_e32 v160, 0x1f00, v150
	v_lshlrev_b16 v150, 8, v150
	v_lshl_or_b32 v134, v135, 16, v136
	v_lshl_or_b32 v135, v138, 16, v139
	s_waitcnt vmcnt(10)
	v_and_b32_e32 v144, 0xf0f0f0f, v128
	v_lshrrev_b32_e32 v128, 4, v128
	v_lshrrev_b32_e32 v184, 12, v127
	ds_write2_b32 v5, v131, v130 offset1:1
	ds_write2_b32 v6, v132, v129 offset1:1
	;; [unrolled: 1-line block ×4, first 2 shown]
	v_lshrrev_b32_e32 v129, 5, v127
	v_lshlrev_b32_e32 v130, 2, v127
	v_lshlrev_b32_e32 v127, 9, v127
	v_and_b32_e32 v180, 16, v180
	v_and_b32_e32 v181, 0x1000, v181
	v_and_b32_e32 v182, 0x100000, v182
	v_and_b32_e32 v183, 0x10000000, v183
	v_lshrrev_b32_e32 v141, 16, v141
	v_add_nc_u16 v159, 0xf000, v159
	v_add_nc_u16 v140, 0xf000, v140
	;; [unrolled: 1-line block ×3, first 2 shown]
	v_and_b32_e32 v170, 0x1f00, v142
	v_lshlrev_b16 v142, 8, v142
	v_and_b32_e32 v128, 0xf0f0f0f, v128
	v_and_b32_e32 v130, 0x100000, v130
	;; [unrolled: 1-line block ×3, first 2 shown]
	v_or3_b32 v143, v180, v144, v181
	v_or3_b32 v144, v144, v182, v183
	v_and_b32_e32 v171, 0x1f00, v141
	v_lshlrev_b16 v141, 8, v141
	v_perm_b32 v140, v140, v159, 0xc0c0105
	v_or_b32_sdwa v150, v160, v150 dst_sel:DWORD dst_unused:UNUSED_PAD src0_sel:DWORD src1_sel:BYTE_1
	v_add_nc_u16 v159, 0xf000, v170
	v_add_nc_u16 v142, 0xf000, v142
	v_and_b32_e32 v131, 16, v184
	v_and_b32_e32 v129, 0x1000, v129
	v_or3_b32 v130, v128, v130, v127
	v_add_co_u32 v127, s1, v89, s8
	v_lshrrev_b32_e32 v144, 16, v144
	v_add_nc_u16 v160, 0xf000, v171
	v_add_nc_u16 v141, 0xf000, v141
	v_perm_b32 v142, v142, v159, 0xc0c0105
	v_add_nc_u16 v150, 0xf000, v150
	v_or3_b32 v129, v131, v128, v129
	v_add_co_ci_u32_e64 v128, null, s19, v90, s1
	v_perm_b32 v141, v141, v160, 0xc0c0105
	v_lshl_or_b32 v140, v142, 16, v140
	v_and_b32_e32 v142, 0xffff, v150
	v_and_b32_e32 v133, 0x1f00, v144
	v_lshlrev_b16 v135, 8, v129
	global_load_dword v128, v[127:128], off
	v_and_b32_e32 v134, 0x1f00, v129
	v_add_co_u32 v129, s1, v87, s8
	v_lshl_or_b32 v136, v141, 16, v142
	v_add_nc_u16 v131, 0xf000, v133
	v_lshrrev_b32_e32 v133, 16, v130
	v_add_co_ci_u32_e64 v130, null, s19, v88, s1
	v_add_nc_u16 v135, 0xf000, v135
	v_and_b32_e32 v161, 0x1f00, v143
	v_lshlrev_b16 v143, 8, v143
	ds_write2_b32 v9, v140, v136 offset1:1
	v_lshlrev_b16 v136, 8, v144
	v_and_b32_e32 v137, 0x1f00, v133
	v_lshlrev_b16 v133, 8, v133
	global_load_dword v127, v[129:130], off
	v_or_b32_sdwa v129, v134, v135 dst_sel:DWORD dst_unused:UNUSED_PAD src0_sel:DWORD src1_sel:BYTE_1
	v_add_nc_u16 v161, 0xf000, v161
	v_add_nc_u16 v143, 0xf000, v143
	s_waitcnt vmcnt(10)
	v_ashrrev_i32_e32 v126, v28, v126
	v_add_nc_u16 v130, 0xf000, v136
	v_add_nc_u16 v134, 0xf000, v137
	;; [unrolled: 1-line block ×4, first 2 shown]
	v_perm_b32 v132, v143, v161, 0xc0c0105
	v_lshlrev_b32_e32 v135, 4, v126
	v_lshlrev_b32_e32 v136, 18, v126
	;; [unrolled: 1-line block ×4, first 2 shown]
	v_perm_b32 v130, v130, v131, 0xc0c0105
	v_perm_b32 v131, v133, v134, 0xc0c0105
	v_and_b32_e32 v129, 0xffff, v129
	v_and_b32_e32 v139, 0xf0f0f0f, v125
	;; [unrolled: 1-line block ×6, first 2 shown]
	v_lshrrev_b32_e32 v125, 4, v125
	v_lshl_or_b32 v132, v130, 16, v132
	v_lshl_or_b32 v131, v131, 16, v129
	v_lshrrev_b32_e32 v129, 12, v126
	v_lshrrev_b32_e32 v130, 5, v126
	v_or3_b32 v133, v139, v136, v137
	v_or3_b32 v134, v135, v139, v138
	v_and_b32_e32 v136, 0xf0f0f0f, v125
	v_and_b32_e32 v139, 16, v129
	;; [unrolled: 1-line block ×3, first 2 shown]
	v_add_co_u32 v125, s1, v93, s8
	v_lshlrev_b32_e32 v137, 2, v126
	v_lshlrev_b32_e32 v138, 9, v126
	v_add_co_ci_u32_e64 v126, null, s19, v94, s1
	v_add_co_u32 v129, s1, v91, s8
	v_add_co_ci_u32_e64 v130, null, s19, v92, s1
	v_or3_b32 v139, v139, v136, v140
	v_lshrrev_b32_e32 v133, 16, v133
	v_and_b32_e32 v135, 0x1f00, v134
	v_lshlrev_b16 v134, 8, v134
	v_and_b32_e32 v137, 0x100000, v137
	v_and_b32_e32 v138, 0x10000000, v138
	global_load_dword v126, v[125:126], off
	global_load_dword v125, v[129:130], off
	v_lshlrev_b16 v130, 8, v139
	v_add_nc_u16 v129, 0xf000, v134
	v_and_b32_e32 v134, 0x1f00, v133
	v_lshlrev_b16 v133, 8, v133
	v_or3_b32 v136, v136, v137, v138
	v_and_b32_e32 v137, 0x1f00, v139
	v_add_nc_u16 v130, 0xf000, v130
	v_add_nc_u16 v135, 0xf000, v135
	;; [unrolled: 1-line block ×4, first 2 shown]
	v_lshrrev_b32_e32 v136, 16, v136
	v_or_b32_sdwa v130, v137, v130 dst_sel:DWORD dst_unused:UNUSED_PAD src0_sel:DWORD src1_sel:BYTE_1
	v_perm_b32 v129, v129, v135, 0xc0c0105
	s_waitcnt vmcnt(10)
	v_ashrrev_i32_e32 v124, v28, v124
	v_perm_b32 v133, v133, v134, 0xc0c0105
	v_and_b32_e32 v138, 0x1f00, v136
	v_lshlrev_b16 v136, 8, v136
	v_add_nc_u16 v130, 0xf000, v130
	ds_write2_b32 v10, v132, v131 offset1:1
	v_lshl_or_b32 v131, v133, 16, v129
	v_lshlrev_b32_e32 v129, 18, v124
	v_add_nc_u16 v134, 0xf000, v138
	v_add_nc_u16 v135, 0xf000, v136
	v_and_b32_e32 v133, 0xffff, v130
	v_lshlrev_b32_e32 v130, 25, v124
	v_and_b32_e32 v137, 0x100000, v129
	v_add_co_u32 v129, s1, v97, s8
	v_perm_b32 v132, v135, v134, 0xc0c0105
	v_and_b32_e32 v134, 0xf0f0f0f, v123
	v_lshlrev_b32_e32 v135, 4, v124
	v_lshlrev_b32_e32 v136, 11, v124
	v_and_b32_e32 v138, 0x10000000, v130
	v_add_co_ci_u32_e64 v130, null, s19, v98, s1
	v_lshl_or_b32 v132, v132, 16, v133
	v_and_b32_e32 v133, 16, v135
	v_and_b32_e32 v135, 0x1000, v136
	v_or3_b32 v136, v134, v137, v138
	global_load_dword v137, v[129:130], off
	v_add_co_u32 v129, s1, v95, s8
	v_add_co_ci_u32_e64 v130, null, s19, v96, s1
	ds_write2_b32 v11, v131, v132 offset1:1
	v_or3_b32 v131, v133, v134, v135
	v_lshrrev_b32_e32 v132, 16, v136
	global_load_dword v129, v[129:130], off
	v_lshrrev_b32_e32 v123, 4, v123
	v_lshlrev_b32_e32 v130, 2, v124
	v_lshlrev_b32_e32 v133, 9, v124
	v_and_b32_e32 v135, 0x1f00, v132
	v_lshlrev_b16 v132, 8, v132
	v_and_b32_e32 v123, 0xf0f0f0f, v123
	v_and_b32_e32 v130, 0x100000, v130
	;; [unrolled: 1-line block ×4, first 2 shown]
	v_lshlrev_b16 v131, 8, v131
	v_add_nc_u16 v132, 0xf000, v132
	s_waitcnt vmcnt(11)
	v_and_b32_e32 v136, 0xf0f0f0f, v121
	v_or3_b32 v130, v123, v130, v133
	v_add_nc_u16 v133, 0xf000, v135
	v_lshrrev_b32_e32 v135, 12, v124
	v_lshrrev_b32_e32 v124, 5, v124
	v_add_nc_u16 v134, 0xf000, v134
	v_add_nc_u16 v131, 0xf000, v131
	v_lshrrev_b32_e32 v130, 16, v130
	v_perm_b32 v132, v132, v133, 0xc0c0105
	v_and_b32_e32 v133, 16, v135
	v_and_b32_e32 v124, 0x1000, v124
	v_perm_b32 v131, v131, v134, 0xc0c0105
	s_waitcnt vmcnt(10)
	v_ashrrev_i32_e32 v135, v28, v122
	v_and_b32_e32 v134, 0x1f00, v130
	v_lshrrev_b32_e32 v121, 4, v121
	v_or3_b32 v122, v133, v123, v124
	v_lshl_or_b32 v131, v132, 16, v131
	v_lshlrev_b32_e32 v123, 4, v135
	v_lshlrev_b32_e32 v132, 11, v135
	v_add_nc_u16 v124, 0xf000, v134
	v_and_b32_e32 v133, 0x1f00, v122
	v_lshlrev_b16 v134, 8, v122
	v_add_co_u32 v122, s1, v101, s8
	v_and_b32_e32 v138, 16, v123
	v_and_b32_e32 v132, 0x1000, v132
	v_lshlrev_b32_e32 v139, 18, v135
	v_lshlrev_b32_e32 v140, 25, v135
	v_add_co_ci_u32_e64 v123, null, s19, v102, s1
	v_or3_b32 v132, v138, v136, v132
	v_and_b32_e32 v138, 0x100000, v139
	v_and_b32_e32 v139, 0x10000000, v140
	global_load_dword v140, v[122:123], off
	v_add_nc_u16 v134, 0xf000, v134
	v_add_co_u32 v122, s1, v99, s8
	v_add_co_ci_u32_e64 v123, null, s19, v100, s1
	v_or_b32_sdwa v133, v133, v134 dst_sel:DWORD dst_unused:UNUSED_PAD src0_sel:DWORD src1_sel:BYTE_1
	v_or3_b32 v134, v136, v138, v139
	v_lshrrev_b32_e32 v138, 12, v135
	global_load_dword v136, v[122:123], off
	v_and_b32_e32 v121, 0xf0f0f0f, v121
	v_add_nc_u16 v122, 0xf000, v133
	v_lshrrev_b32_e32 v123, 16, v134
	v_lshlrev_b32_e32 v133, 2, v135
	v_lshlrev_b32_e32 v134, 9, v135
	v_lshrrev_b32_e32 v135, 5, v135
	v_and_b32_e32 v138, 16, v138
	v_and_b32_e32 v139, 0x1f00, v123
	;; [unrolled: 1-line block ×5, first 2 shown]
	v_lshlrev_b16 v123, 8, v123
	v_lshlrev_b16 v130, 8, v130
	s_waitcnt vmcnt(10)
	v_ashrrev_i32_e32 v4, v28, v4
	v_or3_b32 v133, v121, v133, v134
	v_or3_b32 v121, v138, v121, v135
	v_add_nc_u16 v134, 0xf000, v139
	v_add_nc_u16 v123, 0xf000, v123
	v_and_b32_e32 v135, 0xffff, v122
	v_add_nc_u16 v130, 0xf000, v130
	v_lshlrev_b16 v122, 8, v121
	v_lshrrev_b32_e32 v133, 16, v133
	v_perm_b32 v123, v123, v134, 0xc0c0105
	v_and_b32_e32 v134, 0x1f00, v121
	v_add_co_u32 v121, s1, v106, s8
	v_add_nc_u16 v138, 0xf000, v122
	v_add_co_ci_u32_e64 v122, null, s19, v107, s1
	v_perm_b32 v124, v130, v124, 0xc0c0105
	v_and_b32_e32 v130, 0x1f00, v132
	v_or_b32_sdwa v134, v134, v138 dst_sel:DWORD dst_unused:UNUSED_PAD src0_sel:DWORD src1_sel:BYTE_1
	global_load_dword v138, v[121:122], off
	v_add_co_u32 v121, s1, v103, s8
	v_lshlrev_b16 v132, 8, v132
	v_add_co_ci_u32_e64 v122, null, s19, v104, s1
	v_add_nc_u16 v130, 0xf000, v130
	v_lshlrev_b32_e32 v139, 4, v4
	v_add_nc_u16 v132, 0xf000, v132
	global_load_dword v143, v[121:122], off
	v_lshlrev_b32_e32 v141, 11, v4
	v_add_nc_u16 v134, 0xf000, v134
	v_lshlrev_b32_e32 v142, 18, v4
	v_perm_b32 v130, v132, v130, 0xc0c0105
	v_and_b32_e32 v132, 0x1f00, v133
	v_lshlrev_b16 v133, 8, v133
	v_lshlrev_b32_e32 v121, 25, v4
	v_and_b32_e32 v122, 0xf0f0f0f, v3
	v_and_b32_e32 v139, 16, v139
	v_add_nc_u16 v132, 0xf000, v132
	v_add_nc_u16 v133, 0xf000, v133
	v_and_b32_e32 v141, 0x1000, v141
	v_and_b32_e32 v142, 0x100000, v142
	;; [unrolled: 1-line block ×3, first 2 shown]
	v_lshl_or_b32 v124, v124, 16, v135
	v_perm_b32 v132, v133, v132, 0xc0c0105
	v_and_b32_e32 v133, 0xffff, v134
	v_or3_b32 v134, v139, v122, v141
	v_or3_b32 v121, v122, v142, v121
	v_lshl_or_b32 v122, v123, 16, v130
	v_lshrrev_b32_e32 v3, 4, v3
	v_lshl_or_b32 v123, v132, 16, v133
	v_lshlrev_b16 v132, 8, v134
	ds_write2_b32 v12, v131, v124 offset1:1
	ds_write2_b32 v13, v122, v123 offset1:1
	v_lshrrev_b32_e32 v123, 12, v4
	v_add_nc_u16 v131, 0xf000, v132
	v_lshrrev_b32_e32 v124, 5, v4
	v_lshlrev_b32_e32 v132, 2, v4
	v_lshlrev_b32_e32 v4, 9, v4
	v_lshrrev_b32_e32 v121, 16, v121
	v_and_b32_e32 v133, 0xf0f0f0f, v3
	v_add_co_u32 v3, s1, v108, s8
	v_and_b32_e32 v130, 0x1f00, v134
	v_and_b32_e32 v123, 16, v123
	;; [unrolled: 1-line block ×5, first 2 shown]
	v_add_co_ci_u32_e64 v4, null, s19, v109, s1
	v_and_b32_e32 v122, 0x1f00, v121
	v_lshlrev_b16 v121, 8, v121
	v_or3_b32 v141, v123, v133, v124
	v_or3_b32 v132, v133, v132, v134
	global_load_ushort v133, v[3:4], off
	v_add_co_u32 v3, s1, v111, s8
	v_add_nc_u16 v139, 0xf000, v121
	v_add_co_ci_u32_e64 v4, null, s19, v112, s1
	v_add_co_u32 v121, s1, v113, s8
	v_add_nc_u16 v135, 0xf000, v122
	v_add_co_ci_u32_e64 v122, null, s19, v114, s1
	v_add_co_u32 v123, s1, v115, s8
	v_add_co_ci_u32_e64 v124, null, s19, v116, s1
	global_load_ushort v3, v[3:4], off
	global_load_ushort v4, v[121:122], off
	global_load_ushort v121, v[123:124], off
	v_add_nc_u16 v130, 0xf000, v130
	s_waitcnt vmcnt(14)
	v_ashrrev_i32_e32 v2, v28, v2
	v_lshlrev_b16 v123, 8, v141
	v_perm_b32 v124, v139, v135, 0xc0c0105
	v_lshrrev_b32_e32 v132, 16, v132
	v_perm_b32 v122, v131, v130, 0xc0c0105
	v_lshlrev_b32_e32 v131, 4, v2
	v_lshlrev_b32_e32 v135, 11, v2
	v_and_b32_e32 v134, 0x1f00, v141
	v_add_nc_u16 v123, 0xf000, v123
	v_and_b32_e32 v139, 0xf0f0f0f, v1
	v_and_b32_e32 v131, 16, v131
	v_lshlrev_b32_e32 v141, 18, v2
	v_lshlrev_b32_e32 v142, 25, v2
	v_and_b32_e32 v135, 0x1000, v135
	v_and_b32_e32 v130, 0x1f00, v132
	v_lshlrev_b16 v132, 8, v132
	v_or_b32_sdwa v123, v134, v123 dst_sel:DWORD dst_unused:UNUSED_PAD src0_sel:DWORD src1_sel:BYTE_1
	v_and_b32_e32 v134, 0x100000, v141
	v_and_b32_e32 v141, 0x10000000, v142
	v_or3_b32 v131, v131, v139, v135
	v_add_nc_u16 v130, 0xf000, v130
	v_add_nc_u16 v132, 0xf000, v132
	v_lshl_or_b32 v122, v124, 16, v122
	v_or3_b32 v134, v139, v134, v141
	v_and_b32_e32 v135, 0x1f00, v131
	v_lshrrev_b32_e32 v1, 4, v1
	v_perm_b32 v124, v132, v130, 0xc0c0105
	v_lshlrev_b32_e32 v139, 2, v2
	v_lshrrev_b32_e32 v130, 16, v134
	v_add_nc_u16 v132, 0xf000, v135
	v_lshrrev_b32_e32 v134, 12, v2
	v_lshrrev_b32_e32 v135, 5, v2
	v_lshlrev_b32_e32 v2, 9, v2
	v_add_nc_u16 v123, 0xf000, v123
	v_and_b32_e32 v1, 0xf0f0f0f, v1
	v_and_b32_e32 v134, 16, v134
	v_and_b32_e32 v135, 0x1000, v135
	v_and_b32_e32 v139, 0x100000, v139
	v_and_b32_e32 v2, 0x10000000, v2
	v_and_b32_e32 v123, 0xffff, v123
	v_lshlrev_b16 v131, 8, v131
	v_and_b32_e32 v141, 0x1f00, v130
	v_lshlrev_b16 v130, 8, v130
	v_or3_b32 v134, v134, v1, v135
	v_or3_b32 v1, v1, v139, v2
	v_add_nc_u16 v131, 0xf000, v131
	v_add_nc_u16 v2, 0xf000, v141
	;; [unrolled: 1-line block ×3, first 2 shown]
	v_lshl_or_b32 v123, v124, 16, v123
	v_lshlrev_b16 v124, 8, v134
	v_lshrrev_b32_e32 v1, 16, v1
	v_perm_b32 v131, v131, v132, 0xc0c0105
	v_perm_b32 v2, v130, v2, 0xc0c0105
	v_and_b32_e32 v130, 0x1f00, v134
	v_add_nc_u16 v124, 0xf000, v124
	v_and_b32_e32 v132, 0x1f00, v1
	s_waitcnt vmcnt(13)
	v_ashrrev_i32_e32 v128, v28, v128
	v_lshlrev_b16 v1, 8, v1
	v_lshl_or_b32 v2, v2, 16, v131
	v_or_b32_sdwa v124, v130, v124 dst_sel:DWORD dst_unused:UNUSED_PAD src0_sel:DWORD src1_sel:BYTE_1
	v_add_nc_u16 v130, 0xf000, v132
	v_lshlrev_b32_e32 v131, 4, v128
	v_lshlrev_b32_e32 v132, 11, v128
	v_add_nc_u16 v1, 0xf000, v1
	s_waitcnt vmcnt(12)
	v_and_b32_e32 v134, 0xf0f0f0f, v127
	v_lshlrev_b32_e32 v135, 25, v128
	v_and_b32_e32 v131, 16, v131
	v_and_b32_e32 v132, 0x1000, v132
	v_perm_b32 v1, v1, v130, 0xc0c0105
	v_lshlrev_b32_e32 v130, 18, v128
	v_lshrrev_b32_e32 v127, 4, v127
	v_lshlrev_b32_e32 v139, 9, v128
	v_or3_b32 v131, v131, v134, v132
	v_and_b32_e32 v132, 0x10000000, v135
	v_lshlrev_b32_e32 v135, 2, v128
	v_and_b32_e32 v130, 0x100000, v130
	v_lshrrev_b32_e32 v141, 12, v128
	v_lshrrev_b32_e32 v128, 5, v128
	v_and_b32_e32 v127, 0xf0f0f0f, v127
	v_and_b32_e32 v135, 0x100000, v135
	;; [unrolled: 1-line block ×3, first 2 shown]
	v_or3_b32 v130, v134, v130, v132
	v_and_b32_e32 v132, 16, v141
	v_and_b32_e32 v128, 0x1000, v128
	;; [unrolled: 1-line block ×3, first 2 shown]
	v_or3_b32 v135, v127, v135, v139
	v_lshrrev_b32_e32 v130, 16, v130
	v_lshlrev_b16 v131, 8, v131
	v_or3_b32 v127, v132, v127, v128
	v_add_nc_u16 v128, 0xf000, v134
	v_lshrrev_b32_e32 v132, 16, v135
	v_and_b32_e32 v134, 0x1f00, v130
	v_lshlrev_b16 v130, 8, v130
	v_lshlrev_b16 v135, 8, v127
	v_and_b32_e32 v127, 0x1f00, v127
	v_and_b32_e32 v139, 0x1f00, v132
	v_lshlrev_b16 v132, 8, v132
	v_add_nc_u16 v131, 0xf000, v131
	v_add_nc_u16 v135, 0xf000, v135
	v_add_nc_u16 v134, 0xf000, v134
	v_add_nc_u16 v130, 0xf000, v130
	v_add_nc_u16 v139, 0xf000, v139
	v_add_nc_u16 v132, 0xf000, v132
	v_or_b32_sdwa v127, v127, v135 dst_sel:DWORD dst_unused:UNUSED_PAD src0_sel:DWORD src1_sel:BYTE_1
	v_add_nc_u16 v124, 0xf000, v124
	v_perm_b32 v128, v131, v128, 0xc0c0105
	v_perm_b32 v130, v130, v134, 0xc0c0105
	;; [unrolled: 1-line block ×3, first 2 shown]
	v_add_nc_u16 v127, 0xf000, v127
	s_waitcnt vmcnt(11)
	v_ashrrev_i32_e32 v126, v28, v126
	v_and_b32_e32 v124, 0xffff, v124
	s_waitcnt vmcnt(10)
	v_and_b32_e32 v135, 0xf0f0f0f, v125
	v_lshl_or_b32 v128, v130, 16, v128
	v_and_b32_e32 v127, 0xffff, v127
	v_lshlrev_b32_e32 v132, 4, v126
	v_lshlrev_b32_e32 v134, 11, v126
	v_lshlrev_b32_e32 v139, 18, v126
	v_lshlrev_b32_e32 v141, 25, v126
	v_lshl_or_b32 v1, v1, 16, v124
	v_and_b32_e32 v132, 16, v132
	v_and_b32_e32 v134, 0x1000, v134
	;; [unrolled: 1-line block ×4, first 2 shown]
	v_lshl_or_b32 v127, v131, 16, v127
	ds_write2_b32 v14, v122, v123 offset1:1
	v_or3_b32 v124, v132, v135, v134
	ds_write2_b32 v15, v2, v1 offset1:1
	ds_write2_b32 v16, v128, v127 offset1:1
	v_or3_b32 v130, v135, v139, v141
	v_lshrrev_b32_e32 v2, 4, v125
	v_and_b32_e32 v122, 0x1f00, v124
	v_lshlrev_b16 v123, 8, v124
	v_lshlrev_b32_e32 v124, 2, v126
	v_lshlrev_b32_e32 v125, 9, v126
	v_lshrrev_b32_e32 v127, 12, v126
	v_lshrrev_b32_e32 v126, 5, v126
	;; [unrolled: 1-line block ×3, first 2 shown]
	v_and_b32_e32 v2, 0xf0f0f0f, v2
	v_and_b32_e32 v124, 0x100000, v124
	;; [unrolled: 1-line block ×5, first 2 shown]
	v_add_nc_u16 v122, 0xf000, v122
	v_and_b32_e32 v128, 0x1f00, v1
	v_or3_b32 v124, v2, v124, v125
	v_add_nc_u16 v123, 0xf000, v123
	v_or3_b32 v2, v127, v2, v126
	v_lshlrev_b16 v1, 8, v1
	v_add_nc_u16 v125, 0xf000, v128
	v_lshrrev_b32_e32 v124, 16, v124
	s_waitcnt vmcnt(9)
	v_ashrrev_i32_e32 v126, v28, v137
	v_perm_b32 v122, v123, v122, 0xc0c0105
	v_lshlrev_b16 v123, 8, v2
	v_add_nc_u16 v1, 0xf000, v1
	v_and_b32_e32 v2, 0x1f00, v2
	v_lshlrev_b32_e32 v127, 4, v126
	v_lshlrev_b32_e32 v128, 11, v126
	v_add_nc_u16 v123, 0xf000, v123
	s_waitcnt vmcnt(8)
	v_and_b32_e32 v130, 0xf0f0f0f, v129
	v_lshlrev_b32_e32 v131, 18, v126
	v_and_b32_e32 v127, 16, v127
	v_lshlrev_b32_e32 v132, 25, v126
	v_and_b32_e32 v128, 0x1000, v128
	v_perm_b32 v1, v1, v125, 0xc0c0105
	v_and_b32_e32 v125, 0x1f00, v124
	v_lshlrev_b16 v124, 8, v124
	v_or_b32_sdwa v2, v2, v123 dst_sel:DWORD dst_unused:UNUSED_PAD src0_sel:DWORD src1_sel:BYTE_1
	v_and_b32_e32 v123, 0x100000, v131
	v_and_b32_e32 v131, 0x10000000, v132
	v_or3_b32 v127, v127, v130, v128
	v_add_nc_u16 v125, 0xf000, v125
	v_add_nc_u16 v124, 0xf000, v124
	v_lshl_or_b32 v1, v1, 16, v122
	v_or3_b32 v123, v130, v123, v131
	v_and_b32_e32 v128, 0x1f00, v127
	v_lshlrev_b32_e32 v130, 2, v126
	v_perm_b32 v122, v124, v125, 0xc0c0105
	v_lshlrev_b16 v125, 8, v127
	v_lshrrev_b32_e32 v123, 16, v123
	v_add_nc_u16 v124, 0xf000, v128
	v_lshrrev_b32_e32 v127, 4, v129
	v_lshrrev_b32_e32 v128, 12, v126
	v_lshrrev_b32_e32 v129, 5, v126
	v_lshlrev_b32_e32 v126, 9, v126
	v_add_nc_u16 v2, 0xf000, v2
	v_and_b32_e32 v127, 0xf0f0f0f, v127
	v_and_b32_e32 v128, 16, v128
	;; [unrolled: 1-line block ×6, first 2 shown]
	v_lshlrev_b16 v123, 8, v123
	v_and_b32_e32 v2, 0xffff, v2
	v_add_nc_u16 v125, 0xf000, v125
	v_or3_b32 v128, v128, v127, v129
	v_or3_b32 v126, v127, v130, v126
	v_add_nc_u16 v127, 0xf000, v131
	v_add_nc_u16 v123, 0xf000, v123
	v_lshl_or_b32 v2, v122, 16, v2
	v_lshlrev_b16 v122, 8, v128
	v_lshrrev_b32_e32 v126, 16, v126
	v_perm_b32 v124, v125, v124, 0xc0c0105
	v_perm_b32 v123, v123, v127, 0xc0c0105
	v_and_b32_e32 v125, 0x1f00, v128
	v_add_nc_u16 v122, 0xf000, v122
	v_and_b32_e32 v127, 0x1f00, v126
	s_waitcnt vmcnt(7)
	v_ashrrev_i32_e32 v128, v28, v140
	v_lshl_or_b32 v123, v123, 16, v124
	v_lshlrev_b16 v124, 8, v126
	v_or_b32_sdwa v122, v125, v122 dst_sel:DWORD dst_unused:UNUSED_PAD src0_sel:DWORD src1_sel:BYTE_1
	v_add_nc_u16 v125, 0xf000, v127
	v_lshlrev_b32_e32 v126, 4, v128
	v_lshlrev_b32_e32 v127, 11, v128
	v_add_nc_u16 v124, 0xf000, v124
	s_waitcnt vmcnt(6)
	v_and_b32_e32 v129, 0xf0f0f0f, v136
	v_lshlrev_b32_e32 v130, 25, v128
	v_and_b32_e32 v126, 16, v126
	v_and_b32_e32 v127, 0x1000, v127
	v_perm_b32 v124, v124, v125, 0xc0c0105
	v_lshlrev_b32_e32 v125, 18, v128
	v_and_b32_e32 v130, 0x10000000, v130
	v_lshlrev_b32_e32 v131, 2, v128
	v_or3_b32 v126, v126, v129, v127
	v_lshrrev_b32_e32 v127, 4, v136
	v_and_b32_e32 v125, 0x100000, v125
	v_lshlrev_b32_e32 v132, 9, v128
	v_lshrrev_b32_e32 v134, 12, v128
	v_lshrrev_b32_e32 v128, 5, v128
	v_and_b32_e32 v127, 0xf0f0f0f, v127
	v_and_b32_e32 v131, 0x100000, v131
	v_and_b32_e32 v132, 0x10000000, v132
	v_or3_b32 v125, v129, v125, v130
	v_and_b32_e32 v129, 16, v134
	v_and_b32_e32 v128, 0x1000, v128
	;; [unrolled: 1-line block ×3, first 2 shown]
	v_or3_b32 v131, v127, v131, v132
	v_lshrrev_b32_e32 v125, 16, v125
	v_lshlrev_b16 v126, 8, v126
	v_or3_b32 v127, v129, v127, v128
	v_add_nc_u16 v128, 0xf000, v130
	v_lshrrev_b32_e32 v129, 16, v131
	v_and_b32_e32 v130, 0x1f00, v125
	v_lshlrev_b16 v125, 8, v125
	v_lshlrev_b16 v131, 8, v127
	v_and_b32_e32 v127, 0x1f00, v127
	v_and_b32_e32 v132, 0x1f00, v129
	v_lshlrev_b16 v129, 8, v129
	v_add_nc_u16 v126, 0xf000, v126
	v_add_nc_u16 v131, 0xf000, v131
	;; [unrolled: 1-line block ×6, first 2 shown]
	v_or_b32_sdwa v127, v127, v131 dst_sel:DWORD dst_unused:UNUSED_PAD src0_sel:DWORD src1_sel:BYTE_1
	s_waitcnt vmcnt(5)
	v_ashrrev_i32_e32 v131, v28, v138
	v_perm_b32 v126, v126, v128, 0xc0c0105
	v_perm_b32 v125, v125, v130, 0xc0c0105
	;; [unrolled: 1-line block ×3, first 2 shown]
	s_waitcnt vmcnt(4)
	v_lshrrev_b32_e32 v136, 4, v143
	v_lshlrev_b32_e32 v129, 4, v131
	v_lshlrev_b32_e32 v130, 11, v131
	;; [unrolled: 1-line block ×4, first 2 shown]
	v_lshrrev_b32_e32 v137, 12, v131
	v_lshrrev_b32_e32 v138, 5, v131
	v_and_b32_e32 v132, 0xf0f0f0f, v143
	v_and_b32_e32 v129, 16, v129
	v_and_b32_e32 v130, 0x1000, v130
	v_and_b32_e32 v134, 0x100000, v134
	v_and_b32_e32 v135, 0x10000000, v135
	v_and_b32_e32 v136, 0xf0f0f0f, v136
	v_lshlrev_b32_e32 v139, 2, v131
	v_lshlrev_b32_e32 v131, 9, v131
	v_and_b32_e32 v137, 16, v137
	v_and_b32_e32 v138, 0x1000, v138
	v_or3_b32 v129, v129, v132, v130
	v_and_b32_e32 v130, 0x100000, v139
	v_and_b32_e32 v131, 0x10000000, v131
	v_or3_b32 v132, v132, v134, v135
	v_or3_b32 v134, v137, v136, v138
	v_and_b32_e32 v135, 0x1f00, v129
	v_lshlrev_b16 v129, 8, v129
	v_or3_b32 v130, v136, v130, v131
	v_lshrrev_b32_e32 v131, 16, v132
	v_lshlrev_b16 v132, 8, v134
	v_and_b32_e32 v134, 0x1f00, v134
	v_add_nc_u16 v122, 0xf000, v122
	v_lshrrev_b32_e32 v130, 16, v130
	v_and_b32_e32 v136, 0x1f00, v131
	v_add_nc_u16 v132, 0xf000, v132
	v_lshlrev_b16 v131, 8, v131
	v_add_nc_u16 v127, 0xf000, v127
	v_and_b32_e32 v137, 0x1f00, v130
	v_lshlrev_b16 v130, 8, v130
	v_or_b32_sdwa v132, v134, v132 dst_sel:DWORD dst_unused:UNUSED_PAD src0_sel:DWORD src1_sel:BYTE_1
	v_add_nc_u16 v135, 0xf000, v135
	v_add_nc_u16 v129, 0xf000, v129
	;; [unrolled: 1-line block ×7, first 2 shown]
	v_and_b32_e32 v122, 0xffff, v122
	v_and_b32_e32 v127, 0xffff, v127
	v_perm_b32 v129, v129, v135, 0xc0c0105
	v_perm_b32 v131, v131, v134, 0xc0c0105
	;; [unrolled: 1-line block ×3, first 2 shown]
	v_and_b32_e32 v132, 0xffff, v132
	v_lshl_or_b32 v122, v124, 16, v122
	ds_write2_b32 v17, v1, v2 offset1:1
	s_waitcnt vmcnt(3)
	v_cvt_f32_f16_e32 v1, v133
	v_lshl_or_b32 v124, v125, 16, v126
	v_lshl_or_b32 v125, v128, 16, v127
	;; [unrolled: 1-line block ×4, first 2 shown]
	ds_write2_b32 v18, v123, v122 offset1:1
	ds_write2_b32 v19, v124, v125 offset1:1
	;; [unrolled: 1-line block ×3, first 2 shown]
	s_waitcnt vmcnt(2)
	v_cvt_f32_f16_e32 v2, v3
	ds_write_b32 v117, v1
	s_waitcnt vmcnt(1)
	v_cvt_f32_f16_e32 v1, v4
	s_waitcnt vmcnt(0)
	v_cvt_f32_f16_e32 v3, v121
	s_add_i32 s1, s10, 0xffffff80
	ds_write_b32 v118, v2
	s_cmp_lt_i32 s1, s9
	ds_write_b32 v119, v1
	ds_write_b32 v120, v3
	s_cbranch_scc0 .LBB202_5
; %bb.7:                                ;   in Loop: Header=BB202_6 Depth=1
	v_add_nc_u32_e32 v1, s4, v29
	v_cmp_gt_i32_e64 s1, s12, v1
	s_and_b32 s16, s0, s1
	s_and_saveexec_b32 s1, s16
	s_cbranch_execz .LBB202_9
; %bb.8:                                ;   in Loop: Header=BB202_6 Depth=1
	v_add_nc_u32_e32 v1, s4, v41
	v_mad_i64_i32 v[1:2], null, v1, 36, v[21:22]
	global_load_dword v1, v[1:2], off offset:4
	s_waitcnt vmcnt(0)
	ds_write_b32 v31, v1
.LBB202_9:                              ;   in Loop: Header=BB202_6 Depth=1
	s_or_b32 exec_lo, exec_lo, s1
	v_add_nc_u32_e32 v121, s4, v0
	v_cmp_gt_i32_e64 s1, s12, v121
	s_and_b32 s16, s5, s1
	s_and_saveexec_b32 s1, s16
	s_cbranch_execz .LBB202_11
; %bb.10:                               ;   in Loop: Header=BB202_6 Depth=1
	v_add_nc_u32_e32 v1, s4, v42
	v_mad_i64_i32 v[1:2], null, v1, 36, s[6:7]
	global_load_dword v1, v[1:2], off
	s_waitcnt vmcnt(0)
	v_cvt_f32_f16_e32 v1, v1
	ds_write_b32 v33, v1
.LBB202_11:                             ;   in Loop: Header=BB202_6 Depth=1
	s_or_b32 exec_lo, exec_lo, s1
	v_add_nc_u32_e32 v1, 0x2080, v34
	s_waitcnt lgkmcnt(0)
	s_barrier
	buffer_gl0_inv
	ds_read_b128 v[122:125], v30
	ds_read2_b32 v[130:131], v34 offset1:1
	ds_read_b128 v[126:129], v30 offset:16
	ds_read2_b32 v[132:133], v1 offset1:1
	ds_read_b128 v[1:4], v32
	ds_read2_b32 v[134:135], v34 offset0:2 offset1:3
	v_add_nc_u32_e32 v138, 0x2088, v34
	v_add_nc_u32_e32 v146, 0x4100, v34
	ds_read2_b32 v[136:137], v34 offset0:4 offset1:5
	ds_read2_b32 v[138:139], v138 offset1:1
	ds_read2_b32 v[140:141], v38 offset1:1
	ds_read2_b32 v[142:143], v38 offset0:2 offset1:3
	ds_read2_b32 v[144:145], v34 offset0:6 offset1:7
	ds_read2_b32 v[146:147], v146 offset1:1
	ds_read2_b32 v[148:149], v34 offset0:8 offset1:9
	v_mov_b32_e32 v168, 0
	v_mov_b32_e32 v169, 0
	v_add_nc_u32_e32 v150, 0x2090, v34
	v_mov_b32_e32 v170, 0
	v_add_nc_u32_e32 v154, 0x2098, v34
	v_add_nc_u32_e32 v161, 0x6188, v34
	v_mov_b32_e32 v174, 0
	ds_read2_b32 v[150:151], v150 offset1:1
	v_add_nc_u32_e32 v160, 0x4118, v34
	ds_read2_b32 v[154:155], v154 offset1:1
	s_waitcnt lgkmcnt(11)
	v_dot4c_i32_i8 v169, v132, v122
	v_dot4c_i32_i8 v168, v130, v122
	v_add_nc_u32_e32 v130, 0x4108, v34
	v_add_nc_u32_e32 v132, 0x6180, v34
	v_mov_b32_e32 v175, 0
	v_dot4c_i32_i8 v169, v133, v126
	v_dot4c_i32_i8 v168, v131, v126
	ds_read2_b32 v[152:153], v130 offset1:1
	ds_read2_b32 v[156:157], v132 offset1:1
	v_add_nc_u32_e32 v131, 0x4110, v34
	s_waitcnt lgkmcnt(5)
	v_dot4c_i32_i8 v170, v146, v122
	v_dot4c_i32_i8 v168, v134, v123
	v_dot4c_i32_i8 v169, v138, v123
	v_add_nc_u32_e32 v172, 0x61a0, v34
	ds_read2_b32 v[158:159], v131 offset1:1
	v_dot4c_i32_i8 v170, v147, v126
	ds_read2_b32 v[146:147], v161 offset1:1
	v_dot4c_i32_i8 v168, v135, v127
	v_dot4c_i32_i8 v169, v139, v127
	ds_read2_b32 v[138:139], v35 offset1:1
	ds_read_b128 v[130:133], v30 offset:32
	v_mov_b32_e32 v176, 0
	v_dot4c_i32_i8 v168, v136, v124
	s_waitcnt lgkmcnt(7)
	v_dot4c_i32_i8 v169, v150, v124
	v_mov_b32_e32 v177, 0
	v_mov_b32_e32 v178, 0
	s_cmp_ge_i32 s10, s9
	s_waitcnt lgkmcnt(5)
	v_dot4c_i32_i8 v170, v152, v123
	s_waitcnt lgkmcnt(4)
	v_dot4c_i32_i8 v174, v156, v122
	v_dot4c_i32_i8 v168, v137, v128
	v_dot4c_i32_i8 v169, v151, v128
	ds_read2_b32 v[150:151], v160 offset1:1
	v_dot4c_i32_i8 v170, v153, v127
	v_dot4c_i32_i8 v174, v157, v126
	;; [unrolled: 1-line block ×3, first 2 shown]
	v_add_nc_u32_e32 v122, 0x6190, v34
	ds_read_b128 v[134:137], v30 offset:48
	v_dot4c_i32_i8 v169, v154, v125
	s_waitcnt lgkmcnt(5)
	v_dot4c_i32_i8 v170, v158, v124
	v_add_nc_u32_e32 v154, 0x6198, v34
	s_waitcnt lgkmcnt(4)
	v_dot4c_i32_i8 v174, v146, v123
	v_dot4c_i32_i8 v168, v145, v129
	ds_read2_b32 v[144:145], v36 offset1:1
	ds_read2_b32 v[152:153], v37 offset1:1
	v_add_nc_u32_e32 v160, 0x20a0, v34
	ds_read2_b32 v[156:157], v122 offset1:1
	v_dot4c_i32_i8 v170, v159, v128
	ds_read2_b32 v[158:159], v154 offset1:1
	ds_read2_b32 v[160:161], v160 offset1:1
	ds_read2_b32 v[162:163], v34 offset0:26 offset1:27
	ds_read2_b32 v[164:165], v34 offset0:28 offset1:29
	;; [unrolled: 1-line block ×3, first 2 shown]
	v_dot4c_i32_i8 v169, v155, v129
	v_dot4c_i32_i8 v174, v147, v127
	ds_read2_b32 v[122:123], v34 offset0:10 offset1:11
	ds_read2_b32 v[146:147], v36 offset0:2 offset1:3
	;; [unrolled: 1-line block ×3, first 2 shown]
	s_waitcnt lgkmcnt(13)
	v_dot4c_i32_i8 v175, v148, v130
	ds_read2_b32 v[126:127], v34 offset0:12 offset1:13
	s_waitcnt lgkmcnt(13)
	v_dot4c_i32_i8 v170, v150, v125
	v_mul_f32_e32 v138, v1, v138
	v_cvt_f32_i32_e32 v168, v168
	s_waitcnt lgkmcnt(12)
	v_dot4c_i32_i8 v175, v149, v134
	v_cvt_f32_i32_e32 v150, v169
	v_dot4c_i32_i8 v170, v151, v129
	s_waitcnt lgkmcnt(11)
	v_mul_f32_e32 v144, v1, v144
	v_fmac_f32_e32 v27, v138, v168
	v_add_nc_u32_e32 v138, 0x20b8, v34
	s_waitcnt lgkmcnt(9)
	v_dot4c_i32_i8 v174, v156, v124
	v_mul_f32_e32 v124, v1, v152
	v_cvt_f32_i32_e32 v151, v170
	v_fmac_f32_e32 v110, v144, v150
	v_add_nc_u32_e32 v144, 0x4120, v34
	s_waitcnt lgkmcnt(3)
	v_dot4c_i32_i8 v175, v122, v131
	v_dot4c_i32_i8 v174, v157, v128
	v_add_nc_u32_e32 v122, 0x20a8, v34
	v_add_nc_u32_e32 v128, 0x20b0, v34
	v_fmac_f32_e32 v105, v124, v151
	v_dot4c_i32_i8 v175, v123, v135
	v_dot4c_i32_i8 v174, v158, v125
	ds_read2_b32 v[124:125], v34 offset0:14 offset1:15
	ds_read2_b32 v[148:149], v34 offset0:16 offset1:17
	ds_read2_b32 v[122:123], v122 offset1:1
	ds_read2_b32 v[150:151], v128 offset1:1
	;; [unrolled: 1-line block ×4, first 2 shown]
	v_mov_b32_e32 v144, 0
	s_waitcnt lgkmcnt(6)
	v_dot4c_i32_i8 v175, v126, v132
	v_add_nc_u32_e32 v126, 0x4128, v34
	v_add_nc_u32_e32 v138, 0x4130, v34
	;; [unrolled: 1-line block ×3, first 2 shown]
	v_dot4c_i32_i8 v174, v159, v129
	v_dot4c_i32_i8 v144, v160, v130
	ds_read2_b32 v[128:129], v126 offset1:1
	ds_read2_b32 v[158:159], v138 offset1:1
	;; [unrolled: 1-line block ×4, first 2 shown]
	v_add_nc_u32_e32 v126, 0x61a8, v34
	v_dot4c_i32_i8 v175, v127, v136
	v_mov_b32_e32 v152, 0
	v_dot4c_i32_i8 v144, v161, v134
	ds_read2_b32 v[160:161], v37 offset0:2 offset1:3
	ds_read2_b32 v[126:127], v126 offset1:1
	v_mul_f32_e32 v1, v1, v140
	v_cvt_f32_i32_e32 v140, v174
	s_waitcnt lgkmcnt(9)
	v_dot4c_i32_i8 v144, v122, v131
	v_add_nc_u32_e32 v122, 0x61b0, v34
	v_mul_f32_e32 v174, v2, v139
	s_waitcnt lgkmcnt(6)
	v_dot4c_i32_i8 v152, v168, v130
	v_dot4c_i32_i8 v175, v124, v133
	;; [unrolled: 1-line block ×3, first 2 shown]
	ds_read2_b32 v[138:139], v122 offset1:1
	v_add_nc_u32_e32 v122, 0x61b8, v34
	v_dot4c_i32_i8 v152, v169, v134
	v_add_nc_u32_e32 v123, 0x20c0, v34
	v_dot4c_i32_i8 v144, v150, v132
	s_waitcnt lgkmcnt(3)
	v_dot4c_i32_i8 v176, v172, v130
	v_dot4c_i32_i8 v175, v125, v137
	;; [unrolled: 1-line block ×3, first 2 shown]
	v_add_nc_u32_e32 v172, 0x4158, v34
	v_dot4c_i32_i8 v144, v151, v136
	v_dot4c_i32_i8 v176, v173, v134
	ds_read2_b32 v[150:151], v122 offset1:1
	ds_read2_b32 v[168:169], v123 offset1:1
	ds_read_b128 v[122:125], v30 offset:64
	v_dot4c_i32_i8 v152, v129, v135
	v_dot4c_i32_i8 v144, v156, v133
	s_waitcnt lgkmcnt(4)
	v_dot4c_i32_i8 v176, v126, v131
	v_cvt_f32_i32_e32 v130, v175
	v_mul_f32_e32 v131, v2, v145
	v_dot4c_i32_i8 v152, v158, v132
	v_dot4c_i32_i8 v144, v157, v137
	;; [unrolled: 1-line block ×3, first 2 shown]
	ds_read_b128 v[126:129], v30 offset:80
	v_fmac_f32_e32 v27, v174, v130
	v_dot4c_i32_i8 v152, v159, v136
	v_cvt_f32_i32_e32 v134, v144
	s_waitcnt lgkmcnt(4)
	v_dot4c_i32_i8 v176, v138, v132
	v_add_nc_u32_e32 v132, 0x20c8, v34
	v_add_nc_u32_e32 v138, 0x20d8, v34
	v_dot4c_i32_i8 v152, v170, v133
	v_fmac_f32_e32 v110, v131, v134
	v_dot4c_i32_i8 v176, v139, v136
	v_mov_b32_e32 v136, 0
	ds_read2_b32 v[130:131], v34 offset0:18 offset1:19
	v_add_nc_u32_e32 v134, 0x20d0, v34
	v_dot4c_i32_i8 v152, v171, v137
	s_waitcnt lgkmcnt(4)
	v_dot4c_i32_i8 v176, v150, v133
	s_waitcnt lgkmcnt(2)
	v_dot4c_i32_i8 v136, v148, v122
	v_add_nc_u32_e32 v150, 0x4148, v34
	v_add_nc_u32_e32 v144, 0x4140, v34
	v_add_nc_u32_e32 v170, 0x4150, v34
	v_add_nc_u32_e32 v174, 0x61c0, v34
	s_waitcnt lgkmcnt(1)
	v_dot4c_i32_i8 v136, v149, v126
	ds_read2_b32 v[132:133], v132 offset1:1
	ds_read2_b32 v[134:135], v134 offset1:1
	;; [unrolled: 1-line block ×4, first 2 shown]
	ds_read2_b32 v[148:149], v34 offset0:20 offset1:21
	v_fmac_f32_e32 v25, v1, v140
	v_mul_f32_e32 v1, v2, v153
	v_cvt_f32_i32_e32 v140, v152
	ds_read2_b32 v[152:153], v34 offset0:22 offset1:23
	ds_read2_b32 v[156:157], v34 offset0:24 offset1:25
	ds_read2_b32 v[158:159], v150 offset1:1
	ds_read2_b32 v[170:171], v170 offset1:1
	;; [unrolled: 1-line block ×4, first 2 shown]
	v_dot4c_i32_i8 v176, v151, v137
	v_mul_f32_e32 v137, v2, v141
	v_fmac_f32_e32 v105, v1, v140
	v_add_nc_u32_e32 v1, 0x61c8, v34
	s_waitcnt lgkmcnt(11)
	v_dot4c_i32_i8 v136, v130, v123
	v_dot4c_i32_i8 v177, v168, v122
	v_mov_b32_e32 v168, 0
	v_add_nc_u32_e32 v130, 0x61d0, v34
	ds_read2_b32 v[1:2], v1 offset1:1
	v_dot4c_i32_i8 v136, v131, v127
	v_dot4c_i32_i8 v177, v169, v126
	v_add_nc_u32_e32 v150, 0x4170, v34
	ds_read2_b32 v[130:131], v130 offset1:1
	s_waitcnt lgkmcnt(9)
	v_dot4c_i32_i8 v178, v144, v122
	s_waitcnt lgkmcnt(8)
	v_dot4c_i32_i8 v136, v148, v124
	v_dot4c_i32_i8 v177, v132, v123
	v_add_nc_u32_e32 v132, 0x20e0, v34
	v_add_nc_u32_e32 v148, 0x4168, v34
	v_dot4c_i32_i8 v178, v145, v126
	s_waitcnt lgkmcnt(2)
	v_dot4c_i32_i8 v168, v174, v122
	v_dot4c_i32_i8 v136, v149, v128
	;; [unrolled: 1-line block ×3, first 2 shown]
	v_add_nc_u32_e32 v122, 0x61d8, v34
	v_dot4c_i32_i8 v178, v158, v123
	v_dot4c_i32_i8 v168, v175, v126
	;; [unrolled: 1-line block ×4, first 2 shown]
	ds_read2_b32 v[140:141], v122 offset1:1
	ds_read2_b32 v[144:145], v132 offset1:1
	v_dot4c_i32_i8 v178, v159, v127
	s_waitcnt lgkmcnt(3)
	v_dot4c_i32_i8 v168, v1, v123
	v_dot4c_i32_i8 v136, v153, v129
	v_cvt_f32_i32_e32 v1, v176
	v_dot4c_i32_i8 v177, v135, v128
	v_dot4c_i32_i8 v178, v170, v124
	;; [unrolled: 1-line block ×3, first 2 shown]
	v_mul_f32_e32 v2, v3, v154
	v_cvt_f32_i32_e32 v122, v136
	v_dot4c_i32_i8 v177, v138, v125
	v_dot4c_i32_i8 v178, v171, v128
	s_waitcnt lgkmcnt(2)
	v_dot4c_i32_i8 v168, v130, v124
	v_fmac_f32_e32 v25, v137, v1
	v_add_nc_u32_e32 v1, 0x20e8, v34
	v_fmac_f32_e32 v27, v2, v122
	v_add_nc_u32_e32 v122, 0x20f0, v34
	v_add_nc_u32_e32 v124, 0x20f8, v34
	v_dot4c_i32_i8 v168, v131, v128
	v_add_nc_u32_e32 v128, 0x4160, v34
	v_add_nc_u32_e32 v152, 0x4178, v34
	v_dot4c_i32_i8 v178, v172, v125
	v_dot4c_i32_i8 v177, v139, v129
	ds_read_b128 v[130:133], v30 offset:96
	ds_read_b128 v[134:137], v30 offset:112
	v_add_nc_u32_e32 v154, 0x61e0, v34
	ds_read2_b32 v[1:2], v1 offset1:1
	ds_read2_b32 v[122:123], v122 offset1:1
	;; [unrolled: 1-line block ×8, first 2 shown]
	v_dot4c_i32_i8 v178, v173, v129
	v_mul_f32_e32 v124, v3, v146
	v_cvt_f32_i32_e32 v128, v177
	s_waitcnt lgkmcnt(11)
	v_dot4c_i32_i8 v168, v140, v125
	v_add_nc_u32_e32 v125, 0x61e8, v34
	v_mul_f32_e32 v146, v3, v160
	v_cvt_f32_i32_e32 v154, v178
	v_fmac_f32_e32 v110, v124, v128
	v_mov_b32_e32 v140, 0
	ds_read2_b32 v[124:125], v125 offset1:1
	v_dot4c_i32_i8 v168, v141, v129
	v_fmac_f32_e32 v105, v146, v154
	v_mov_b32_e32 v141, 0
	v_mov_b32_e32 v146, 0
	;; [unrolled: 1-line block ×3, first 2 shown]
	v_add_nc_u32_e32 v128, 0x61f0, v34
	s_waitcnt lgkmcnt(10)
	v_dot4c_i32_i8 v140, v156, v130
	v_dot4c_i32_i8 v141, v144, v130
	s_waitcnt lgkmcnt(5)
	v_dot4c_i32_i8 v146, v138, v130
	s_waitcnt lgkmcnt(1)
	v_dot4c_i32_i8 v154, v158, v130
	ds_read2_b32 v[128:129], v128 offset1:1
	v_dot4c_i32_i8 v140, v157, v134
	v_dot4c_i32_i8 v141, v145, v134
	;; [unrolled: 1-line block ×3, first 2 shown]
	v_add_nc_u32_e32 v130, 0x61f8, v34
	v_dot4c_i32_i8 v154, v159, v134
	v_dot4c_i32_i8 v140, v162, v131
	;; [unrolled: 1-line block ×4, first 2 shown]
	ds_read2_b32 v[138:139], v130 offset1:1
	s_waitcnt lgkmcnt(2)
	v_dot4c_i32_i8 v154, v124, v131
	v_dot4c_i32_i8 v140, v163, v135
	;; [unrolled: 1-line block ×4, first 2 shown]
	v_mul_f32_e32 v1, v3, v142
	v_dot4c_i32_i8 v154, v125, v135
	v_dot4c_i32_i8 v140, v164, v132
	;; [unrolled: 1-line block ×4, first 2 shown]
	v_cvt_f32_i32_e32 v2, v168
	s_waitcnt lgkmcnt(1)
	v_dot4c_i32_i8 v154, v128, v132
	v_dot4c_i32_i8 v140, v165, v136
	;; [unrolled: 1-line block ×4, first 2 shown]
	v_fmac_f32_e32 v25, v1, v2
	v_dot4c_i32_i8 v154, v129, v136
	v_dot4c_i32_i8 v140, v166, v133
	;; [unrolled: 1-line block ×4, first 2 shown]
	v_mul_f32_e32 v1, v4, v155
	s_waitcnt lgkmcnt(0)
	v_dot4c_i32_i8 v154, v138, v133
	v_dot4c_i32_i8 v140, v167, v137
	;; [unrolled: 1-line block ×4, first 2 shown]
	v_mul_f32_e32 v3, v4, v147
	v_dot4c_i32_i8 v154, v139, v137
	v_cvt_f32_i32_e32 v2, v140
	v_cvt_f32_i32_e32 v122, v141
	v_mul_f32_e32 v123, v4, v161
	v_cvt_f32_i32_e32 v124, v146
	v_mul_f32_e32 v4, v4, v143
	v_cvt_f32_i32_e32 v125, v154
	v_fmac_f32_e32 v27, v1, v2
	v_fmac_f32_e32 v110, v3, v122
	v_fmac_f32_e32 v105, v123, v124
	v_fmac_f32_e32 v25, v4, v125
	s_barrier
	buffer_gl0_inv
	s_cbranch_scc1 .LBB202_5
; %bb.12:                               ;   in Loop: Header=BB202_6 Depth=1
	v_add_nc_u32_e32 v1, s4, v39
	v_cmp_gt_i32_e64 s1, s12, v1
	s_and_b32 s16, s0, s1
	s_and_saveexec_b32 s1, s16
	s_cbranch_execz .LBB202_14
; %bb.13:                               ;   in Loop: Header=BB202_6 Depth=1
	v_add_nc_u32_e32 v1, s4, v40
	v_mad_i64_i32 v[1:2], null, v1, 36, v[21:22]
	global_load_dword v1, v[1:2], off offset:4
	s_waitcnt vmcnt(0)
	ds_write_b32 v31, v1
.LBB202_14:                             ;   in Loop: Header=BB202_6 Depth=1
	s_or_b32 exec_lo, exec_lo, s1
	s_and_saveexec_b32 s16, vcc_lo
	s_cbranch_execz .LBB202_4
; %bb.15:                               ;   in Loop: Header=BB202_6 Depth=1
	v_add_nc_u32_e32 v1, 4, v121
	v_cmp_gt_i32_e64 s1, s12, v1
	s_and_b32 s1, s0, s1
	s_and_b32 exec_lo, exec_lo, s1
	s_cbranch_execz .LBB202_4
; %bb.16:                               ;   in Loop: Header=BB202_6 Depth=1
	global_load_dword v1, v[23:24], off
	s_waitcnt vmcnt(0)
	v_cvt_f32_f16_e32 v1, v1
	ds_write_b32 v33, v1
	s_branch .LBB202_4
.LBB202_17:
	s_mul_i32 s0, s14, s11
	s_waitcnt vmcnt(0)
	v_cmp_gt_i32_e32 vcc_lo, s0, v26
	s_and_saveexec_b32 s0, vcc_lo
	s_cbranch_execz .LBB202_26
; %bb.18:
	v_add_nc_u32_e32 v1, s15, v0
	v_mul_lo_u32 v0, v26, s13
	s_mov_b32 s0, exec_lo
	v_cmpx_gt_u32_e64 s13, v1
	s_cbranch_execz .LBB202_20
; %bb.19:
	v_add_nc_u32_e32 v2, v0, v1
	v_mov_b32_e32 v3, 0
	v_cvt_f16_f32_e32 v4, v27
	v_lshlrev_b64 v[2:3], 1, v[2:3]
	v_add_co_u32 v2, vcc_lo, s2, v2
	v_add_co_ci_u32_e64 v3, null, s3, v3, vcc_lo
	global_store_short v[2:3], v4, off
.LBB202_20:
	s_or_b32 exec_lo, exec_lo, s0
	v_add_nc_u32_e32 v2, 32, v1
	s_mov_b32 s0, exec_lo
	v_cmpx_gt_u32_e64 s13, v2
	s_cbranch_execz .LBB202_22
; %bb.21:
	v_add_nc_u32_e32 v2, v0, v2
	v_mov_b32_e32 v3, 0
	v_cvt_f16_f32_e32 v4, v110
	v_lshlrev_b64 v[2:3], 1, v[2:3]
	v_add_co_u32 v2, vcc_lo, s2, v2
	v_add_co_ci_u32_e64 v3, null, s3, v3, vcc_lo
	global_store_short v[2:3], v4, off
.LBB202_22:
	s_or_b32 exec_lo, exec_lo, s0
	v_add_nc_u32_e32 v2, 64, v1
	;; [unrolled: 14-line block ×3, first 2 shown]
	v_cmp_gt_u32_e32 vcc_lo, s13, v1
	s_and_b32 exec_lo, exec_lo, vcc_lo
	s_cbranch_execz .LBB202_26
; %bb.25:
	v_add_nc_u32_e32 v0, v0, v1
	v_mov_b32_e32 v1, 0
	v_cvt_f16_f32_e32 v2, v25
	v_lshlrev_b64 v[0:1], 1, v[0:1]
	v_add_co_u32 v0, vcc_lo, s2, v0
	v_add_co_ci_u32_e64 v1, null, s3, v1, vcc_lo
	global_store_short v[0:1], v2, off
.LBB202_26:
	s_endpgm
	.section	.rodata,"a",@progbits
	.p2align	6, 0x0
	.amdhsa_kernel _ZL8moe_q5_0IN3c104HalfELb1EEvPKvS3_PT_PKiS7_S7_iiiiiii
		.amdhsa_group_segment_fixed_size 38656
		.amdhsa_private_segment_fixed_size 0
		.amdhsa_kernarg_size 76
		.amdhsa_user_sgpr_count 6
		.amdhsa_user_sgpr_private_segment_buffer 1
		.amdhsa_user_sgpr_dispatch_ptr 0
		.amdhsa_user_sgpr_queue_ptr 0
		.amdhsa_user_sgpr_kernarg_segment_ptr 1
		.amdhsa_user_sgpr_dispatch_id 0
		.amdhsa_user_sgpr_flat_scratch_init 0
		.amdhsa_user_sgpr_private_segment_size 0
		.amdhsa_wavefront_size32 1
		.amdhsa_uses_dynamic_stack 0
		.amdhsa_system_sgpr_private_segment_wavefront_offset 0
		.amdhsa_system_sgpr_workgroup_id_x 1
		.amdhsa_system_sgpr_workgroup_id_y 1
		.amdhsa_system_sgpr_workgroup_id_z 0
		.amdhsa_system_sgpr_workgroup_info 0
		.amdhsa_system_vgpr_workitem_id 1
		.amdhsa_next_free_vgpr 185
		.amdhsa_next_free_sgpr 20
		.amdhsa_reserve_vcc 1
		.amdhsa_reserve_flat_scratch 0
		.amdhsa_float_round_mode_32 0
		.amdhsa_float_round_mode_16_64 0
		.amdhsa_float_denorm_mode_32 3
		.amdhsa_float_denorm_mode_16_64 3
		.amdhsa_dx10_clamp 1
		.amdhsa_ieee_mode 1
		.amdhsa_fp16_overflow 0
		.amdhsa_workgroup_processor_mode 1
		.amdhsa_memory_ordered 1
		.amdhsa_forward_progress 1
		.amdhsa_shared_vgpr_count 0
		.amdhsa_exception_fp_ieee_invalid_op 0
		.amdhsa_exception_fp_denorm_src 0
		.amdhsa_exception_fp_ieee_div_zero 0
		.amdhsa_exception_fp_ieee_overflow 0
		.amdhsa_exception_fp_ieee_underflow 0
		.amdhsa_exception_fp_ieee_inexact 0
		.amdhsa_exception_int_div_zero 0
	.end_amdhsa_kernel
	.section	.text._ZL8moe_q5_0IN3c104HalfELb1EEvPKvS3_PT_PKiS7_S7_iiiiiii,"axG",@progbits,_ZL8moe_q5_0IN3c104HalfELb1EEvPKvS3_PT_PKiS7_S7_iiiiiii,comdat
.Lfunc_end202:
	.size	_ZL8moe_q5_0IN3c104HalfELb1EEvPKvS3_PT_PKiS7_S7_iiiiiii, .Lfunc_end202-_ZL8moe_q5_0IN3c104HalfELb1EEvPKvS3_PT_PKiS7_S7_iiiiiii
                                        ; -- End function
	.set _ZL8moe_q5_0IN3c104HalfELb1EEvPKvS3_PT_PKiS7_S7_iiiiiii.num_vgpr, 185
	.set _ZL8moe_q5_0IN3c104HalfELb1EEvPKvS3_PT_PKiS7_S7_iiiiiii.num_agpr, 0
	.set _ZL8moe_q5_0IN3c104HalfELb1EEvPKvS3_PT_PKiS7_S7_iiiiiii.numbered_sgpr, 20
	.set _ZL8moe_q5_0IN3c104HalfELb1EEvPKvS3_PT_PKiS7_S7_iiiiiii.num_named_barrier, 0
	.set _ZL8moe_q5_0IN3c104HalfELb1EEvPKvS3_PT_PKiS7_S7_iiiiiii.private_seg_size, 0
	.set _ZL8moe_q5_0IN3c104HalfELb1EEvPKvS3_PT_PKiS7_S7_iiiiiii.uses_vcc, 1
	.set _ZL8moe_q5_0IN3c104HalfELb1EEvPKvS3_PT_PKiS7_S7_iiiiiii.uses_flat_scratch, 0
	.set _ZL8moe_q5_0IN3c104HalfELb1EEvPKvS3_PT_PKiS7_S7_iiiiiii.has_dyn_sized_stack, 0
	.set _ZL8moe_q5_0IN3c104HalfELb1EEvPKvS3_PT_PKiS7_S7_iiiiiii.has_recursion, 0
	.set _ZL8moe_q5_0IN3c104HalfELb1EEvPKvS3_PT_PKiS7_S7_iiiiiii.has_indirect_call, 0
	.section	.AMDGPU.csdata,"",@progbits
; Kernel info:
; codeLenInByte = 15540
; TotalNumSgprs: 22
; NumVgprs: 185
; ScratchSize: 0
; MemoryBound: 0
; FloatMode: 240
; IeeeMode: 1
; LDSByteSize: 38656 bytes/workgroup (compile time only)
; SGPRBlocks: 0
; VGPRBlocks: 23
; NumSGPRsForWavesPerEU: 22
; NumVGPRsForWavesPerEU: 185
; Occupancy: 5
; WaveLimiterHint : 1
; COMPUTE_PGM_RSRC2:SCRATCH_EN: 0
; COMPUTE_PGM_RSRC2:USER_SGPR: 6
; COMPUTE_PGM_RSRC2:TRAP_HANDLER: 0
; COMPUTE_PGM_RSRC2:TGID_X_EN: 1
; COMPUTE_PGM_RSRC2:TGID_Y_EN: 1
; COMPUTE_PGM_RSRC2:TGID_Z_EN: 0
; COMPUTE_PGM_RSRC2:TIDIG_COMP_CNT: 1
	.section	.text._ZL8moe_q5_1IN3c104HalfELb0EEvPKvS3_PT_PKiS7_S7_iiiiiii,"axG",@progbits,_ZL8moe_q5_1IN3c104HalfELb0EEvPKvS3_PT_PKiS7_S7_iiiiiii,comdat
	.globl	_ZL8moe_q5_1IN3c104HalfELb0EEvPKvS3_PT_PKiS7_S7_iiiiiii ; -- Begin function _ZL8moe_q5_1IN3c104HalfELb0EEvPKvS3_PT_PKiS7_S7_iiiiiii
	.p2align	8
	.type	_ZL8moe_q5_1IN3c104HalfELb0EEvPKvS3_PT_PKiS7_S7_iiiiiii,@function
_ZL8moe_q5_1IN3c104HalfELb0EEvPKvS3_PT_PKiS7_S7_iiiiiii: ; @_ZL8moe_q5_1IN3c104HalfELb0EEvPKvS3_PT_PKiS7_S7_iiiiiii
; %bb.0:
	s_load_dwordx4 s[0:3], s[4:5], 0x18
	s_mov_b32 s8, s7
	s_mov_b32 s9, 0
	s_lshl_b64 s[10:11], s[8:9], 2
	s_waitcnt lgkmcnt(0)
	s_add_u32 s2, s2, s10
	s_addc_u32 s3, s3, s11
	s_load_dword s7, s[2:3], 0x0
	s_waitcnt lgkmcnt(0)
	s_cmpk_gt_u32 s7, 0xff
	s_cbranch_scc1 .LBB203_30
; %bb.1:
	s_load_dwordx2 s[2:3], s[4:5], 0x28
	s_waitcnt lgkmcnt(0)
	s_load_dword s3, s[2:3], 0x0
	s_lshl_b32 s2, s8, 3
	s_waitcnt lgkmcnt(0)
	s_cmp_gt_u32 s2, s3
	s_cbranch_scc1 .LBB203_30
; %bb.2:
	v_add_nc_u32_e32 v2, s2, v1
	v_mov_b32_e32 v3, 0
	s_lshl_b32 s6, s6, 7
	v_lshlrev_b64 v[4:5], 2, v[2:3]
	v_mov_b32_e32 v40, v3
	v_mov_b32_e32 v47, v3
	;; [unrolled: 1-line block ×3, first 2 shown]
	v_add_co_u32 v4, vcc_lo, s0, v4
	v_add_co_ci_u32_e64 v5, null, s1, v5, vcc_lo
	global_load_dword v6, v[4:5], off
	s_clause 0x2
	s_load_dwordx2 s[14:15], s[4:5], 0x30
	s_load_dwordx2 s[12:13], s[4:5], 0x10
	s_load_dwordx4 s[8:11], s[4:5], 0x3c
	s_waitcnt lgkmcnt(0)
	s_cmp_lt_i32 s15, 32
	s_cbranch_scc1 .LBB203_21
; %bb.3:
	s_load_dwordx4 s[0:3], s[4:5], 0x0
	s_ashr_i32 s4, s15, 31
	s_ashr_i32 s5, s9, 31
	s_lshr_b32 s4, s4, 27
	s_lshr_b32 s5, s5, 27
	s_add_i32 s4, s15, s4
	s_mul_i32 s14, s7, s14
	s_add_i32 s5, s9, s5
	s_ashr_i32 s7, s4, 5
	s_ashr_i32 s9, s5, 5
	s_mul_i32 s5, s7, s6
	s_ashr_i32 s16, s14, 31
	s_mul_hi_i32 s17, s5, 24
	s_mul_i32 s5, s5, 24
	v_mul_lo_u32 v9, s7, v1
	s_waitcnt vmcnt(0)
	v_sub_nc_u32_e32 v18, 0, v6
	v_lshlrev_b32_e32 v3, 3, v0
	v_lshrrev_b32_e32 v11, 3, v0
	v_and_b32_e32 v10, 7, v0
	v_xor_b32_e32 v17, s11, v6
	s_waitcnt lgkmcnt(0)
	s_add_u32 s0, s0, s14
	s_addc_u32 s1, s1, s16
	s_add_u32 s14, s0, s5
	s_addc_u32 s16, s1, s17
	s_abs_i32 s0, s11
	s_lshl_b32 s1, s7, 3
	v_cvt_f32_u32_e32 v4, s0
	s_sub_i32 s5, 0, s0
	v_add_nc_u32_e32 v12, s1, v9
	v_max_i32_e32 v43, v6, v18
	v_mad_u32_u24 v15, 0x104, v1, v3
	v_rcp_iflag_f32_e32 v4, v4
	v_lshl_add_u32 v3, v1, 2, v11
	v_add_nc_u32_e32 v13, s1, v12
	v_lshlrev_b32_e32 v40, 2, v10
	v_ashrrev_i32_e32 v47, 31, v17
	v_lshlrev_b32_e32 v2, 2, v0
	v_add_nc_u32_e32 v42, 32, v3
	v_add_nc_u32_e32 v16, s1, v13
	v_and_b32_e32 v41, 0x7fc, v3
	v_and_b32_e32 v5, 31, v0
	v_mul_f32_e32 v4, 0x4f7ffffe, v4
	v_and_b32_e32 v45, 0xffc, v42
	v_add_nc_u32_e32 v18, s1, v16
	v_add3_u32 v68, v41, v40, 0x8200
	v_add_nc_u32_e32 v44, 64, v3
	v_cvt_u32_f32_e32 v4, v4
	v_add3_u32 v71, v45, v40, 0x8200
	v_add_nc_u32_e32 v21, s1, v18
	v_lshlrev_b32_e32 v69, 5, v42
	v_mul_lo_u32 v37, s7, v3
	v_mul_lo_u32 v29, s5, v4
	v_and_b32_e32 v14, 12, v2
	v_add_nc_u32_e32 v26, s1, v21
	v_lshlrev_b32_e32 v67, 5, v3
	v_add_nc_u32_e32 v3, 0x60, v3
	v_and_b32_e32 v48, 0xffc, v44
	v_lshlrev_b32_e32 v70, 5, v44
	v_add_nc_u32_e32 v30, s1, v26
	v_mul_hi_u32 v36, v4, v29
	s_andn2_b32 s4, s4, 31
	v_and_b32_e32 v49, 0xffc, v3
	v_and_b32_e32 v58, 0xfc, v0
	v_add_nc_u32_e32 v35, s1, v30
	v_add3_u32 v72, v48, v40, 0x8200
	v_lshlrev_b32_e32 v3, 5, v3
	v_add3_u32 v40, v49, v40, 0x8200
	v_add_nc_u32_e32 v4, v4, v36
	v_add_nc_u32_e32 v38, s1, v35
	v_lshrrev_b32_e32 v8, 2, v0
	v_mov_b32_e32 v7, 0
	v_add_nc_u32_e32 v17, 0x820, v15
	v_mul_hi_u32 v4, v43, v4
	v_add_nc_u32_e32 v39, s1, v38
	v_add_nc_u32_e32 v19, 0x1040, v15
	;; [unrolled: 1-line block ×7, first 2 shown]
	v_mul_lo_u32 v46, v4, s0
	v_add_nc_u32_e32 v45, 1, v4
	v_add_nc_u32_e32 v25, 0x38e0, v15
	;; [unrolled: 1-line block ×7, first 2 shown]
	v_sub_nc_u32_e32 v50, v43, v46
	v_add_nc_u32_e32 v44, s1, v42
	v_add_nc_u32_e32 v43, s4, v37
	;; [unrolled: 1-line block ×4, first 2 shown]
	v_subrev_nc_u32_e32 v51, s0, v50
	v_cmp_le_u32_e32 vcc_lo, s0, v50
	v_add_nc_u32_e32 v46, s1, v44
	v_add_nc_u32_e32 v34, 0x71c0, v15
	;; [unrolled: 1-line block ×3, first 2 shown]
	v_mul_u32_u24_e32 v54, 0x104, v0
	v_cndmask_b32_e32 v4, v4, v45, vcc_lo
	v_cndmask_b32_e32 v50, v50, v51, vcc_lo
	v_add_nc_u32_e32 v45, s4, v43
	v_add_nc_u32_e32 v49, s1, v46
	;; [unrolled: 1-line block ×4, first 2 shown]
	v_cmp_le_u32_e32 vcc_lo, s0, v50
	v_lshl_add_u32 v50, v1, 7, 0x9280
	v_add_nc_u32_e32 v48, s4, v45
	v_add_nc_u32_e32 v68, v71, v69
	;; [unrolled: 1-line block ×3, first 2 shown]
	v_cndmask_b32_e32 v4, v4, v51, vcc_lo
	v_lshl_add_u32 v51, v1, 4, 0x9680
	v_and_b32_e32 v1, 28, v2
	v_lshl_or_b32 v52, v5, 2, v50
	v_add_nc_u32_e32 v5, 64, v0
	v_xor_b32_e32 v4, v4, v47
	v_add_nc_u32_e32 v53, v51, v2
	v_add_nc_u32_e32 v2, 32, v0
	v_add_co_u32 v1, s1, s2, v1
	v_sub_nc_u32_e32 v4, v4, v47
	v_add_nc_u32_e32 v47, 0x60, v0
	v_and_b32_e32 v5, 0x1fc, v5
	v_and_b32_e32 v57, 0x1fc, v2
	v_cmp_gt_u32_e32 vcc_lo, 4, v0
	v_cmp_gt_i32_e64 s0, s8, v4
	v_mul_lo_u32 v56, v4, s9
	v_lshlrev_b32_e32 v4, 5, v0
	v_and_b32_e32 v47, 0x1fc, v47
	v_lshrrev_b32_e32 v55, 3, v2
	v_add_co_ci_u32_e64 v2, null, s3, 0, s1
	v_add_nc_u32_e32 v5, v4, v5
	v_add_nc_u32_e32 v47, v4, v47
	;; [unrolled: 1-line block ×4, first 2 shown]
	s_movk_i32 s1, 0x80
	v_ashrrev_i32_e32 v57, 31, v56
	v_add_nc_u32_e32 v58, 0x8e00, v47
	v_add_nc_u32_e32 v59, 0x8a00, v5
	;; [unrolled: 1-line block ×8, first 2 shown]
	v_mad_u32_u24 v66, 0x104, v0, s1
	v_add_nc_u32_e32 v70, v40, v3
	v_mov_b32_e32 v47, 0
	v_mov_b32_e32 v40, 0
	;; [unrolled: 1-line block ×3, first 2 shown]
	s_mov_b32 s17, 0
	s_and_b32 s18, vcc_lo, s0
	s_branch .LBB203_5
.LBB203_4:                              ;   in Loop: Header=BB203_5 Depth=1
	s_add_i32 s17, s17, 8
	s_cmp_ge_i32 s17, s7
	s_cbranch_scc1 .LBB203_21
.LBB203_5:                              ; =>This Loop Header: Depth=1
                                        ;     Child Loop BB203_11 Depth 2
                                        ;     Child Loop BB203_19 Depth 2
	s_mul_i32 s1, s17, 24
	s_mul_hi_u32 s5, s17, 24
	s_add_u32 s4, s14, s1
	s_addc_u32 s5, s16, s5
	v_mad_u64_u32 v[4:5], null, v8, 24, s[4:5]
	v_mad_u64_u32 v[71:72], null, v9, 24, v[4:5]
	;; [unrolled: 1-line block ×5, first 2 shown]
	v_add_co_u32 v79, s1, v71, v14
	v_add_co_ci_u32_e64 v80, null, 0, v72, s1
	v_add_co_u32 v81, s1, v73, v14
	v_add_co_ci_u32_e64 v82, null, 0, v74, s1
	;; [unrolled: 2-line block ×4, first 2 shown]
	v_mad_u64_u32 v[87:88], null, v18, 24, v[4:5]
	s_clause 0x7
	global_load_dword v95, v[79:80], off offset:8
	global_load_dword v96, v[81:82], off offset:8
	;; [unrolled: 1-line block ×8, first 2 shown]
	v_mad_u64_u32 v[71:72], null, v21, 24, v[4:5]
	v_mad_u64_u32 v[75:76], null, v26, 24, v[4:5]
	;; [unrolled: 1-line block ×3, first 2 shown]
	v_add_co_u32 v73, s1, v87, v14
	v_add_co_ci_u32_e64 v74, null, 0, v88, s1
	v_add_co_u32 v79, s1, v71, v14
	v_add_co_ci_u32_e64 v80, null, 0, v72, s1
	v_add_co_u32 v81, s1, v75, v14
	v_mad_u64_u32 v[85:86], null, v35, 24, v[4:5]
	v_add_co_ci_u32_e64 v82, null, 0, v76, s1
	v_add_co_u32 v83, s1, v77, v14
	v_add_co_ci_u32_e64 v84, null, 0, v78, s1
	v_mad_u64_u32 v[93:94], null, v41, 24, v[4:5]
	s_clause 0x7
	global_load_dword v103, v[77:78], off offset:4
	global_load_dword v104, v[75:76], off offset:4
	;; [unrolled: 1-line block ×8, first 2 shown]
	v_mad_u64_u32 v[91:92], null, v39, 24, v[4:5]
	v_mad_u64_u32 v[89:90], null, v38, 24, v[4:5]
	v_add_co_u32 v71, s1, v85, v14
	v_add_co_ci_u32_e64 v72, null, 0, v86, s1
	s_clause 0x4
	global_load_dword v84, v[93:94], off offset:4
	global_load_dword v108, v[91:92], off offset:4
	;; [unrolled: 1-line block ×5, first 2 shown]
	v_mad_u64_u32 v[75:76], null, v49, 24, v[4:5]
	v_add_co_u32 v71, s1, v89, v14
	v_add_co_ci_u32_e64 v72, null, 0, v90, s1
	v_mad_u64_u32 v[73:74], null, v44, 24, v[4:5]
	v_mad_u64_u32 v[77:78], null, v10, 24, s[4:5]
	global_load_dword v89, v[71:72], off offset:8
	v_add_co_u32 v71, s1, v91, v14
	v_add_co_ci_u32_e64 v72, null, 0, v92, s1
	s_lshl_b32 s4, s17, 5
	v_mad_u64_u32 v[81:82], null, v45, 24, v[77:78]
	global_load_dword v90, v[71:72], off offset:8
	v_add_co_u32 v71, s1, v93, v14
	v_add_co_ci_u32_e64 v72, null, 0, v94, s1
	s_cmp_lt_i32 s4, s15
	global_load_dword v91, v[71:72], off offset:8
	v_mad_u64_u32 v[71:72], null, v42, 24, v[4:5]
	v_mad_u64_u32 v[4:5], null, v46, 24, v[4:5]
	v_add_co_u32 v79, s1, v71, v14
	v_add_co_ci_u32_e64 v80, null, 0, v72, s1
	s_clause 0x4
	global_load_dword v92, v[75:76], off offset:4
	global_load_dword v93, v[4:5], off offset:4
	;; [unrolled: 1-line block ×5, first 2 shown]
	v_add_co_u32 v73, s1, v73, v14
	v_add_co_ci_u32_e64 v74, null, 0, v74, s1
	v_add_co_u32 v4, s1, v4, v14
	v_mad_u64_u32 v[71:72], null, v37, 24, v[77:78]
	v_add_co_ci_u32_e64 v5, null, 0, v5, s1
	v_add_co_u32 v75, s1, v75, v14
	v_mad_u64_u32 v[79:80], null, v43, 24, v[77:78]
	v_add_co_ci_u32_e64 v76, null, 0, v76, s1
	v_mad_u64_u32 v[77:78], null, v48, 24, v[77:78]
	s_clause 0x6
	global_load_dword v73, v[73:74], off offset:8
	global_load_dword v4, v[4:5], off offset:8
	;; [unrolled: 1-line block ×3, first 2 shown]
	global_load_dword v71, v[71:72], off
	global_load_dword v72, v[79:80], off
	;; [unrolled: 1-line block ×4, first 2 shown]
	s_waitcnt vmcnt(35)
	v_and_b32_e32 v77, 0xf0f0f0f, v95
	v_lshrrev_b32_e32 v78, 4, v95
	s_waitcnt vmcnt(34)
	v_and_b32_e32 v80, 0xf0f0f0f, v96
	v_lshrrev_b32_e32 v81, 4, v96
	s_waitcnt vmcnt(33)
	v_and_b32_e32 v95, 0xf0f0f0f, v97
	s_waitcnt vmcnt(30)
	v_ashrrev_i32_e32 v82, v14, v100
	s_waitcnt vmcnt(29)
	v_ashrrev_i32_e32 v79, v14, v101
	;; [unrolled: 2-line block ×3, first 2 shown]
	v_lshrrev_b32_e32 v96, 4, v97
	v_ashrrev_i32_e32 v97, v14, v99
	v_lshlrev_b32_e32 v128, 4, v82
	v_lshlrev_b32_e32 v121, 4, v79
	;; [unrolled: 1-line block ×4, first 2 shown]
	v_lshrrev_b32_e32 v118, 12, v76
	v_lshrrev_b32_e32 v119, 5, v76
	v_lshlrev_b32_e32 v122, 11, v79
	v_lshrrev_b32_e32 v125, 12, v79
	v_lshrrev_b32_e32 v126, 5, v79
	v_lshlrev_b32_e32 v129, 11, v82
	v_lshrrev_b32_e32 v132, 12, v82
	v_lshrrev_b32_e32 v133, 5, v82
	v_and_b32_e32 v99, 0xf0f0f0f, v98
	v_lshrrev_b32_e32 v98, 4, v98
	v_lshlrev_b32_e32 v135, 4, v97
	v_lshlrev_b32_e32 v136, 11, v97
	v_lshrrev_b32_e32 v139, 12, v97
	v_lshrrev_b32_e32 v140, 5, v97
	s_waitcnt vmcnt(26)
	v_ashrrev_i32_e32 v104, v14, v104
	s_waitcnt vmcnt(25)
	v_ashrrev_i32_e32 v101, v14, v105
	;; [unrolled: 2-line block ×3, first 2 shown]
	s_waitcnt vmcnt(23)
	v_and_b32_e32 v100, 0xf0f0f0f, v88
	v_lshrrev_b32_e32 v88, 4, v88
	s_waitcnt vmcnt(22)
	v_and_b32_e32 v102, 0xf0f0f0f, v106
	v_lshrrev_b32_e32 v105, 4, v106
	v_lshlrev_b32_e32 v142, 4, v87
	v_lshlrev_b32_e32 v143, 11, v87
	v_lshrrev_b32_e32 v146, 12, v87
	v_lshrrev_b32_e32 v147, 5, v87
	s_waitcnt vmcnt(21)
	v_and_b32_e32 v106, 0xf0f0f0f, v107
	v_lshrrev_b32_e32 v107, 4, v107
	v_lshlrev_b32_e32 v116, 18, v76
	v_lshlrev_b32_e32 v117, 25, v76
	v_and_b32_e32 v78, 0xf0f0f0f, v78
	v_lshlrev_b32_e32 v120, 2, v76
	v_lshlrev_b32_e32 v76, 9, v76
	;; [unrolled: 1-line block ×4, first 2 shown]
	v_lshrrev_b32_e32 v153, 12, v101
	v_lshrrev_b32_e32 v154, 5, v101
	v_lshlrev_b32_e32 v156, 4, v104
	v_lshlrev_b32_e32 v157, 11, v104
	v_lshrrev_b32_e32 v160, 12, v104
	v_lshrrev_b32_e32 v161, 5, v104
	v_and_b32_e32 v114, 16, v114
	v_and_b32_e32 v115, 0x1000, v115
	v_and_b32_e32 v118, 16, v118
	v_and_b32_e32 v119, 0x1000, v119
	v_lshlrev_b32_e32 v123, 18, v79
	v_lshlrev_b32_e32 v124, 25, v79
	v_and_b32_e32 v81, 0xf0f0f0f, v81
	v_lshlrev_b32_e32 v127, 2, v79
	v_lshlrev_b32_e32 v79, 9, v79
	v_and_b32_e32 v121, 16, v121
	v_and_b32_e32 v122, 0x1000, v122
	v_and_b32_e32 v125, 16, v125
	v_and_b32_e32 v126, 0x1000, v126
	v_lshlrev_b32_e32 v130, 18, v82
	v_lshlrev_b32_e32 v131, 25, v82
	v_and_b32_e32 v96, 0xf0f0f0f, v96
	v_lshlrev_b32_e32 v134, 2, v82
	v_lshlrev_b32_e32 v82, 9, v82
	;; [unrolled: 9-line block ×4, first 2 shown]
	v_and_b32_e32 v142, 16, v142
	v_and_b32_e32 v143, 0x1000, v143
	;; [unrolled: 1-line block ×4, first 2 shown]
	v_ashrrev_i32_e32 v103, v14, v103
	s_waitcnt vmcnt(16)
	v_ashrrev_i32_e32 v85, v14, v85
	v_ashrrev_i32_e32 v109, v14, v109
	v_lshlrev_b32_e32 v151, 18, v101
	v_lshlrev_b32_e32 v152, 25, v101
	v_and_b32_e32 v105, 0xf0f0f0f, v105
	v_lshlrev_b32_e32 v155, 2, v101
	v_lshlrev_b32_e32 v101, 9, v101
	;; [unrolled: 1-line block ×4, first 2 shown]
	v_and_b32_e32 v107, 0xf0f0f0f, v107
	v_lshlrev_b32_e32 v162, 2, v104
	v_lshlrev_b32_e32 v104, 9, v104
	v_and_b32_e32 v116, 0x100000, v116
	v_and_b32_e32 v117, 0x10000000, v117
	;; [unrolled: 1-line block ×12, first 2 shown]
	v_or3_b32 v77, v114, v77, v115
	v_or3_b32 v78, v118, v78, v119
	v_and_b32_e32 v123, 0x100000, v123
	v_and_b32_e32 v124, 0x10000000, v124
	v_and_b32_e32 v127, 0x100000, v127
	v_and_b32_e32 v79, 0x10000000, v79
	v_or3_b32 v80, v121, v80, v122
	v_or3_b32 v81, v125, v81, v126
	v_and_b32_e32 v130, 0x100000, v130
	v_and_b32_e32 v131, 0x10000000, v131
	v_and_b32_e32 v134, 0x100000, v134
	v_and_b32_e32 v82, 0x10000000, v82
	;; [unrolled: 6-line block ×4, first 2 shown]
	v_or3_b32 v100, v142, v100, v143
	v_or3_b32 v88, v146, v88, v147
	v_and_b32_e32 v112, 0xf0f0f0f, v83
	v_lshrrev_b32_e32 v83, 4, v83
	s_waitcnt vmcnt(15)
	v_and_b32_e32 v113, 0xf0f0f0f, v86
	v_lshrrev_b32_e32 v86, 4, v86
	v_lshlrev_b32_e32 v163, 4, v103
	v_lshlrev_b32_e32 v164, 11, v103
	v_lshrrev_b32_e32 v167, 12, v103
	v_lshrrev_b32_e32 v168, 5, v103
	;; [unrolled: 1-line block ×4, first 2 shown]
	v_lshlrev_b32_e32 v177, 4, v109
	v_lshlrev_b32_e32 v178, 11, v109
	v_and_b32_e32 v151, 0x100000, v151
	v_and_b32_e32 v152, 0x10000000, v152
	;; [unrolled: 1-line block ×8, first 2 shown]
	v_or3_b32 v102, v149, v102, v150
	v_or3_b32 v105, v153, v105, v154
	;; [unrolled: 1-line block ×14, first 2 shown]
	v_lshlrev_b32_e32 v165, 18, v103
	v_lshlrev_b32_e32 v166, 25, v103
	v_and_b32_e32 v83, 0xf0f0f0f, v83
	v_lshlrev_b32_e32 v169, 2, v103
	v_lshlrev_b32_e32 v103, 9, v103
	;; [unrolled: 1-line block ×6, first 2 shown]
	v_and_b32_e32 v86, 0xf0f0f0f, v86
	v_lshlrev_b32_e32 v176, 2, v85
	v_lshlrev_b32_e32 v85, 9, v85
	v_and_b32_e32 v163, 16, v163
	v_and_b32_e32 v164, 0x1000, v164
	v_and_b32_e32 v167, 16, v167
	v_and_b32_e32 v168, 0x1000, v168
	v_and_b32_e32 v174, 16, v174
	v_and_b32_e32 v175, 0x1000, v175
	v_or3_b32 v88, v102, v151, v152
	v_or3_b32 v97, v105, v155, v101
	;; [unrolled: 1-line block ×4, first 2 shown]
	ds_write2_b32 v15, v77, v76 offset1:1
	ds_write2_b32 v17, v78, v79 offset1:1
	ds_write2_b32 v19, v80, v81 offset1:1
	ds_write2_b32 v20, v82, v95 offset1:1
	ds_write2_b32 v22, v96, v87 offset1:1
	ds_write2_b32 v23, v88, v97 offset1:1
	ds_write2_b32 v24, v98, v99 offset1:1
	s_waitcnt vmcnt(14)
	v_and_b32_e32 v76, 0xf0f0f0f, v89
	v_and_b32_e32 v77, 16, v177
	;; [unrolled: 1-line block ×9, first 2 shown]
	v_or3_b32 v112, v163, v112, v164
	v_or3_b32 v83, v167, v83, v168
	;; [unrolled: 1-line block ×4, first 2 shown]
	v_lshrrev_b32_e32 v77, 4, v89
	v_lshrrev_b32_e32 v78, 12, v109
	;; [unrolled: 1-line block ×3, first 2 shown]
	v_and_b32_e32 v170, 16, v170
	v_and_b32_e32 v171, 0x1000, v171
	v_or3_b32 v100, v112, v165, v166
	v_or3_b32 v83, v83, v169, v103
	;; [unrolled: 1-line block ×3, first 2 shown]
	v_and_b32_e32 v77, 0xf0f0f0f, v77
	v_and_b32_e32 v78, 16, v78
	;; [unrolled: 1-line block ×3, first 2 shown]
	v_ashrrev_i32_e32 v85, v14, v108
	v_and_b32_e32 v172, 0x100000, v172
	v_and_b32_e32 v173, 0x10000000, v173
	v_or3_b32 v113, v170, v113, v171
	ds_write2_b32 v25, v100, v83 offset1:1
	v_lshlrev_b32_e32 v81, 18, v109
	v_lshlrev_b32_e32 v83, 25, v109
	v_or3_b32 v77, v78, v77, v82
	v_lshlrev_b32_e32 v78, 4, v85
	v_lshlrev_b32_e32 v82, 11, v85
	v_or3_b32 v79, v113, v172, v173
	v_and_b32_e32 v81, 0x100000, v81
	v_and_b32_e32 v83, 0x10000000, v83
	s_waitcnt vmcnt(13)
	v_and_b32_e32 v88, 0xf0f0f0f, v90
	v_and_b32_e32 v78, 16, v78
	;; [unrolled: 1-line block ×3, first 2 shown]
	v_lshlrev_b32_e32 v86, 2, v109
	v_lshlrev_b32_e32 v87, 9, v109
	ds_write2_b32 v27, v79, v80 offset1:1
	v_or3_b32 v76, v76, v81, v83
	v_or3_b32 v78, v78, v88, v82
	v_lshrrev_b32_e32 v80, 4, v90
	v_lshrrev_b32_e32 v81, 12, v85
	;; [unrolled: 1-line block ×3, first 2 shown]
	v_and_b32_e32 v86, 0x100000, v86
	v_and_b32_e32 v87, 0x10000000, v87
	;; [unrolled: 1-line block ×5, first 2 shown]
	v_ashrrev_i32_e32 v84, v14, v84
	v_or3_b32 v77, v77, v86, v87
	v_lshlrev_b32_e32 v79, 18, v85
	v_lshlrev_b32_e32 v83, 25, v85
	;; [unrolled: 1-line block ×4, first 2 shown]
	v_or3_b32 v80, v81, v80, v82
	v_lshlrev_b32_e32 v81, 4, v84
	v_lshlrev_b32_e32 v82, 11, v84
	v_and_b32_e32 v79, 0x100000, v79
	v_and_b32_e32 v83, 0x10000000, v83
	;; [unrolled: 1-line block ×4, first 2 shown]
	s_waitcnt vmcnt(12)
	v_and_b32_e32 v87, 0xf0f0f0f, v91
	v_and_b32_e32 v81, 16, v81
	;; [unrolled: 1-line block ×3, first 2 shown]
	ds_write2_b32 v28, v76, v77 offset1:1
	v_or3_b32 v76, v78, v79, v83
	v_or3_b32 v77, v80, v86, v85
	v_lshrrev_b32_e32 v80, 4, v91
	v_or3_b32 v79, v81, v87, v82
	v_lshrrev_b32_e32 v81, 12, v84
	v_lshrrev_b32_e32 v82, 5, v84
	s_waitcnt vmcnt(8)
	v_ashrrev_i32_e32 v85, v14, v110
	v_and_b32_e32 v80, 0xf0f0f0f, v80
	v_lshlrev_b32_e32 v78, 18, v84
	v_and_b32_e32 v81, 16, v81
	v_and_b32_e32 v82, 0x1000, v82
	v_lshlrev_b32_e32 v83, 25, v84
	v_lshlrev_b32_e32 v86, 2, v84
	;; [unrolled: 1-line block ×3, first 2 shown]
	v_and_b32_e32 v78, 0x100000, v78
	v_or3_b32 v80, v81, v80, v82
	v_lshlrev_b32_e32 v81, 4, v85
	v_lshlrev_b32_e32 v82, 11, v85
	v_and_b32_e32 v83, 0x10000000, v83
	v_and_b32_e32 v86, 0x100000, v86
	;; [unrolled: 1-line block ×3, first 2 shown]
	s_waitcnt vmcnt(7)
	v_and_b32_e32 v87, 0xf0f0f0f, v111
	v_and_b32_e32 v81, 16, v81
	;; [unrolled: 1-line block ×3, first 2 shown]
	ds_write2_b32 v29, v76, v77 offset1:1
	v_or3_b32 v76, v79, v78, v83
	v_or3_b32 v77, v80, v86, v84
	v_lshrrev_b32_e32 v80, 4, v111
	v_or3_b32 v79, v81, v87, v82
	v_lshrrev_b32_e32 v81, 12, v85
	v_lshrrev_b32_e32 v82, 5, v85
	v_ashrrev_i32_e32 v84, v14, v94
	v_and_b32_e32 v80, 0xf0f0f0f, v80
	v_lshlrev_b32_e32 v78, 18, v85
	v_and_b32_e32 v81, 16, v81
	v_and_b32_e32 v82, 0x1000, v82
	v_lshlrev_b32_e32 v83, 25, v85
	v_lshlrev_b32_e32 v86, 2, v85
	v_lshlrev_b32_e32 v85, 9, v85
	v_and_b32_e32 v78, 0x100000, v78
	v_or3_b32 v80, v81, v80, v82
	v_lshlrev_b32_e32 v81, 4, v84
	v_lshlrev_b32_e32 v82, 11, v84
	v_and_b32_e32 v83, 0x10000000, v83
	v_and_b32_e32 v86, 0x100000, v86
	;; [unrolled: 1-line block ×3, first 2 shown]
	s_waitcnt vmcnt(6)
	v_and_b32_e32 v87, 0xf0f0f0f, v73
	v_and_b32_e32 v81, 16, v81
	;; [unrolled: 1-line block ×3, first 2 shown]
	v_lshlrev_b32_e32 v88, 18, v84
	v_lshlrev_b32_e32 v89, 25, v84
	v_or3_b32 v78, v79, v78, v83
	v_or3_b32 v79, v80, v86, v85
	v_or3_b32 v80, v81, v87, v82
	v_and_b32_e32 v81, 0x100000, v88
	v_and_b32_e32 v82, 0x10000000, v89
	v_lshrrev_b32_e32 v83, 12, v84
	v_lshrrev_b32_e32 v85, 5, v84
	v_ashrrev_i32_e32 v86, v14, v93
	v_lshrrev_b32_e32 v73, 4, v73
	v_or3_b32 v80, v80, v81, v82
	v_and_b32_e32 v81, 16, v83
	v_and_b32_e32 v82, 0x1000, v85
	v_lshlrev_b32_e32 v83, 4, v86
	v_lshlrev_b32_e32 v85, 11, v86
	s_waitcnt vmcnt(5)
	v_and_b32_e32 v88, 0xf0f0f0f, v4
	v_and_b32_e32 v73, 0xf0f0f0f, v73
	v_lshlrev_b32_e32 v87, 2, v84
	v_and_b32_e32 v83, 16, v83
	v_and_b32_e32 v85, 0x1000, v85
	v_lshrrev_b32_e32 v4, 4, v4
	v_or3_b32 v73, v81, v73, v82
	v_and_b32_e32 v81, 0x100000, v87
	v_lshrrev_b32_e32 v87, 5, v86
	v_or3_b32 v83, v83, v88, v85
	v_ashrrev_i32_e32 v88, v14, v92
	v_lshrrev_b32_e32 v85, 12, v86
	v_and_b32_e32 v4, 0xf0f0f0f, v4
	v_and_b32_e32 v87, 0x1000, v87
	s_waitcnt vmcnt(4)
	v_and_b32_e32 v93, 0xf0f0f0f, v5
	v_lshlrev_b32_e32 v90, 4, v88
	v_lshlrev_b32_e32 v91, 11, v88
	v_and_b32_e32 v85, 16, v85
	v_lshlrev_b32_e32 v84, 9, v84
	v_lshlrev_b32_e32 v89, 18, v86
	v_and_b32_e32 v90, 16, v90
	v_and_b32_e32 v91, 0x1000, v91
	v_lshlrev_b32_e32 v92, 2, v86
	v_or3_b32 v4, v85, v4, v87
	v_lshrrev_b32_e32 v5, 4, v5
	v_and_b32_e32 v82, 0x10000000, v84
	v_or3_b32 v87, v90, v93, v91
	v_lshrrev_b32_e32 v90, 12, v88
	v_lshrrev_b32_e32 v91, 5, v88
	v_and_b32_e32 v84, 0x100000, v89
	v_lshlrev_b32_e32 v89, 25, v86
	v_lshlrev_b32_e32 v86, 9, v86
	v_and_b32_e32 v85, 0x100000, v92
	v_lshlrev_b32_e32 v92, 18, v88
	v_lshlrev_b32_e32 v93, 25, v88
	v_and_b32_e32 v5, 0xf0f0f0f, v5
	v_and_b32_e32 v90, 16, v90
	;; [unrolled: 1-line block ×3, first 2 shown]
	v_lshlrev_b32_e32 v94, 2, v88
	v_lshlrev_b32_e32 v88, 9, v88
	v_and_b32_e32 v89, 0x10000000, v89
	v_and_b32_e32 v86, 0x10000000, v86
	;; [unrolled: 1-line block ×4, first 2 shown]
	v_or3_b32 v5, v90, v5, v91
	v_and_b32_e32 v90, 0x100000, v94
	v_and_b32_e32 v88, 0x10000000, v88
	v_or3_b32 v73, v73, v81, v82
	v_or3_b32 v81, v83, v84, v89
	;; [unrolled: 1-line block ×5, first 2 shown]
	ds_write2_b32 v31, v76, v77 offset1:1
	ds_write2_b32 v32, v78, v79 offset1:1
	;; [unrolled: 1-line block ×5, first 2 shown]
	s_waitcnt vmcnt(3)
	ds_write_b32 v67, v71
	s_waitcnt vmcnt(2)
	ds_write_b32 v68, v72
	s_waitcnt vmcnt(1)
	ds_write_b32 v69, v74
	s_waitcnt vmcnt(0)
	ds_write_b32 v70, v75
	s_cbranch_scc0 .LBB203_4
; %bb.6:                                ;   in Loop: Header=BB203_5 Depth=1
	v_add_nc_u32_e32 v4, s17, v11
	v_cmp_gt_i32_e64 s1, s9, v4
	s_and_b32 s5, s0, s1
	s_and_saveexec_b32 s1, s5
	s_cbranch_execz .LBB203_8
; %bb.7:                                ;   in Loop: Header=BB203_5 Depth=1
	v_add_nc_u32_e32 v4, v56, v4
	v_mad_i64_i32 v[4:5], null, v4, 36, v[1:2]
	global_load_dword v4, v[4:5], off offset:4
	s_waitcnt vmcnt(0)
	ds_write_b32 v52, v4
.LBB203_8:                              ;   in Loop: Header=BB203_5 Depth=1
	s_or_b32 exec_lo, exec_lo, s1
	v_add_nc_u32_e32 v4, s17, v0
	v_cmp_gt_i32_e64 s1, s9, v4
	s_and_b32 s5, s18, s1
	s_and_saveexec_b32 s1, s5
	s_cbranch_execz .LBB203_10
; %bb.9:                                ;   in Loop: Header=BB203_5 Depth=1
	v_add_nc_u32_e32 v5, v56, v4
	v_mad_i64_i32 v[71:72], null, v5, 36, s[2:3]
	global_load_dword v5, v[71:72], off
	s_waitcnt vmcnt(0)
	ds_write_b32 v53, v5
.LBB203_10:                             ;   in Loop: Header=BB203_5 Depth=1
	s_or_b32 exec_lo, exec_lo, s1
	v_mov_b32_e32 v5, v50
	v_mov_b32_e32 v71, v54
	;; [unrolled: 1-line block ×7, first 2 shown]
	s_mov_b32 s1, -4
	s_waitcnt lgkmcnt(0)
	s_barrier
	buffer_gl0_inv
.LBB203_11:                             ;   Parent Loop BB203_5 Depth=1
                                        ; =>  This Inner Loop Header: Depth=2
	v_add_nc_u32_e32 v93, 0x2080, v71
	v_add_nc_u32_e32 v95, 0x4100, v71
	;; [unrolled: 1-line block ×3, first 2 shown]
	ds_read_b128 v[77:80], v5
	ds_read_b128 v[81:84], v5 offset:16
	ds_read2_b32 v[85:86], v71 offset1:1
	ds_read2_b32 v[87:88], v71 offset0:2 offset1:3
	ds_read2_b32 v[89:90], v71 offset0:4 offset1:5
	;; [unrolled: 1-line block ×3, first 2 shown]
	ds_read_b32 v119, v72
	ds_read_b32 v120, v73
	;; [unrolled: 1-line block ×4, first 2 shown]
	ds_read2_b32 v[93:94], v93 offset1:1
	ds_read2_b32 v[95:96], v95 offset1:1
	ds_read2_b32 v[97:98], v97 offset1:1
	ds_read_b32 v124, v76
	v_add_nc_u32_e32 v99, 0x2088, v71
	v_add_nc_u32_e32 v101, 0x4108, v71
	;; [unrolled: 1-line block ×4, first 2 shown]
	v_mov_b32_e32 v117, 0
	v_mov_b32_e32 v118, 0
	v_add_nc_u32_e32 v107, 0x2098, v71
	v_mov_b32_e32 v123, 0
	v_add_nc_u32_e32 v109, 0x4110, v71
	v_add_nc_u32_e32 v111, 0x4118, v71
	v_mov_b32_e32 v125, 0
	v_add_nc_u32_e32 v113, 0x6190, v71
	v_add_nc_u32_e32 v115, 0x6198, v71
	ds_read2_b32 v[99:100], v99 offset1:1
	ds_read2_b32 v[101:102], v101 offset1:1
	ds_read2_b32 v[103:104], v103 offset1:1
	ds_read2_b32 v[105:106], v105 offset1:1
	ds_read2_b32 v[107:108], v107 offset1:1
	ds_read2_b32 v[109:110], v109 offset1:1
	ds_read2_b32 v[111:112], v111 offset1:1
	ds_read2_b32 v[113:114], v113 offset1:1
	ds_read2_b32 v[115:116], v115 offset1:1
	v_add_nc_u32_e32 v76, 4, v76
	s_waitcnt lgkmcnt(20)
	v_dot4c_i32_i8 v117, v85, v77
	s_waitcnt lgkmcnt(12)
	v_dot4c_i32_i8 v118, v93, v77
	;; [unrolled: 2-line block ×4, first 2 shown]
	v_pk_mul_f16 v77, v119, v120
	v_dot4c_i32_i8 v117, v86, v81
	v_dot4c_i32_i8 v118, v94, v81
	;; [unrolled: 1-line block ×4, first 2 shown]
	v_add_nc_u32_e32 v75, 4, v75
	v_dot4c_i32_i8 v117, v87, v78
	s_waitcnt lgkmcnt(8)
	v_dot4c_i32_i8 v118, v99, v78
	s_waitcnt lgkmcnt(7)
	;; [unrolled: 2-line block ×3, first 2 shown]
	v_dot4c_i32_i8 v125, v103, v78
	v_pk_mul_f16 v78, v119, v121
	v_dot4c_i32_i8 v117, v88, v82
	v_dot4c_i32_i8 v118, v100, v82
	;; [unrolled: 1-line block ×4, first 2 shown]
	v_add_nc_u32_e32 v74, 4, v74
	v_dot4c_i32_i8 v117, v89, v79
	s_waitcnt lgkmcnt(5)
	v_dot4c_i32_i8 v118, v105, v79
	s_waitcnt lgkmcnt(3)
	;; [unrolled: 2-line block ×3, first 2 shown]
	v_dot4c_i32_i8 v125, v113, v79
	v_pk_mul_f16 v79, v119, v122
	v_dot4c_i32_i8 v117, v90, v83
	v_dot4c_i32_i8 v118, v106, v83
	;; [unrolled: 1-line block ×4, first 2 shown]
	v_add_nc_u32_e32 v73, 4, v73
	v_dot4c_i32_i8 v117, v91, v80
	v_dot4c_i32_i8 v118, v107, v80
	;; [unrolled: 1-line block ×3, first 2 shown]
	s_waitcnt lgkmcnt(0)
	v_dot4c_i32_i8 v125, v115, v80
	v_pk_mul_f16 v80, v119, v124
	v_dot4c_i32_i8 v117, v92, v84
	v_dot4c_i32_i8 v118, v108, v84
	;; [unrolled: 1-line block ×4, first 2 shown]
	v_add_nc_u32_e32 v72, 4, v72
	v_cvt_f32_i32_e32 v81, v117
	v_cvt_f32_i32_e32 v82, v118
	;; [unrolled: 1-line block ×4, first 2 shown]
	v_add_nc_u32_e32 v71, 32, v71
	v_fma_mix_f32 v77, v77, v81, v77 op_sel:[0,0,1] op_sel_hi:[1,0,1]
	v_fma_mix_f32 v78, v78, v82, v78 op_sel:[0,0,1] op_sel_hi:[1,0,1]
	;; [unrolled: 1-line block ×4, first 2 shown]
	v_add_nc_u32_e32 v5, 32, v5
	v_add_f32_e32 v7, v7, v77
	v_add_f32_e32 v47, v47, v78
	;; [unrolled: 1-line block ×4, first 2 shown]
	s_add_i32 s1, s1, 4
	s_cmp_lt_u32 s1, 12
	s_cbranch_scc1 .LBB203_11
; %bb.12:                               ;   in Loop: Header=BB203_5 Depth=1
	s_bitset1_b32 s4, 7
	s_cmp_ge_i32 s4, s15
	s_barrier
	buffer_gl0_inv
	s_cbranch_scc1 .LBB203_4
; %bb.13:                               ;   in Loop: Header=BB203_5 Depth=1
	v_add_nc_u32_e32 v5, s17, v55
	v_cmp_gt_i32_e64 s1, s9, v5
	s_and_b32 s4, s0, s1
	s_and_saveexec_b32 s1, s4
	s_cbranch_execz .LBB203_15
; %bb.14:                               ;   in Loop: Header=BB203_5 Depth=1
	v_add_nc_u32_e32 v5, v56, v5
	v_mad_i64_i32 v[71:72], null, v5, 36, v[1:2]
	global_load_dword v5, v[71:72], off offset:4
	s_waitcnt vmcnt(0)
	ds_write_b32 v52, v5
.LBB203_15:                             ;   in Loop: Header=BB203_5 Depth=1
	s_or_b32 exec_lo, exec_lo, s1
	s_and_saveexec_b32 s4, vcc_lo
	s_cbranch_execz .LBB203_18
; %bb.16:                               ;   in Loop: Header=BB203_5 Depth=1
	v_or_b32_e32 v5, 4, v4
	v_cmp_gt_i32_e64 s1, s9, v5
	s_and_b32 s1, s0, s1
	s_and_b32 exec_lo, exec_lo, s1
	s_cbranch_execz .LBB203_18
; %bb.17:                               ;   in Loop: Header=BB203_5 Depth=1
	v_ashrrev_i32_e32 v5, 31, v4
	v_add_co_u32 v4, s1, v56, v4
	v_add_co_ci_u32_e64 v71, null, v57, v5, s1
	v_mad_u64_u32 v[4:5], null, v4, 36, s[2:3]
	v_mad_i32_i24 v5, v71, 36, v5
	global_load_dword v4, v[4:5], off offset:144
	s_waitcnt vmcnt(0)
	ds_write_b32 v53, v4
.LBB203_18:                             ;   in Loop: Header=BB203_5 Depth=1
	s_or_b32 exec_lo, exec_lo, s4
	v_mov_b32_e32 v4, v51
	v_mov_b32_e32 v5, v50
	;; [unrolled: 1-line block ×7, first 2 shown]
	s_mov_b32 s1, 12
	s_waitcnt lgkmcnt(0)
	s_barrier
	buffer_gl0_inv
.LBB203_19:                             ;   Parent Loop BB203_5 Depth=1
                                        ; =>  This Inner Loop Header: Depth=2
	v_add_nc_u32_e32 v92, 0x2080, v71
	v_add_nc_u32_e32 v94, 0x4100, v71
	;; [unrolled: 1-line block ×3, first 2 shown]
	ds_read_b128 v[76:79], v5
	ds_read_b32 v116, v4
	ds_read_b128 v[80:83], v5 offset:16
	ds_read2_b32 v[84:85], v71 offset1:1
	ds_read_b32 v118, v72
	ds_read2_b32 v[86:87], v71 offset0:2 offset1:3
	ds_read2_b32 v[88:89], v71 offset0:4 offset1:5
	;; [unrolled: 1-line block ×3, first 2 shown]
	ds_read_b32 v120, v73
	ds_read_b32 v121, v74
	ds_read2_b32 v[92:93], v92 offset1:1
	ds_read2_b32 v[94:95], v94 offset1:1
	;; [unrolled: 1-line block ×3, first 2 shown]
	ds_read_b32 v123, v75
	v_add_nc_u32_e32 v98, 0x2088, v71
	v_add_nc_u32_e32 v100, 0x4108, v71
	;; [unrolled: 1-line block ×4, first 2 shown]
	v_mov_b32_e32 v117, 0
	v_mov_b32_e32 v119, 0
	v_add_nc_u32_e32 v106, 0x2098, v71
	v_mov_b32_e32 v122, 0
	v_add_nc_u32_e32 v108, 0x4110, v71
	v_add_nc_u32_e32 v110, 0x4118, v71
	v_mov_b32_e32 v124, 0
	v_add_nc_u32_e32 v112, 0x6190, v71
	v_add_nc_u32_e32 v114, 0x6198, v71
	ds_read2_b32 v[98:99], v98 offset1:1
	ds_read2_b32 v[100:101], v100 offset1:1
	;; [unrolled: 1-line block ×9, first 2 shown]
	v_add_nc_u32_e32 v75, 4, v75
	v_add_nc_u32_e32 v74, 4, v74
	s_waitcnt lgkmcnt(19)
	v_dot4c_i32_i8 v117, v84, v76
	s_waitcnt lgkmcnt(12)
	v_dot4c_i32_i8 v119, v92, v76
	;; [unrolled: 2-line block ×4, first 2 shown]
	v_pk_mul_f16 v76, v116, v118
	v_dot4c_i32_i8 v117, v85, v80
	v_dot4c_i32_i8 v119, v93, v80
	;; [unrolled: 1-line block ×4, first 2 shown]
	v_add_nc_u32_e32 v73, 4, v73
	v_dot4c_i32_i8 v117, v86, v77
	s_waitcnt lgkmcnt(8)
	v_dot4c_i32_i8 v119, v98, v77
	s_waitcnt lgkmcnt(7)
	;; [unrolled: 2-line block ×3, first 2 shown]
	v_dot4c_i32_i8 v124, v102, v77
	v_pk_mul_f16 v77, v116, v120
	v_dot4c_i32_i8 v117, v87, v81
	v_dot4c_i32_i8 v119, v99, v81
	;; [unrolled: 1-line block ×4, first 2 shown]
	v_add_nc_u32_e32 v72, 4, v72
	v_dot4c_i32_i8 v117, v88, v78
	s_waitcnt lgkmcnt(5)
	v_dot4c_i32_i8 v119, v104, v78
	s_waitcnt lgkmcnt(3)
	v_dot4c_i32_i8 v122, v108, v78
	s_waitcnt lgkmcnt(1)
	v_dot4c_i32_i8 v124, v112, v78
	v_pk_mul_f16 v78, v116, v121
	v_dot4c_i32_i8 v117, v89, v82
	v_dot4c_i32_i8 v119, v105, v82
	;; [unrolled: 1-line block ×4, first 2 shown]
	v_add_nc_u32_e32 v71, 32, v71
	v_dot4c_i32_i8 v117, v90, v79
	v_dot4c_i32_i8 v119, v106, v79
	;; [unrolled: 1-line block ×3, first 2 shown]
	s_waitcnt lgkmcnt(0)
	v_dot4c_i32_i8 v124, v114, v79
	v_pk_mul_f16 v79, v116, v123
	v_dot4c_i32_i8 v117, v91, v83
	v_dot4c_i32_i8 v119, v107, v83
	;; [unrolled: 1-line block ×4, first 2 shown]
	v_add_nc_u32_e32 v5, 32, v5
	v_cvt_f32_i32_e32 v80, v117
	v_cvt_f32_i32_e32 v81, v119
	;; [unrolled: 1-line block ×4, first 2 shown]
	v_add_nc_u32_e32 v4, 4, v4
	v_fma_mix_f32 v76, v76, v80, v76 op_sel:[0,0,1] op_sel_hi:[1,0,1]
	v_fma_mix_f32 v77, v77, v81, v77 op_sel:[0,0,1] op_sel_hi:[1,0,1]
	;; [unrolled: 1-line block ×4, first 2 shown]
	s_add_i32 s1, s1, 4
	v_add_f32_e32 v7, v7, v76
	v_add_f32_e32 v47, v47, v77
	v_add_f32_e32 v40, v40, v78
	v_add_f32_e32 v3, v3, v79
	s_cmp_lt_u32 s1, 28
	s_cbranch_scc1 .LBB203_19
; %bb.20:                               ;   in Loop: Header=BB203_5 Depth=1
	s_barrier
	buffer_gl0_inv
	s_branch .LBB203_4
.LBB203_21:
	s_mul_i32 s0, s11, s8
	s_waitcnt vmcnt(0)
	v_cmp_gt_i32_e32 vcc_lo, s0, v6
	s_and_saveexec_b32 s0, vcc_lo
	s_cbranch_execz .LBB203_30
; %bb.22:
	v_add_nc_u32_e32 v1, s6, v0
	v_mul_lo_u32 v0, v6, s10
	s_mov_b32 s0, exec_lo
	v_cmpx_gt_u32_e64 s10, v1
	s_cbranch_execz .LBB203_24
; %bb.23:
	v_add_nc_u32_e32 v4, v0, v1
	v_mov_b32_e32 v5, 0
	v_cvt_f16_f32_e32 v2, v7
	v_lshlrev_b64 v[4:5], 1, v[4:5]
	v_add_co_u32 v4, vcc_lo, s12, v4
	v_add_co_ci_u32_e64 v5, null, s13, v5, vcc_lo
	global_store_short v[4:5], v2, off
.LBB203_24:
	s_or_b32 exec_lo, exec_lo, s0
	v_add_nc_u32_e32 v2, 32, v1
	s_mov_b32 s0, exec_lo
	v_cmpx_gt_u32_e64 s10, v2
	s_cbranch_execz .LBB203_26
; %bb.25:
	v_add_nc_u32_e32 v4, v0, v2
	v_mov_b32_e32 v5, 0
	v_cvt_f16_f32_e32 v2, v47
	v_lshlrev_b64 v[4:5], 1, v[4:5]
	v_add_co_u32 v4, vcc_lo, s12, v4
	v_add_co_ci_u32_e64 v5, null, s13, v5, vcc_lo
	global_store_short v[4:5], v2, off
.LBB203_26:
	s_or_b32 exec_lo, exec_lo, s0
	v_add_nc_u32_e32 v2, 64, v1
	;; [unrolled: 14-line block ×3, first 2 shown]
	v_cmp_gt_u32_e32 vcc_lo, s10, v1
	s_and_b32 exec_lo, exec_lo, vcc_lo
	s_cbranch_execz .LBB203_30
; %bb.29:
	v_add_nc_u32_e32 v0, v0, v1
	v_mov_b32_e32 v1, 0
	v_cvt_f16_f32_e32 v2, v3
	v_lshlrev_b64 v[0:1], 1, v[0:1]
	v_add_co_u32 v0, vcc_lo, s12, v0
	v_add_co_ci_u32_e64 v1, null, s13, v1, vcc_lo
	global_store_short v[0:1], v2, off
.LBB203_30:
	s_endpgm
	.section	.rodata,"a",@progbits
	.p2align	6, 0x0
	.amdhsa_kernel _ZL8moe_q5_1IN3c104HalfELb0EEvPKvS3_PT_PKiS7_S7_iiiiiii
		.amdhsa_group_segment_fixed_size 38656
		.amdhsa_private_segment_fixed_size 0
		.amdhsa_kernarg_size 76
		.amdhsa_user_sgpr_count 6
		.amdhsa_user_sgpr_private_segment_buffer 1
		.amdhsa_user_sgpr_dispatch_ptr 0
		.amdhsa_user_sgpr_queue_ptr 0
		.amdhsa_user_sgpr_kernarg_segment_ptr 1
		.amdhsa_user_sgpr_dispatch_id 0
		.amdhsa_user_sgpr_flat_scratch_init 0
		.amdhsa_user_sgpr_private_segment_size 0
		.amdhsa_wavefront_size32 1
		.amdhsa_uses_dynamic_stack 0
		.amdhsa_system_sgpr_private_segment_wavefront_offset 0
		.amdhsa_system_sgpr_workgroup_id_x 1
		.amdhsa_system_sgpr_workgroup_id_y 1
		.amdhsa_system_sgpr_workgroup_id_z 0
		.amdhsa_system_sgpr_workgroup_info 0
		.amdhsa_system_vgpr_workitem_id 1
		.amdhsa_next_free_vgpr 179
		.amdhsa_next_free_sgpr 19
		.amdhsa_reserve_vcc 1
		.amdhsa_reserve_flat_scratch 0
		.amdhsa_float_round_mode_32 0
		.amdhsa_float_round_mode_16_64 0
		.amdhsa_float_denorm_mode_32 3
		.amdhsa_float_denorm_mode_16_64 3
		.amdhsa_dx10_clamp 1
		.amdhsa_ieee_mode 1
		.amdhsa_fp16_overflow 0
		.amdhsa_workgroup_processor_mode 1
		.amdhsa_memory_ordered 1
		.amdhsa_forward_progress 1
		.amdhsa_shared_vgpr_count 0
		.amdhsa_exception_fp_ieee_invalid_op 0
		.amdhsa_exception_fp_denorm_src 0
		.amdhsa_exception_fp_ieee_div_zero 0
		.amdhsa_exception_fp_ieee_overflow 0
		.amdhsa_exception_fp_ieee_underflow 0
		.amdhsa_exception_fp_ieee_inexact 0
		.amdhsa_exception_int_div_zero 0
	.end_amdhsa_kernel
	.section	.text._ZL8moe_q5_1IN3c104HalfELb0EEvPKvS3_PT_PKiS7_S7_iiiiiii,"axG",@progbits,_ZL8moe_q5_1IN3c104HalfELb0EEvPKvS3_PT_PKiS7_S7_iiiiiii,comdat
.Lfunc_end203:
	.size	_ZL8moe_q5_1IN3c104HalfELb0EEvPKvS3_PT_PKiS7_S7_iiiiiii, .Lfunc_end203-_ZL8moe_q5_1IN3c104HalfELb0EEvPKvS3_PT_PKiS7_S7_iiiiiii
                                        ; -- End function
	.set _ZL8moe_q5_1IN3c104HalfELb0EEvPKvS3_PT_PKiS7_S7_iiiiiii.num_vgpr, 179
	.set _ZL8moe_q5_1IN3c104HalfELb0EEvPKvS3_PT_PKiS7_S7_iiiiiii.num_agpr, 0
	.set _ZL8moe_q5_1IN3c104HalfELb0EEvPKvS3_PT_PKiS7_S7_iiiiiii.numbered_sgpr, 19
	.set _ZL8moe_q5_1IN3c104HalfELb0EEvPKvS3_PT_PKiS7_S7_iiiiiii.num_named_barrier, 0
	.set _ZL8moe_q5_1IN3c104HalfELb0EEvPKvS3_PT_PKiS7_S7_iiiiiii.private_seg_size, 0
	.set _ZL8moe_q5_1IN3c104HalfELb0EEvPKvS3_PT_PKiS7_S7_iiiiiii.uses_vcc, 1
	.set _ZL8moe_q5_1IN3c104HalfELb0EEvPKvS3_PT_PKiS7_S7_iiiiiii.uses_flat_scratch, 0
	.set _ZL8moe_q5_1IN3c104HalfELb0EEvPKvS3_PT_PKiS7_S7_iiiiiii.has_dyn_sized_stack, 0
	.set _ZL8moe_q5_1IN3c104HalfELb0EEvPKvS3_PT_PKiS7_S7_iiiiiii.has_recursion, 0
	.set _ZL8moe_q5_1IN3c104HalfELb0EEvPKvS3_PT_PKiS7_S7_iiiiiii.has_indirect_call, 0
	.section	.AMDGPU.csdata,"",@progbits
; Kernel info:
; codeLenInByte = 6320
; TotalNumSgprs: 21
; NumVgprs: 179
; ScratchSize: 0
; MemoryBound: 0
; FloatMode: 240
; IeeeMode: 1
; LDSByteSize: 38656 bytes/workgroup (compile time only)
; SGPRBlocks: 0
; VGPRBlocks: 22
; NumSGPRsForWavesPerEU: 21
; NumVGPRsForWavesPerEU: 179
; Occupancy: 5
; WaveLimiterHint : 1
; COMPUTE_PGM_RSRC2:SCRATCH_EN: 0
; COMPUTE_PGM_RSRC2:USER_SGPR: 6
; COMPUTE_PGM_RSRC2:TRAP_HANDLER: 0
; COMPUTE_PGM_RSRC2:TGID_X_EN: 1
; COMPUTE_PGM_RSRC2:TGID_Y_EN: 1
; COMPUTE_PGM_RSRC2:TGID_Z_EN: 0
; COMPUTE_PGM_RSRC2:TIDIG_COMP_CNT: 1
	.section	.text._ZL8moe_q5_1IN3c104HalfELb1EEvPKvS3_PT_PKiS7_S7_iiiiiii,"axG",@progbits,_ZL8moe_q5_1IN3c104HalfELb1EEvPKvS3_PT_PKiS7_S7_iiiiiii,comdat
	.globl	_ZL8moe_q5_1IN3c104HalfELb1EEvPKvS3_PT_PKiS7_S7_iiiiiii ; -- Begin function _ZL8moe_q5_1IN3c104HalfELb1EEvPKvS3_PT_PKiS7_S7_iiiiiii
	.p2align	8
	.type	_ZL8moe_q5_1IN3c104HalfELb1EEvPKvS3_PT_PKiS7_S7_iiiiiii,@function
_ZL8moe_q5_1IN3c104HalfELb1EEvPKvS3_PT_PKiS7_S7_iiiiiii: ; @_ZL8moe_q5_1IN3c104HalfELb1EEvPKvS3_PT_PKiS7_S7_iiiiiii
; %bb.0:
	s_load_dwordx4 s[0:3], s[4:5], 0x18
	s_mov_b32 s8, s7
	s_mov_b32 s9, 0
	s_lshl_b64 s[10:11], s[8:9], 2
	s_waitcnt lgkmcnt(0)
	s_add_u32 s2, s2, s10
	s_addc_u32 s3, s3, s11
	s_load_dword s2, s[2:3], 0x0
	s_waitcnt lgkmcnt(0)
	s_cmpk_gt_u32 s2, 0xff
	s_cbranch_scc1 .LBB204_30
; %bb.1:
	s_load_dwordx2 s[10:11], s[4:5], 0x28
	s_lshl_b32 s3, s8, 3
	s_waitcnt lgkmcnt(0)
	s_load_dword s7, s[10:11], 0x0
	s_waitcnt lgkmcnt(0)
	s_cmp_gt_u32 s3, s7
	s_cbranch_scc1 .LBB204_30
; %bb.2:
	v_add_nc_u32_e32 v15, s3, v1
	v_mov_b32_e32 v16, 0
	v_lshlrev_b64 v[2:3], 2, v[15:16]
	v_mov_b32_e32 v46, v16
	v_mov_b32_e32 v50, v16
	;; [unrolled: 1-line block ×3, first 2 shown]
	v_add_co_u32 v2, vcc_lo, s0, v2
	v_add_co_ci_u32_e64 v3, null, s1, v3, vcc_lo
	global_load_dword v23, v[2:3], off
	s_clause 0x1
	s_load_dwordx8 s[8:15], s[4:5], 0x30
	s_load_dwordx2 s[16:17], s[4:5], 0x10
	s_waitcnt lgkmcnt(0)
	s_lshl_b32 s15, s6, 7
	s_cmp_lt_i32 s9, 32
	s_cbranch_scc1 .LBB204_21
; %bb.3:
	s_load_dwordx4 s[4:7], s[4:5], 0x0
	s_ashr_i32 s0, s9, 31
	s_ashr_i32 s1, s12, 31
	s_lshr_b32 s0, s0, 27
	s_lshr_b32 s1, s1, 27
	s_add_i32 s0, s9, s0
	s_mul_i32 s2, s2, s8
	s_ashr_i32 s8, s0, 5
	s_add_i32 s0, s12, s1
	s_mul_i32 s1, s8, s15
	s_ashr_i32 s3, s2, 31
	s_ashr_i32 s12, s0, 5
	s_mul_hi_i32 s0, s1, 24
	s_mul_i32 s1, s1, 24
	v_add_nc_u32_e32 v2, 8, v1
	v_add_nc_u32_e32 v3, 16, v1
	;; [unrolled: 1-line block ×4, first 2 shown]
	v_lshlrev_b32_e32 v20, 2, v0
	v_lshlrev_b32_e32 v19, 3, v0
	s_waitcnt lgkmcnt(0)
	s_add_u32 s2, s4, s2
	s_addc_u32 s3, s5, s3
	s_add_u32 s4, s2, s1
	s_addc_u32 s5, s3, s0
	s_abs_i32 s1, s14
	s_not_b32 s0, s15
	v_cvt_f32_u32_e32 v17, s1
	s_add_i32 s0, s10, s0
	v_add_nc_u32_e32 v9, 40, v1
	v_min_i32_e32 v4, s0, v1
	v_min_i32_e32 v5, s0, v2
	v_rcp_iflag_f32_e32 v17, v17
	v_add_nc_u32_e32 v10, 48, v1
	v_min_i32_e32 v6, s0, v3
	v_add_nc_u32_e32 v11, 56, v1
	v_min_i32_e32 v7, s0, v7
	;; [unrolled: 2-line block ×3, first 2 shown]
	v_add_nc_u32_e32 v13, 0x48, v1
	v_mad_u64_u32 v[2:3], null, 0x104, v4, v[19:20]
	v_min_i32_e32 v9, s0, v9
	v_add_nc_u32_e32 v14, 0x50, v1
	v_mul_lo_u32 v27, v4, s8
	v_mad_u64_u32 v[3:4], null, 0x104, v5, v[19:20]
	v_min_i32_e32 v10, s0, v10
	v_add_nc_u32_e32 v15, 0x58, v1
	v_mul_lo_u32 v28, v5, s8
	v_mad_u64_u32 v[4:5], null, 0x104, v6, v[19:20]
	v_min_i32_e32 v11, s0, v11
	v_add_nc_u32_e32 v16, 0x60, v1
	v_mul_f32_e32 v17, 0x4f7ffffe, v17
	v_mul_lo_u32 v29, v6, s8
	v_mad_u64_u32 v[5:6], null, 0x104, v7, v[19:20]
	v_min_i32_e32 v12, s0, v12
	v_add_nc_u32_e32 v18, 0x68, v1
	v_mul_lo_u32 v30, v7, s8
	v_mad_u64_u32 v[6:7], null, 0x104, v8, v[19:20]
	v_min_i32_e32 v13, s0, v13
	v_mul_lo_u32 v31, v8, s8
	v_mad_u64_u32 v[7:8], null, 0x104, v9, v[19:20]
	v_min_i32_e32 v14, s0, v14
	v_lshrrev_b32_e32 v40, 3, v0
	v_mul_lo_u32 v32, v9, s8
	v_mad_u64_u32 v[8:9], null, 0x104, v10, v[19:20]
	v_min_i32_e32 v15, s0, v15
	v_mul_lo_u32 v33, v10, s8
	v_mad_u64_u32 v[9:10], null, 0x104, v11, v[19:20]
	v_min_i32_e32 v16, s0, v16
	v_cvt_u32_f32_e32 v47, v17
	v_mul_lo_u32 v34, v11, s8
	v_mad_u64_u32 v[10:11], null, 0x104, v12, v[19:20]
	v_min_i32_e32 v18, s0, v18
	v_add_nc_u32_e32 v21, 0x70, v1
	v_mul_lo_u32 v35, v12, s8
	v_mad_u64_u32 v[11:12], null, 0x104, v13, v[19:20]
	v_add_nc_u32_e32 v22, 0x78, v1
	v_mul_lo_u32 v36, v13, s8
	v_mad_u64_u32 v[12:13], null, 0x104, v14, v[19:20]
	v_lshl_add_u32 v46, v1, 2, v40
	s_sub_i32 s2, 0, s1
	v_mul_lo_u32 v37, v14, s8
	v_mad_u64_u32 v[13:14], null, 0x104, v15, v[19:20]
	v_mul_lo_u32 v38, v15, s8
	v_mad_u64_u32 v[14:15], null, 0x104, v16, v[19:20]
	v_mul_lo_u32 v45, s2, v47
	v_mul_lo_u32 v39, v16, s8
	v_min_i32_e32 v21, s0, v21
	v_mad_u64_u32 v[15:16], null, 0x104, v18, v[19:20]
	v_min_i32_e32 v16, s0, v22
	v_add_nc_u32_e32 v48, 32, v46
	v_mul_lo_u32 v41, v18, s8
	v_mad_u64_u32 v[17:18], null, 0x104, v21, v[19:20]
	v_mad_u64_u32 v[18:19], null, 0x104, v16, v[19:20]
	v_min_i32_e32 v19, s0, v48
	v_mul_hi_u32 v48, v47, v45
	s_waitcnt vmcnt(0)
	v_sub_nc_u32_e32 v49, 0, v23
	v_min_i32_e32 v22, s0, v46
	v_mul_lo_u32 v42, v21, s8
	v_mul_lo_u32 v43, v16, s8
	v_ashrrev_i32_e32 v50, 31, v19
	v_max_i32_e32 v49, v23, v49
	v_ashrrev_i32_e32 v21, 31, v22
	v_add_nc_u32_e32 v47, v47, v48
	v_and_b32_e32 v44, 7, v0
	v_lshrrev_b32_e32 v48, 30, v50
	v_lshlrev_b32_e32 v68, 5, v19
	v_lshrrev_b32_e32 v16, 30, v21
	v_mul_hi_u32 v52, v49, v47
	v_add_nc_u32_e32 v21, 64, v46
	v_add_nc_u32_e32 v46, 0x60, v46
	;; [unrolled: 1-line block ×3, first 2 shown]
	v_lshlrev_b32_e32 v51, 2, v44
	v_add_nc_u32_e32 v16, v22, v16
	v_min_i32_e32 v21, s0, v21
	v_min_i32_e32 v46, s0, v46
	v_mul_lo_u32 v53, v52, s1
	v_add_nc_u32_e32 v58, 64, v0
	v_and_b32_e32 v16, -4, v16
	v_ashrrev_i32_e32 v50, 31, v21
	v_ashrrev_i32_e32 v54, 31, v46
	v_add_nc_u32_e32 v59, 0x60, v0
	v_and_b32_e32 v26, 12, v20
	v_add3_u32 v16, v16, v51, 0x8200
	v_lshrrev_b32_e32 v48, 30, v50
	v_sub_nc_u32_e32 v53, v49, v53
	v_and_b32_e32 v50, -4, v47
	v_mul_lo_u32 v47, v19, s8
	v_lshrrev_b32_e32 v19, 30, v54
	v_add_nc_u32_e32 v48, v21, v48
	v_add_nc_u32_e32 v49, 1, v52
	v_subrev_nc_u32_e32 v54, s1, v53
	v_cmp_le_u32_e32 vcc_lo, s1, v53
	v_add_nc_u32_e32 v19, v46, v19
	v_and_b32_e32 v55, -4, v48
	v_add3_u32 v50, v50, v51, 0x8200
	v_and_b32_e32 v57, 28, v20
	v_cndmask_b32_e32 v52, v52, v49, vcc_lo
	v_cndmask_b32_e32 v53, v53, v54, vcc_lo
	v_add3_u32 v69, v55, v51, 0x8200
	v_xor_b32_e32 v55, s14, v23
	v_and_b32_e32 v19, -4, v19
	v_add_nc_u32_e32 v54, 1, v52
	v_cmp_le_u32_e32 vcc_lo, s1, v53
	v_lshlrev_b32_e32 v60, 5, v0
	v_ashrrev_i32_e32 v55, 31, v55
	v_add3_u32 v70, v19, v51, 0x8200
	v_and_b32_e32 v19, 31, v0
	v_cndmask_b32_e32 v52, v52, v54, vcc_lo
	v_lshl_add_u32 v51, v1, 7, 0x9280
	v_lshl_add_u32 v1, v1, 4, 0x9680
	v_and_b32_e32 v59, 0x1fc, v59
	v_and_b32_e32 v58, 0x1fc, v58
	v_xor_b32_e32 v54, v52, v55
	v_lshl_or_b32 v52, v19, 2, v51
	v_add_nc_u32_e32 v19, 32, v0
	v_add_nc_u32_e32 v53, v1, v20
	v_and_b32_e32 v62, 0xfc, v0
	v_sub_nc_u32_e32 v20, v54, v55
	v_mul_lo_u32 v45, v22, s8
	v_and_b32_e32 v61, 0x1fc, v19
	v_lshlrev_b32_e32 v22, 5, v22
	v_mul_lo_u32 v48, v21, s8
	v_mul_lo_u32 v56, v20, s12
	v_lshlrev_b32_e32 v21, 5, v21
	v_mul_lo_u32 v49, v46, s8
	v_lshlrev_b32_e32 v46, 5, v46
	v_add_nc_u32_e32 v63, v60, v59
	v_add_nc_u32_e32 v64, v60, v58
	;; [unrolled: 1-line block ×4, first 2 shown]
	v_lshrrev_b32_e32 v55, 3, v19
	v_add_co_u32 v19, s1, s6, v57
	v_cmp_gt_u32_e32 vcc_lo, 4, v0
	v_cmp_gt_i32_e64 s0, s11, v20
	v_add_co_ci_u32_e64 v20, null, s7, 0, s1
	s_movk_i32 s1, 0x80
	v_lshrrev_b32_e32 v25, 2, v0
	v_mov_b32_e32 v24, 0
	v_mul_u32_u24_e32 v54, 0x104, v0
	v_ashrrev_i32_e32 v57, 31, v56
	v_add_nc_u32_e32 v58, 0x8e00, v63
	v_add_nc_u32_e32 v59, 0x8a00, v64
	;; [unrolled: 1-line block ×8, first 2 shown]
	v_mad_u32_u24 v66, 0x104, v0, s1
	v_add_nc_u32_e32 v67, v16, v22
	v_add_nc_u32_e32 v68, v50, v68
	v_add_nc_u32_e32 v69, v69, v21
	v_add_nc_u32_e32 v70, v70, v46
	v_mov_b32_e32 v50, 0
	v_mov_b32_e32 v46, 0
	;; [unrolled: 1-line block ×3, first 2 shown]
	s_mov_b32 s10, 0
	s_and_b32 s18, vcc_lo, s0
	s_branch .LBB204_5
.LBB204_4:                              ;   in Loop: Header=BB204_5 Depth=1
	s_add_i32 s10, s10, 8
	s_cmp_ge_i32 s10, s8
	s_cbranch_scc1 .LBB204_21
.LBB204_5:                              ; =>This Loop Header: Depth=1
                                        ;     Child Loop BB204_11 Depth 2
                                        ;     Child Loop BB204_19 Depth 2
	s_mul_i32 s1, s10, 24
	s_mul_hi_u32 s3, s10, 24
	s_add_u32 s2, s4, s1
	s_addc_u32 s3, s5, s3
	v_mad_u64_u32 v[21:22], null, v25, 24, s[2:3]
	v_mad_i64_i32 v[71:72], null, v27, 24, v[21:22]
	v_mad_i64_i32 v[73:74], null, v28, 24, v[21:22]
	;; [unrolled: 1-line block ×4, first 2 shown]
	s_clause 0x1
	global_load_dword v92, v[73:74], off offset:4
	global_load_dword v93, v[71:72], off offset:4
	v_add_co_u32 v71, s1, v71, v26
	v_add_co_ci_u32_e64 v72, null, 0, v72, s1
	v_add_co_u32 v73, s1, v73, v26
	v_mad_i64_i32 v[79:80], null, v31, 24, v[21:22]
	v_mad_i64_i32 v[81:82], null, v32, 24, v[21:22]
	v_add_co_ci_u32_e64 v74, null, 0, v74, s1
	v_mad_i64_i32 v[83:84], null, v33, 24, v[21:22]
	v_mad_i64_i32 v[85:86], null, v34, 24, v[21:22]
	;; [unrolled: 1-line block ×4, first 2 shown]
	s_clause 0x9
	global_load_dword v94, v[75:76], off offset:4
	global_load_dword v95, v[77:78], off offset:4
	;; [unrolled: 1-line block ×10, first 2 shown]
	v_add_co_u32 v71, s1, v75, v26
	v_add_co_ci_u32_e64 v72, null, 0, v76, s1
	v_add_co_u32 v73, s1, v77, v26
	v_add_co_ci_u32_e64 v74, null, 0, v78, s1
	global_load_dword v104, v[71:72], off offset:8
	v_mad_i64_i32 v[76:77], null, v38, 24, v[21:22]
	global_load_dword v105, v[73:74], off offset:8
	v_add_co_u32 v71, s1, v79, v26
	v_add_co_ci_u32_e64 v72, null, 0, v80, s1
	v_add_co_u32 v73, s1, v81, v26
	v_add_co_ci_u32_e64 v74, null, 0, v82, s1
	global_load_dword v106, v[71:72], off offset:8
	v_mad_i64_i32 v[78:79], null, v39, 24, v[21:22]
	global_load_dword v107, v[73:74], off offset:8
	v_add_co_u32 v71, s1, v83, v26
	v_add_co_ci_u32_e64 v72, null, 0, v84, s1
	v_add_co_u32 v73, s1, v85, v26
	v_add_co_ci_u32_e64 v74, null, 0, v86, s1
	s_clause 0x1
	global_load_dword v108, v[71:72], off offset:8
	global_load_dword v109, v[73:74], off offset:8
	v_add_co_u32 v71, s1, v87, v26
	v_add_co_ci_u32_e64 v72, null, 0, v88, s1
	global_load_dword v111, v[78:79], off offset:4
	v_mad_i64_i32 v[82:83], null, v43, 24, v[21:22]
	global_load_dword v110, v[71:72], off offset:8
	v_add_co_u32 v71, s1, v89, v26
	v_add_co_ci_u32_e64 v72, null, 0, v90, s1
	v_mad_i64_i32 v[84:85], null, v42, 24, v[21:22]
	v_mad_i64_i32 v[80:81], null, v41, 24, v[21:22]
	global_load_dword v75, v[71:72], off offset:8
	v_mad_i64_i32 v[71:72], null, v37, 24, v[21:22]
	global_load_dword v74, v[71:72], off offset:4
	v_add_co_u32 v71, s1, v71, v26
	v_add_co_ci_u32_e64 v72, null, 0, v72, s1
	s_clause 0x1
	global_load_dword v73, v[71:72], off offset:8
	global_load_dword v72, v[76:77], off offset:4
	v_add_co_u32 v76, s1, v76, v26
	v_add_co_ci_u32_e64 v77, null, 0, v77, s1
	v_add_co_u32 v78, s1, v78, v26
	v_add_co_ci_u32_e64 v79, null, 0, v79, s1
	s_clause 0x4
	global_load_dword v71, v[76:77], off offset:8
	global_load_dword v112, v[82:83], off offset:4
	;; [unrolled: 1-line block ×5, first 2 shown]
	v_mad_u64_u32 v[76:77], null, v44, 24, s[2:3]
	v_add_co_u32 v78, s1, v80, v26
	v_add_co_u32 v80, s2, v84, v26
	;; [unrolled: 1-line block ×3, first 2 shown]
	v_mad_i64_i32 v[21:22], null, v45, 24, v[76:77]
	v_mad_i64_i32 v[88:89], null, v48, 24, v[76:77]
	;; [unrolled: 1-line block ×4, first 2 shown]
	v_add_co_ci_u32_e64 v79, null, 0, v81, s1
	v_add_co_ci_u32_e64 v81, null, 0, v85, s2
	;; [unrolled: 1-line block ×3, first 2 shown]
	s_clause 0x6
	global_load_dword v22, v[21:22], off
	global_load_dword v21, v[86:87], off
	;; [unrolled: 1-line block ×4, first 2 shown]
	global_load_dword v78, v[78:79], off offset:8
	global_load_dword v79, v[80:81], off offset:8
	global_load_dword v80, v[82:83], off offset:8
	s_lshl_b32 s2, s10, 5
	s_cmp_lt_i32 s2, s9
	s_waitcnt vmcnt(35)
	v_ashrrev_i32_e32 v82, v26, v92
	s_waitcnt vmcnt(34)
	v_ashrrev_i32_e32 v81, v26, v93
	v_lshrrev_b32_e32 v116, 12, v82
	v_lshlrev_b32_e32 v91, 4, v81
	v_lshlrev_b32_e32 v92, 11, v81
	v_lshrrev_b32_e32 v117, 5, v82
	v_lshlrev_b32_e32 v93, 18, v81
	v_lshlrev_b32_e32 v118, 2, v82
	v_and_b32_e32 v91, 16, v91
	v_and_b32_e32 v92, 0x1000, v92
	;; [unrolled: 1-line block ×4, first 2 shown]
	s_waitcnt vmcnt(33)
	v_ashrrev_i32_e32 v83, v26, v94
	s_waitcnt vmcnt(32)
	v_ashrrev_i32_e32 v84, v26, v95
	;; [unrolled: 2-line block ×6, first 2 shown]
	v_lshlrev_b32_e32 v98, 4, v82
	v_lshlrev_b32_e32 v99, 11, v82
	;; [unrolled: 1-line block ×4, first 2 shown]
	s_waitcnt vmcnt(24)
	v_and_b32_e32 v158, 0xf0f0f0f, v103
	v_and_b32_e32 v98, 16, v98
	;; [unrolled: 1-line block ×3, first 2 shown]
	v_lshlrev_b32_e32 v133, 4, v85
	v_lshlrev_b32_e32 v134, 11, v85
	v_and_b32_e32 v126, 16, v126
	v_and_b32_e32 v127, 0x1000, v127
	v_or3_b32 v98, v98, v158, v99
	v_and_b32_e32 v156, 0xf0f0f0f, v102
	v_lshrrev_b32_e32 v95, 12, v81
	v_lshrrev_b32_e32 v96, 5, v81
	s_waitcnt vmcnt(22)
	v_and_b32_e32 v99, 0xf0f0f0f, v105
	v_lshrrev_b32_e32 v102, 4, v102
	v_lshrrev_b32_e32 v103, 4, v103
	v_lshlrev_b32_e32 v119, 4, v83
	v_lshlrev_b32_e32 v120, 11, v83
	v_or3_b32 v99, v126, v99, v127
	v_and_b32_e32 v127, 16, v133
	v_and_b32_e32 v133, 0x1000, v134
	v_lshrrev_b32_e32 v123, 12, v83
	s_waitcnt vmcnt(21)
	v_and_b32_e32 v126, 0xf0f0f0f, v106
	v_lshrrev_b32_e32 v124, 5, v83
	v_or3_b32 v91, v91, v156, v92
	v_and_b32_e32 v156, 0xf0f0f0f, v104
	v_lshrrev_b32_e32 v104, 4, v104
	v_lshrrev_b32_e32 v130, 12, v84
	;; [unrolled: 1-line block ×7, first 2 shown]
	v_lshlrev_b32_e32 v94, 25, v81
	v_lshlrev_b32_e32 v97, 2, v81
	;; [unrolled: 1-line block ×5, first 2 shown]
	v_lshrrev_b32_e32 v144, 12, v86
	v_lshrrev_b32_e32 v145, 5, v86
	v_lshlrev_b32_e32 v147, 4, v87
	v_lshlrev_b32_e32 v148, 11, v87
	v_lshrrev_b32_e32 v151, 12, v87
	v_lshrrev_b32_e32 v152, 5, v87
	s_waitcnt vmcnt(20)
	v_and_b32_e32 v134, 0xf0f0f0f, v107
	v_or3_b32 v126, v127, v126, v133
	s_waitcnt vmcnt(19)
	v_and_b32_e32 v133, 0xf0f0f0f, v108
	v_and_b32_e32 v95, 16, v95
	;; [unrolled: 1-line block ×4, first 2 shown]
	v_lshrrev_b32_e32 v107, 4, v107
	v_lshrrev_b32_e32 v108, 4, v108
	v_ashrrev_i32_e32 v89, v26, v100
	v_ashrrev_i32_e32 v90, v26, v101
	v_lshlrev_b32_e32 v100, 18, v82
	v_lshlrev_b32_e32 v101, 25, v82
	;; [unrolled: 1-line block ×3, first 2 shown]
	v_and_b32_e32 v103, 0xf0f0f0f, v103
	v_lshlrev_b32_e32 v121, 18, v83
	v_lshlrev_b32_e32 v122, 25, v83
	;; [unrolled: 1-line block ×4, first 2 shown]
	v_and_b32_e32 v119, 16, v119
	v_and_b32_e32 v120, 0x1000, v120
	;; [unrolled: 1-line block ×5, first 2 shown]
	v_lshlrev_b32_e32 v128, 18, v84
	v_lshlrev_b32_e32 v129, 25, v84
	;; [unrolled: 1-line block ×4, first 2 shown]
	v_and_b32_e32 v130, 16, v130
	v_and_b32_e32 v131, 0x1000, v131
	;; [unrolled: 1-line block ×3, first 2 shown]
	v_lshlrev_b32_e32 v135, 18, v85
	v_lshlrev_b32_e32 v136, 25, v85
	;; [unrolled: 1-line block ×4, first 2 shown]
	v_and_b32_e32 v137, 16, v137
	v_and_b32_e32 v138, 0x1000, v138
	v_and_b32_e32 v106, 0xf0f0f0f, v106
	v_lshlrev_b32_e32 v142, 18, v86
	v_lshlrev_b32_e32 v143, 25, v86
	;; [unrolled: 1-line block ×10, first 2 shown]
	v_and_b32_e32 v140, 16, v140
	v_and_b32_e32 v141, 0x1000, v141
	;; [unrolled: 1-line block ×4, first 2 shown]
	v_or3_b32 v95, v95, v102, v96
	v_and_b32_e32 v93, 0x100000, v93
	v_and_b32_e32 v94, 0x10000000, v94
	;; [unrolled: 1-line block ×14, first 2 shown]
	v_or3_b32 v103, v116, v103, v117
	v_or3_b32 v119, v119, v156, v120
	v_and_b32_e32 v121, 0x100000, v121
	v_and_b32_e32 v122, 0x10000000, v122
	v_and_b32_e32 v125, 0x100000, v125
	v_and_b32_e32 v83, 0x10000000, v83
	v_or3_b32 v104, v123, v104, v124
	v_and_b32_e32 v128, 0x100000, v128
	v_and_b32_e32 v129, 0x10000000, v129
	v_and_b32_e32 v132, 0x100000, v132
	v_and_b32_e32 v84, 0x10000000, v84
	;; [unrolled: 5-line block ×3, first 2 shown]
	v_or3_b32 v106, v137, v106, v138
	v_lshlrev_b32_e32 v127, 4, v89
	v_or3_b32 v134, v140, v134, v141
	v_lshlrev_b32_e32 v140, 11, v89
	s_waitcnt vmcnt(18)
	v_and_b32_e32 v141, 0xf0f0f0f, v109
	v_and_b32_e32 v154, 16, v154
	;; [unrolled: 1-line block ×3, first 2 shown]
	v_or3_b32 v133, v147, v133, v148
	v_lshlrev_b32_e32 v96, 4, v90
	v_lshlrev_b32_e32 v102, 11, v90
	v_and_b32_e32 v142, 0x100000, v142
	v_and_b32_e32 v143, 0x10000000, v143
	;; [unrolled: 1-line block ×8, first 2 shown]
	v_or3_b32 v107, v144, v107, v145
	v_or3_b32 v108, v151, v108, v152
	v_or3_b32 v91, v91, v93, v94
	v_or3_b32 v81, v95, v97, v81
	v_or3_b32 v93, v98, v100, v101
	v_or3_b32 v82, v103, v118, v82
	v_or3_b32 v94, v119, v121, v122
	v_or3_b32 v83, v104, v125, v83
	v_or3_b32 v98, v99, v128, v129
	v_or3_b32 v84, v105, v132, v84
	v_or3_b32 v99, v126, v135, v136
	v_or3_b32 v85, v106, v139, v85
	v_lshrrev_b32_e32 v158, 12, v88
	v_lshrrev_b32_e32 v120, 5, v88
	v_or3_b32 v141, v154, v141, v155
	s_waitcnt vmcnt(16)
	v_and_b32_e32 v154, 0xf0f0f0f, v110
	v_and_b32_e32 v127, 16, v127
	;; [unrolled: 1-line block ×3, first 2 shown]
	v_lshrrev_b32_e32 v109, 4, v109
	v_or3_b32 v100, v134, v142, v143
	v_or3_b32 v101, v133, v149, v150
	;; [unrolled: 1-line block ×4, first 2 shown]
	ds_write2_b32 v2, v91, v81 offset1:1
	ds_write2_b32 v3, v93, v82 offset1:1
	;; [unrolled: 1-line block ×7, first 2 shown]
	s_waitcnt vmcnt(15)
	v_and_b32_e32 v81, 0xf0f0f0f, v75
	v_and_b32_e32 v82, 16, v96
	;; [unrolled: 1-line block ×3, first 2 shown]
	v_lshlrev_b32_e32 v157, 18, v88
	v_lshlrev_b32_e32 v92, 25, v88
	;; [unrolled: 1-line block ×4, first 2 shown]
	v_lshrrev_b32_e32 v155, 12, v89
	v_or3_b32 v127, v127, v154, v140
	v_lshrrev_b32_e32 v140, 5, v89
	v_lshrrev_b32_e32 v110, 4, v110
	v_and_b32_e32 v158, 16, v158
	v_and_b32_e32 v120, 0x1000, v120
	;; [unrolled: 1-line block ×3, first 2 shown]
	v_or3_b32 v81, v82, v81, v83
	v_lshrrev_b32_e32 v75, 4, v75
	v_lshrrev_b32_e32 v82, 12, v90
	;; [unrolled: 1-line block ×3, first 2 shown]
	v_lshlrev_b32_e32 v147, 18, v89
	v_lshlrev_b32_e32 v148, 25, v89
	;; [unrolled: 1-line block ×4, first 2 shown]
	v_and_b32_e32 v157, 0x100000, v157
	v_and_b32_e32 v92, 0x10000000, v92
	;; [unrolled: 1-line block ×7, first 2 shown]
	v_or3_b32 v109, v158, v109, v120
	v_and_b32_e32 v75, 0xf0f0f0f, v75
	v_and_b32_e32 v82, 16, v82
	;; [unrolled: 1-line block ×3, first 2 shown]
	s_waitcnt vmcnt(14)
	v_ashrrev_i32_e32 v74, v26, v74
	v_and_b32_e32 v147, 0x100000, v147
	v_and_b32_e32 v148, 0x10000000, v148
	;; [unrolled: 1-line block ×4, first 2 shown]
	v_or3_b32 v110, v155, v110, v140
	v_or3_b32 v92, v141, v157, v92
	;; [unrolled: 1-line block ×4, first 2 shown]
	v_lshlrev_b32_e32 v82, 4, v74
	v_lshlrev_b32_e32 v83, 11, v74
	v_or3_b32 v84, v127, v147, v148
	ds_write2_b32 v9, v92, v88 offset1:1
	v_or3_b32 v85, v110, v154, v89
	v_lshlrev_b32_e32 v86, 18, v90
	v_lshlrev_b32_e32 v87, 25, v90
	;; [unrolled: 1-line block ×4, first 2 shown]
	s_waitcnt vmcnt(13)
	v_and_b32_e32 v90, 0xf0f0f0f, v73
	v_and_b32_e32 v82, 16, v82
	;; [unrolled: 1-line block ×3, first 2 shown]
	ds_write2_b32 v10, v84, v85 offset1:1
	v_lshrrev_b32_e32 v73, 4, v73
	v_lshrrev_b32_e32 v85, 5, v74
	v_and_b32_e32 v86, 0x100000, v86
	v_or3_b32 v82, v82, v90, v83
	v_lshrrev_b32_e32 v83, 12, v74
	v_and_b32_e32 v87, 0x10000000, v87
	v_and_b32_e32 v73, 0xf0f0f0f, v73
	;; [unrolled: 1-line block ×3, first 2 shown]
	s_waitcnt vmcnt(12)
	v_ashrrev_i32_e32 v72, v26, v72
	v_and_b32_e32 v83, 16, v83
	v_and_b32_e32 v88, 0x100000, v88
	;; [unrolled: 1-line block ×3, first 2 shown]
	v_or3_b32 v81, v81, v86, v87
	v_lshlrev_b32_e32 v84, 18, v74
	v_lshlrev_b32_e32 v86, 25, v74
	v_or3_b32 v73, v83, v73, v85
	v_lshlrev_b32_e32 v83, 4, v72
	v_lshlrev_b32_e32 v85, 11, v72
	v_or3_b32 v75, v75, v88, v89
	v_and_b32_e32 v84, 0x100000, v84
	v_and_b32_e32 v86, 0x10000000, v86
	s_waitcnt vmcnt(11)
	v_and_b32_e32 v88, 0xf0f0f0f, v71
	v_and_b32_e32 v83, 16, v83
	;; [unrolled: 1-line block ×3, first 2 shown]
	v_lshlrev_b32_e32 v87, 2, v74
	v_lshlrev_b32_e32 v74, 9, v74
	ds_write2_b32 v11, v81, v75 offset1:1
	v_or3_b32 v75, v82, v84, v86
	v_or3_b32 v81, v83, v88, v85
	v_lshrrev_b32_e32 v71, 4, v71
	v_lshrrev_b32_e32 v82, 12, v72
	v_lshrrev_b32_e32 v83, 5, v72
	v_and_b32_e32 v87, 0x100000, v87
	v_and_b32_e32 v74, 0x10000000, v74
	;; [unrolled: 1-line block ×5, first 2 shown]
	v_ashrrev_i32_e32 v85, v26, v111
	v_or3_b32 v73, v73, v87, v74
	v_lshlrev_b32_e32 v74, 18, v72
	v_lshlrev_b32_e32 v84, 25, v72
	v_or3_b32 v71, v82, v71, v83
	v_lshlrev_b32_e32 v82, 4, v85
	v_lshlrev_b32_e32 v83, 11, v85
	v_and_b32_e32 v74, 0x100000, v74
	v_and_b32_e32 v84, 0x10000000, v84
	s_waitcnt vmcnt(8)
	v_and_b32_e32 v87, 0xf0f0f0f, v114
	v_and_b32_e32 v82, 16, v82
	;; [unrolled: 1-line block ×3, first 2 shown]
	v_lshlrev_b32_e32 v86, 2, v72
	v_lshlrev_b32_e32 v72, 9, v72
	ds_write2_b32 v12, v75, v73 offset1:1
	v_or3_b32 v73, v81, v74, v84
	v_or3_b32 v74, v82, v87, v83
	v_lshrrev_b32_e32 v75, 4, v114
	v_lshrrev_b32_e32 v81, 12, v85
	v_lshrrev_b32_e32 v82, 5, v85
	v_and_b32_e32 v86, 0x100000, v86
	v_and_b32_e32 v72, 0x10000000, v72
	;; [unrolled: 1-line block ×5, first 2 shown]
	s_waitcnt vmcnt(7)
	v_ashrrev_i32_e32 v84, v26, v115
	v_or3_b32 v71, v71, v86, v72
	v_lshlrev_b32_e32 v72, 18, v85
	v_lshlrev_b32_e32 v83, 25, v85
	;; [unrolled: 1-line block ×4, first 2 shown]
	v_or3_b32 v75, v81, v75, v82
	v_lshlrev_b32_e32 v81, 4, v84
	v_lshlrev_b32_e32 v82, 11, v84
	v_and_b32_e32 v72, 0x100000, v72
	v_and_b32_e32 v83, 0x10000000, v83
	;; [unrolled: 1-line block ×4, first 2 shown]
	s_waitcnt vmcnt(2)
	v_and_b32_e32 v87, 0xf0f0f0f, v78
	v_and_b32_e32 v81, 16, v81
	;; [unrolled: 1-line block ×3, first 2 shown]
	v_lshlrev_b32_e32 v88, 18, v84
	v_lshlrev_b32_e32 v89, 25, v84
	v_or3_b32 v72, v74, v72, v83
	v_or3_b32 v74, v75, v86, v85
	;; [unrolled: 1-line block ×3, first 2 shown]
	v_and_b32_e32 v81, 0x100000, v88
	v_and_b32_e32 v82, 0x10000000, v89
	v_lshrrev_b32_e32 v83, 12, v84
	v_lshrrev_b32_e32 v85, 5, v84
	v_ashrrev_i32_e32 v86, v26, v113
	v_lshrrev_b32_e32 v78, 4, v78
	v_or3_b32 v75, v75, v81, v82
	v_and_b32_e32 v81, 16, v83
	v_and_b32_e32 v82, 0x1000, v85
	v_lshlrev_b32_e32 v83, 4, v86
	v_lshlrev_b32_e32 v85, 11, v86
	s_waitcnt vmcnt(1)
	v_and_b32_e32 v88, 0xf0f0f0f, v79
	v_and_b32_e32 v78, 0xf0f0f0f, v78
	v_lshlrev_b32_e32 v87, 2, v84
	v_and_b32_e32 v83, 16, v83
	v_and_b32_e32 v85, 0x1000, v85
	v_lshrrev_b32_e32 v79, 4, v79
	v_or3_b32 v78, v81, v78, v82
	v_and_b32_e32 v81, 0x100000, v87
	v_lshrrev_b32_e32 v87, 5, v86
	v_or3_b32 v83, v83, v88, v85
	v_ashrrev_i32_e32 v88, v26, v112
	v_lshrrev_b32_e32 v85, 12, v86
	v_and_b32_e32 v79, 0xf0f0f0f, v79
	v_and_b32_e32 v87, 0x1000, v87
	s_waitcnt vmcnt(0)
	v_and_b32_e32 v93, 0xf0f0f0f, v80
	v_lshlrev_b32_e32 v90, 4, v88
	v_lshlrev_b32_e32 v91, 11, v88
	v_and_b32_e32 v85, 16, v85
	v_lshlrev_b32_e32 v84, 9, v84
	v_lshlrev_b32_e32 v89, 18, v86
	v_and_b32_e32 v90, 16, v90
	v_and_b32_e32 v91, 0x1000, v91
	v_lshlrev_b32_e32 v92, 2, v86
	v_or3_b32 v79, v85, v79, v87
	v_lshrrev_b32_e32 v80, 4, v80
	v_and_b32_e32 v82, 0x10000000, v84
	v_or3_b32 v87, v90, v93, v91
	v_lshrrev_b32_e32 v90, 12, v88
	v_lshrrev_b32_e32 v91, 5, v88
	v_and_b32_e32 v84, 0x100000, v89
	v_lshlrev_b32_e32 v89, 25, v86
	v_lshlrev_b32_e32 v86, 9, v86
	v_and_b32_e32 v85, 0x100000, v92
	v_lshlrev_b32_e32 v92, 18, v88
	v_lshlrev_b32_e32 v93, 25, v88
	v_and_b32_e32 v80, 0xf0f0f0f, v80
	v_and_b32_e32 v90, 16, v90
	;; [unrolled: 1-line block ×3, first 2 shown]
	v_lshlrev_b32_e32 v94, 2, v88
	v_lshlrev_b32_e32 v88, 9, v88
	v_and_b32_e32 v89, 0x10000000, v89
	v_and_b32_e32 v86, 0x10000000, v86
	;; [unrolled: 1-line block ×4, first 2 shown]
	v_or3_b32 v80, v90, v80, v91
	v_and_b32_e32 v90, 0x100000, v94
	v_and_b32_e32 v88, 0x10000000, v88
	v_or3_b32 v78, v78, v81, v82
	v_or3_b32 v81, v83, v84, v89
	;; [unrolled: 1-line block ×5, first 2 shown]
	ds_write2_b32 v13, v73, v71 offset1:1
	ds_write2_b32 v14, v72, v74 offset1:1
	;; [unrolled: 1-line block ×5, first 2 shown]
	ds_write_b32 v67, v22
	ds_write_b32 v68, v21
	;; [unrolled: 1-line block ×4, first 2 shown]
	s_cbranch_scc0 .LBB204_4
; %bb.6:                                ;   in Loop: Header=BB204_5 Depth=1
	v_add_nc_u32_e32 v21, s10, v40
	v_cmp_gt_i32_e64 s1, s12, v21
	s_and_b32 s3, s0, s1
	s_and_saveexec_b32 s1, s3
	s_cbranch_execz .LBB204_8
; %bb.7:                                ;   in Loop: Header=BB204_5 Depth=1
	v_add_nc_u32_e32 v21, v56, v21
	v_mad_i64_i32 v[21:22], null, v21, 36, v[19:20]
	global_load_dword v21, v[21:22], off offset:4
	s_waitcnt vmcnt(0)
	ds_write_b32 v52, v21
.LBB204_8:                              ;   in Loop: Header=BB204_5 Depth=1
	s_or_b32 exec_lo, exec_lo, s1
	v_add_nc_u32_e32 v21, s10, v0
	v_cmp_gt_i32_e64 s1, s12, v21
	s_and_b32 s3, s18, s1
	s_and_saveexec_b32 s1, s3
	s_cbranch_execz .LBB204_10
; %bb.9:                                ;   in Loop: Header=BB204_5 Depth=1
	v_add_nc_u32_e32 v22, v56, v21
	v_mad_i64_i32 v[71:72], null, v22, 36, s[6:7]
	global_load_dword v22, v[71:72], off
	s_waitcnt vmcnt(0)
	ds_write_b32 v53, v22
.LBB204_10:                             ;   in Loop: Header=BB204_5 Depth=1
	s_or_b32 exec_lo, exec_lo, s1
	v_mov_b32_e32 v22, v51
	v_mov_b32_e32 v71, v54
	;; [unrolled: 1-line block ×7, first 2 shown]
	s_mov_b32 s1, -4
	s_waitcnt lgkmcnt(0)
	s_barrier
	buffer_gl0_inv
.LBB204_11:                             ;   Parent Loop BB204_5 Depth=1
                                        ; =>  This Inner Loop Header: Depth=2
	v_add_nc_u32_e32 v93, 0x2080, v71
	v_add_nc_u32_e32 v95, 0x4100, v71
	;; [unrolled: 1-line block ×3, first 2 shown]
	ds_read_b128 v[77:80], v22
	ds_read_b128 v[81:84], v22 offset:16
	ds_read2_b32 v[85:86], v71 offset1:1
	ds_read2_b32 v[87:88], v71 offset0:2 offset1:3
	ds_read2_b32 v[89:90], v71 offset0:4 offset1:5
	;; [unrolled: 1-line block ×3, first 2 shown]
	ds_read_b32 v119, v72
	ds_read_b32 v120, v73
	;; [unrolled: 1-line block ×4, first 2 shown]
	ds_read2_b32 v[93:94], v93 offset1:1
	ds_read2_b32 v[95:96], v95 offset1:1
	;; [unrolled: 1-line block ×3, first 2 shown]
	ds_read_b32 v124, v76
	v_add_nc_u32_e32 v99, 0x2088, v71
	v_add_nc_u32_e32 v101, 0x4108, v71
	;; [unrolled: 1-line block ×4, first 2 shown]
	v_mov_b32_e32 v117, 0
	v_mov_b32_e32 v118, 0
	v_add_nc_u32_e32 v107, 0x2098, v71
	v_mov_b32_e32 v123, 0
	v_add_nc_u32_e32 v109, 0x4110, v71
	v_add_nc_u32_e32 v111, 0x4118, v71
	v_mov_b32_e32 v125, 0
	v_add_nc_u32_e32 v113, 0x6190, v71
	v_add_nc_u32_e32 v115, 0x6198, v71
	ds_read2_b32 v[99:100], v99 offset1:1
	ds_read2_b32 v[101:102], v101 offset1:1
	;; [unrolled: 1-line block ×9, first 2 shown]
	v_add_nc_u32_e32 v76, 4, v76
	s_waitcnt lgkmcnt(20)
	v_dot4c_i32_i8 v117, v85, v77
	s_waitcnt lgkmcnt(12)
	v_dot4c_i32_i8 v118, v93, v77
	;; [unrolled: 2-line block ×4, first 2 shown]
	v_pk_mul_f16 v77, v119, v120
	v_dot4c_i32_i8 v117, v86, v81
	v_dot4c_i32_i8 v118, v94, v81
	;; [unrolled: 1-line block ×4, first 2 shown]
	v_add_nc_u32_e32 v75, 4, v75
	v_dot4c_i32_i8 v117, v87, v78
	s_waitcnt lgkmcnt(8)
	v_dot4c_i32_i8 v118, v99, v78
	s_waitcnt lgkmcnt(7)
	;; [unrolled: 2-line block ×3, first 2 shown]
	v_dot4c_i32_i8 v125, v103, v78
	v_pk_mul_f16 v78, v119, v121
	v_dot4c_i32_i8 v117, v88, v82
	v_dot4c_i32_i8 v118, v100, v82
	;; [unrolled: 1-line block ×4, first 2 shown]
	v_add_nc_u32_e32 v74, 4, v74
	v_dot4c_i32_i8 v117, v89, v79
	s_waitcnt lgkmcnt(5)
	v_dot4c_i32_i8 v118, v105, v79
	s_waitcnt lgkmcnt(3)
	;; [unrolled: 2-line block ×3, first 2 shown]
	v_dot4c_i32_i8 v125, v113, v79
	v_pk_mul_f16 v79, v119, v122
	v_dot4c_i32_i8 v117, v90, v83
	v_dot4c_i32_i8 v118, v106, v83
	;; [unrolled: 1-line block ×4, first 2 shown]
	v_add_nc_u32_e32 v73, 4, v73
	v_dot4c_i32_i8 v117, v91, v80
	v_dot4c_i32_i8 v118, v107, v80
	v_dot4c_i32_i8 v123, v111, v80
	s_waitcnt lgkmcnt(0)
	v_dot4c_i32_i8 v125, v115, v80
	v_pk_mul_f16 v80, v119, v124
	v_dot4c_i32_i8 v117, v92, v84
	v_dot4c_i32_i8 v118, v108, v84
	;; [unrolled: 1-line block ×4, first 2 shown]
	v_add_nc_u32_e32 v72, 4, v72
	v_cvt_f32_i32_e32 v81, v117
	v_cvt_f32_i32_e32 v82, v118
	;; [unrolled: 1-line block ×4, first 2 shown]
	v_add_nc_u32_e32 v71, 32, v71
	v_fma_mix_f32 v77, v77, v81, v77 op_sel:[0,0,1] op_sel_hi:[1,0,1]
	v_fma_mix_f32 v78, v78, v82, v78 op_sel:[0,0,1] op_sel_hi:[1,0,1]
	;; [unrolled: 1-line block ×4, first 2 shown]
	v_add_nc_u32_e32 v22, 32, v22
	v_add_f32_e32 v24, v24, v77
	v_add_f32_e32 v50, v50, v78
	;; [unrolled: 1-line block ×4, first 2 shown]
	s_add_i32 s1, s1, 4
	s_cmp_lt_u32 s1, 12
	s_cbranch_scc1 .LBB204_11
; %bb.12:                               ;   in Loop: Header=BB204_5 Depth=1
	s_bitset1_b32 s2, 7
	s_cmp_ge_i32 s2, s9
	s_barrier
	buffer_gl0_inv
	s_cbranch_scc1 .LBB204_4
; %bb.13:                               ;   in Loop: Header=BB204_5 Depth=1
	v_add_nc_u32_e32 v22, s10, v55
	v_cmp_gt_i32_e64 s1, s12, v22
	s_and_b32 s2, s0, s1
	s_and_saveexec_b32 s1, s2
	s_cbranch_execz .LBB204_15
; %bb.14:                               ;   in Loop: Header=BB204_5 Depth=1
	v_add_nc_u32_e32 v22, v56, v22
	v_mad_i64_i32 v[71:72], null, v22, 36, v[19:20]
	global_load_dword v22, v[71:72], off offset:4
	s_waitcnt vmcnt(0)
	ds_write_b32 v52, v22
.LBB204_15:                             ;   in Loop: Header=BB204_5 Depth=1
	s_or_b32 exec_lo, exec_lo, s1
	s_and_saveexec_b32 s2, vcc_lo
	s_cbranch_execz .LBB204_18
; %bb.16:                               ;   in Loop: Header=BB204_5 Depth=1
	v_or_b32_e32 v22, 4, v21
	v_cmp_gt_i32_e64 s1, s12, v22
	s_and_b32 s1, s0, s1
	s_and_b32 exec_lo, exec_lo, s1
	s_cbranch_execz .LBB204_18
; %bb.17:                               ;   in Loop: Header=BB204_5 Depth=1
	v_ashrrev_i32_e32 v22, 31, v21
	v_add_co_u32 v21, s1, v56, v21
	v_add_co_ci_u32_e64 v71, null, v57, v22, s1
	v_mad_u64_u32 v[21:22], null, v21, 36, s[6:7]
	v_mad_i32_i24 v22, v71, 36, v22
	global_load_dword v21, v[21:22], off offset:144
	s_waitcnt vmcnt(0)
	ds_write_b32 v53, v21
.LBB204_18:                             ;   in Loop: Header=BB204_5 Depth=1
	s_or_b32 exec_lo, exec_lo, s2
	v_mov_b32_e32 v21, v1
	v_mov_b32_e32 v22, v51
	;; [unrolled: 1-line block ×7, first 2 shown]
	s_mov_b32 s1, 12
	s_waitcnt lgkmcnt(0)
	s_barrier
	buffer_gl0_inv
.LBB204_19:                             ;   Parent Loop BB204_5 Depth=1
                                        ; =>  This Inner Loop Header: Depth=2
	v_add_nc_u32_e32 v92, 0x2080, v71
	v_add_nc_u32_e32 v94, 0x4100, v71
	;; [unrolled: 1-line block ×3, first 2 shown]
	ds_read_b128 v[76:79], v22
	ds_read_b32 v116, v21
	ds_read_b128 v[80:83], v22 offset:16
	ds_read2_b32 v[84:85], v71 offset1:1
	ds_read_b32 v118, v72
	ds_read2_b32 v[86:87], v71 offset0:2 offset1:3
	ds_read2_b32 v[88:89], v71 offset0:4 offset1:5
	;; [unrolled: 1-line block ×3, first 2 shown]
	ds_read_b32 v120, v73
	ds_read_b32 v121, v74
	ds_read2_b32 v[92:93], v92 offset1:1
	ds_read2_b32 v[94:95], v94 offset1:1
	;; [unrolled: 1-line block ×3, first 2 shown]
	ds_read_b32 v123, v75
	v_add_nc_u32_e32 v98, 0x2088, v71
	v_add_nc_u32_e32 v100, 0x4108, v71
	;; [unrolled: 1-line block ×4, first 2 shown]
	v_mov_b32_e32 v117, 0
	v_mov_b32_e32 v119, 0
	v_add_nc_u32_e32 v106, 0x2098, v71
	v_mov_b32_e32 v122, 0
	v_add_nc_u32_e32 v108, 0x4110, v71
	v_add_nc_u32_e32 v110, 0x4118, v71
	v_mov_b32_e32 v124, 0
	v_add_nc_u32_e32 v112, 0x6190, v71
	v_add_nc_u32_e32 v114, 0x6198, v71
	ds_read2_b32 v[98:99], v98 offset1:1
	ds_read2_b32 v[100:101], v100 offset1:1
	;; [unrolled: 1-line block ×9, first 2 shown]
	v_add_nc_u32_e32 v75, 4, v75
	v_add_nc_u32_e32 v74, 4, v74
	s_waitcnt lgkmcnt(19)
	v_dot4c_i32_i8 v117, v84, v76
	s_waitcnt lgkmcnt(12)
	v_dot4c_i32_i8 v119, v92, v76
	;; [unrolled: 2-line block ×4, first 2 shown]
	v_pk_mul_f16 v76, v116, v118
	v_dot4c_i32_i8 v117, v85, v80
	v_dot4c_i32_i8 v119, v93, v80
	v_dot4c_i32_i8 v122, v95, v80
	v_dot4c_i32_i8 v124, v97, v80
	v_add_nc_u32_e32 v73, 4, v73
	v_dot4c_i32_i8 v117, v86, v77
	s_waitcnt lgkmcnt(8)
	v_dot4c_i32_i8 v119, v98, v77
	s_waitcnt lgkmcnt(7)
	;; [unrolled: 2-line block ×3, first 2 shown]
	v_dot4c_i32_i8 v124, v102, v77
	v_pk_mul_f16 v77, v116, v120
	v_dot4c_i32_i8 v117, v87, v81
	v_dot4c_i32_i8 v119, v99, v81
	;; [unrolled: 1-line block ×4, first 2 shown]
	v_add_nc_u32_e32 v72, 4, v72
	v_dot4c_i32_i8 v117, v88, v78
	s_waitcnt lgkmcnt(5)
	v_dot4c_i32_i8 v119, v104, v78
	s_waitcnt lgkmcnt(3)
	;; [unrolled: 2-line block ×3, first 2 shown]
	v_dot4c_i32_i8 v124, v112, v78
	v_pk_mul_f16 v78, v116, v121
	v_dot4c_i32_i8 v117, v89, v82
	v_dot4c_i32_i8 v119, v105, v82
	;; [unrolled: 1-line block ×4, first 2 shown]
	v_add_nc_u32_e32 v71, 32, v71
	v_dot4c_i32_i8 v117, v90, v79
	v_dot4c_i32_i8 v119, v106, v79
	;; [unrolled: 1-line block ×3, first 2 shown]
	s_waitcnt lgkmcnt(0)
	v_dot4c_i32_i8 v124, v114, v79
	v_pk_mul_f16 v79, v116, v123
	v_dot4c_i32_i8 v117, v91, v83
	v_dot4c_i32_i8 v119, v107, v83
	;; [unrolled: 1-line block ×4, first 2 shown]
	v_add_nc_u32_e32 v22, 32, v22
	v_cvt_f32_i32_e32 v80, v117
	v_cvt_f32_i32_e32 v81, v119
	;; [unrolled: 1-line block ×4, first 2 shown]
	v_add_nc_u32_e32 v21, 4, v21
	v_fma_mix_f32 v76, v76, v80, v76 op_sel:[0,0,1] op_sel_hi:[1,0,1]
	v_fma_mix_f32 v77, v77, v81, v77 op_sel:[0,0,1] op_sel_hi:[1,0,1]
	;; [unrolled: 1-line block ×4, first 2 shown]
	s_add_i32 s1, s1, 4
	v_add_f32_e32 v24, v24, v76
	v_add_f32_e32 v50, v50, v77
	;; [unrolled: 1-line block ×4, first 2 shown]
	s_cmp_lt_u32 s1, 28
	s_cbranch_scc1 .LBB204_19
; %bb.20:                               ;   in Loop: Header=BB204_5 Depth=1
	s_barrier
	buffer_gl0_inv
	s_branch .LBB204_4
.LBB204_21:
	s_mul_i32 s0, s14, s11
	s_waitcnt vmcnt(0)
	v_cmp_gt_i32_e32 vcc_lo, s0, v23
	s_and_saveexec_b32 s0, vcc_lo
	s_cbranch_execz .LBB204_30
; %bb.22:
	v_add_nc_u32_e32 v1, s15, v0
	v_mul_lo_u32 v0, v23, s13
	s_mov_b32 s0, exec_lo
	v_cmpx_gt_u32_e64 s13, v1
	s_cbranch_execz .LBB204_24
; %bb.23:
	v_add_nc_u32_e32 v2, v0, v1
	v_mov_b32_e32 v3, 0
	v_cvt_f16_f32_e32 v4, v24
	v_lshlrev_b64 v[2:3], 1, v[2:3]
	v_add_co_u32 v2, vcc_lo, s16, v2
	v_add_co_ci_u32_e64 v3, null, s17, v3, vcc_lo
	global_store_short v[2:3], v4, off
.LBB204_24:
	s_or_b32 exec_lo, exec_lo, s0
	v_add_nc_u32_e32 v2, 32, v1
	s_mov_b32 s0, exec_lo
	v_cmpx_gt_u32_e64 s13, v2
	s_cbranch_execz .LBB204_26
; %bb.25:
	v_add_nc_u32_e32 v2, v0, v2
	v_mov_b32_e32 v3, 0
	v_cvt_f16_f32_e32 v4, v50
	v_lshlrev_b64 v[2:3], 1, v[2:3]
	v_add_co_u32 v2, vcc_lo, s16, v2
	v_add_co_ci_u32_e64 v3, null, s17, v3, vcc_lo
	global_store_short v[2:3], v4, off
.LBB204_26:
	s_or_b32 exec_lo, exec_lo, s0
	v_add_nc_u32_e32 v2, 64, v1
	s_mov_b32 s0, exec_lo
	v_cmpx_gt_u32_e64 s13, v2
	s_cbranch_execz .LBB204_28
; %bb.27:
	v_add_nc_u32_e32 v2, v0, v2
	v_mov_b32_e32 v3, 0
	v_cvt_f16_f32_e32 v4, v46
	v_lshlrev_b64 v[2:3], 1, v[2:3]
	v_add_co_u32 v2, vcc_lo, s16, v2
	v_add_co_ci_u32_e64 v3, null, s17, v3, vcc_lo
	global_store_short v[2:3], v4, off
.LBB204_28:
	s_or_b32 exec_lo, exec_lo, s0
	v_add_nc_u32_e32 v1, 0x60, v1
	v_cmp_gt_u32_e32 vcc_lo, s13, v1
	s_and_b32 exec_lo, exec_lo, vcc_lo
	s_cbranch_execz .LBB204_30
; %bb.29:
	v_add_nc_u32_e32 v0, v0, v1
	v_mov_b32_e32 v1, 0
	v_cvt_f16_f32_e32 v2, v16
	v_lshlrev_b64 v[0:1], 1, v[0:1]
	v_add_co_u32 v0, vcc_lo, s16, v0
	v_add_co_ci_u32_e64 v1, null, s17, v1, vcc_lo
	global_store_short v[0:1], v2, off
.LBB204_30:
	s_endpgm
	.section	.rodata,"a",@progbits
	.p2align	6, 0x0
	.amdhsa_kernel _ZL8moe_q5_1IN3c104HalfELb1EEvPKvS3_PT_PKiS7_S7_iiiiiii
		.amdhsa_group_segment_fixed_size 38656
		.amdhsa_private_segment_fixed_size 0
		.amdhsa_kernarg_size 76
		.amdhsa_user_sgpr_count 6
		.amdhsa_user_sgpr_private_segment_buffer 1
		.amdhsa_user_sgpr_dispatch_ptr 0
		.amdhsa_user_sgpr_queue_ptr 0
		.amdhsa_user_sgpr_kernarg_segment_ptr 1
		.amdhsa_user_sgpr_dispatch_id 0
		.amdhsa_user_sgpr_flat_scratch_init 0
		.amdhsa_user_sgpr_private_segment_size 0
		.amdhsa_wavefront_size32 1
		.amdhsa_uses_dynamic_stack 0
		.amdhsa_system_sgpr_private_segment_wavefront_offset 0
		.amdhsa_system_sgpr_workgroup_id_x 1
		.amdhsa_system_sgpr_workgroup_id_y 1
		.amdhsa_system_sgpr_workgroup_id_z 0
		.amdhsa_system_sgpr_workgroup_info 0
		.amdhsa_system_vgpr_workitem_id 1
		.amdhsa_next_free_vgpr 159
		.amdhsa_next_free_sgpr 19
		.amdhsa_reserve_vcc 1
		.amdhsa_reserve_flat_scratch 0
		.amdhsa_float_round_mode_32 0
		.amdhsa_float_round_mode_16_64 0
		.amdhsa_float_denorm_mode_32 3
		.amdhsa_float_denorm_mode_16_64 3
		.amdhsa_dx10_clamp 1
		.amdhsa_ieee_mode 1
		.amdhsa_fp16_overflow 0
		.amdhsa_workgroup_processor_mode 1
		.amdhsa_memory_ordered 1
		.amdhsa_forward_progress 1
		.amdhsa_shared_vgpr_count 0
		.amdhsa_exception_fp_ieee_invalid_op 0
		.amdhsa_exception_fp_denorm_src 0
		.amdhsa_exception_fp_ieee_div_zero 0
		.amdhsa_exception_fp_ieee_overflow 0
		.amdhsa_exception_fp_ieee_underflow 0
		.amdhsa_exception_fp_ieee_inexact 0
		.amdhsa_exception_int_div_zero 0
	.end_amdhsa_kernel
	.section	.text._ZL8moe_q5_1IN3c104HalfELb1EEvPKvS3_PT_PKiS7_S7_iiiiiii,"axG",@progbits,_ZL8moe_q5_1IN3c104HalfELb1EEvPKvS3_PT_PKiS7_S7_iiiiiii,comdat
.Lfunc_end204:
	.size	_ZL8moe_q5_1IN3c104HalfELb1EEvPKvS3_PT_PKiS7_S7_iiiiiii, .Lfunc_end204-_ZL8moe_q5_1IN3c104HalfELb1EEvPKvS3_PT_PKiS7_S7_iiiiiii
                                        ; -- End function
	.set _ZL8moe_q5_1IN3c104HalfELb1EEvPKvS3_PT_PKiS7_S7_iiiiiii.num_vgpr, 159
	.set _ZL8moe_q5_1IN3c104HalfELb1EEvPKvS3_PT_PKiS7_S7_iiiiiii.num_agpr, 0
	.set _ZL8moe_q5_1IN3c104HalfELb1EEvPKvS3_PT_PKiS7_S7_iiiiiii.numbered_sgpr, 19
	.set _ZL8moe_q5_1IN3c104HalfELb1EEvPKvS3_PT_PKiS7_S7_iiiiiii.num_named_barrier, 0
	.set _ZL8moe_q5_1IN3c104HalfELb1EEvPKvS3_PT_PKiS7_S7_iiiiiii.private_seg_size, 0
	.set _ZL8moe_q5_1IN3c104HalfELb1EEvPKvS3_PT_PKiS7_S7_iiiiiii.uses_vcc, 1
	.set _ZL8moe_q5_1IN3c104HalfELb1EEvPKvS3_PT_PKiS7_S7_iiiiiii.uses_flat_scratch, 0
	.set _ZL8moe_q5_1IN3c104HalfELb1EEvPKvS3_PT_PKiS7_S7_iiiiiii.has_dyn_sized_stack, 0
	.set _ZL8moe_q5_1IN3c104HalfELb1EEvPKvS3_PT_PKiS7_S7_iiiiiii.has_recursion, 0
	.set _ZL8moe_q5_1IN3c104HalfELb1EEvPKvS3_PT_PKiS7_S7_iiiiiii.has_indirect_call, 0
	.section	.AMDGPU.csdata,"",@progbits
; Kernel info:
; codeLenInByte = 6644
; TotalNumSgprs: 21
; NumVgprs: 159
; ScratchSize: 0
; MemoryBound: 0
; FloatMode: 240
; IeeeMode: 1
; LDSByteSize: 38656 bytes/workgroup (compile time only)
; SGPRBlocks: 0
; VGPRBlocks: 19
; NumSGPRsForWavesPerEU: 21
; NumVGPRsForWavesPerEU: 159
; Occupancy: 6
; WaveLimiterHint : 1
; COMPUTE_PGM_RSRC2:SCRATCH_EN: 0
; COMPUTE_PGM_RSRC2:USER_SGPR: 6
; COMPUTE_PGM_RSRC2:TRAP_HANDLER: 0
; COMPUTE_PGM_RSRC2:TGID_X_EN: 1
; COMPUTE_PGM_RSRC2:TGID_Y_EN: 1
; COMPUTE_PGM_RSRC2:TGID_Z_EN: 0
; COMPUTE_PGM_RSRC2:TIDIG_COMP_CNT: 1
	.section	.text._ZL8moe_q8_0IN3c104HalfELb0EEvPKvS3_PT_PKiS7_S7_iiiiiii,"axG",@progbits,_ZL8moe_q8_0IN3c104HalfELb0EEvPKvS3_PT_PKiS7_S7_iiiiiii,comdat
	.globl	_ZL8moe_q8_0IN3c104HalfELb0EEvPKvS3_PT_PKiS7_S7_iiiiiii ; -- Begin function _ZL8moe_q8_0IN3c104HalfELb0EEvPKvS3_PT_PKiS7_S7_iiiiiii
	.p2align	8
	.type	_ZL8moe_q8_0IN3c104HalfELb0EEvPKvS3_PT_PKiS7_S7_iiiiiii,@function
_ZL8moe_q8_0IN3c104HalfELb0EEvPKvS3_PT_PKiS7_S7_iiiiiii: ; @_ZL8moe_q8_0IN3c104HalfELb0EEvPKvS3_PT_PKiS7_S7_iiiiiii
; %bb.0:
	s_load_dwordx4 s[0:3], s[4:5], 0x18
	s_mov_b32 s8, s7
	s_mov_b32 s9, 0
	s_lshl_b64 s[10:11], s[8:9], 2
	s_waitcnt lgkmcnt(0)
	s_add_u32 s2, s2, s10
	s_addc_u32 s3, s3, s11
	s_load_dword s7, s[2:3], 0x0
	s_waitcnt lgkmcnt(0)
	s_cmpk_gt_u32 s7, 0xff
	s_cbranch_scc1 .LBB205_22
; %bb.1:
	s_load_dwordx2 s[2:3], s[4:5], 0x28
	s_waitcnt lgkmcnt(0)
	s_load_dword s3, s[2:3], 0x0
	s_lshl_b32 s2, s8, 3
	s_waitcnt lgkmcnt(0)
	s_cmp_gt_u32 s2, s3
	s_cbranch_scc1 .LBB205_22
; %bb.2:
	v_add_nc_u32_e32 v2, s2, v1
	v_mov_b32_e32 v3, 0
	s_lshl_b32 s6, s6, 7
	v_lshlrev_b64 v[4:5], 2, v[2:3]
	v_mov_b32_e32 v14, v3
	v_mov_b32_e32 v19, v3
	v_add_co_u32 v4, vcc_lo, s0, v4
	v_add_co_ci_u32_e64 v5, null, s1, v5, vcc_lo
	global_load_dword v4, v[4:5], off
	s_clause 0x2
	s_load_dwordx2 s[14:15], s[4:5], 0x30
	s_load_dwordx2 s[12:13], s[4:5], 0x10
	s_load_dwordx4 s[8:11], s[4:5], 0x3c
	v_mov_b32_e32 v5, v3
	s_waitcnt lgkmcnt(0)
	s_cmp_lt_i32 s15, 32
	s_cbranch_scc1 .LBB205_13
; %bb.3:
	s_load_dwordx4 s[0:3], s[4:5], 0x0
	s_ashr_i32 s4, s15, 31
	s_ashr_i32 s5, s9, 31
	s_lshr_b32 s4, s4, 27
	s_lshr_b32 s5, s5, 27
	s_add_i32 s4, s15, s4
	s_mul_i32 s14, s7, s14
	s_ashr_i32 s7, s4, 5
	s_add_i32 s4, s9, s5
	s_mul_i32 s5, s7, s6
	s_ashr_i32 s16, s14, 31
	s_ashr_i32 s9, s4, 5
	s_mul_hi_i32 s4, s5, 34
	s_mul_i32 s5, s5, 34
	v_mul_lo_u32 v9, s7, v1
	v_lshlrev_b32_e32 v3, 2, v0
	v_lshlrev_b32_e32 v14, 3, v1
	v_lshrrev_b32_e32 v15, 2, v0
	s_waitcnt vmcnt(0)
	v_sub_nc_u32_e32 v22, 0, v4
	v_lshl_add_u32 v8, v1, 7, 0x4a40
	s_waitcnt lgkmcnt(0)
	s_add_u32 s0, s0, s14
	s_addc_u32 s14, s1, s16
	s_add_u32 s1, s0, s5
	s_addc_u32 s14, s14, s4
	s_abs_i32 s4, s11
	s_lshl_b32 s5, s7, 3
	v_cvt_f32_u32_e32 v2, s4
	s_sub_i32 s16, 0, s4
	v_add_nc_u32_e32 v10, s5, v9
	v_lshlrev_b32_e32 v19, 4, v1
	v_xor_b32_e32 v17, s11, v4
	v_rcp_iflag_f32_e32 v2, v2
	v_mad_u32_u24 v13, 0x84, v1, v3
	v_add_nc_u32_e32 v12, s5, v10
	v_add_nc_u32_e32 v1, v15, v14
	v_add_nc_u16 v14, v15, v14
	v_max_i32_e32 v37, v4, v22
	v_add_nc_u32_e32 v18, 32, v0
	v_add_nc_u32_e32 v15, s5, v12
	v_ashrrev_i32_e32 v44, 31, v17
	v_add_nc_u32_e32 v21, 0x60, v0
	v_mul_f32_e32 v2, 0x4f7ffffe, v2
	v_lshrrev_b32_e32 v43, 1, v18
	v_add_nc_u32_e32 v17, s5, v15
	v_add_nc_u32_e32 v20, 64, v0
	v_lshrrev_b32_e32 v41, 1, v21
	v_cvt_u32_f32_e32 v2, v2
	v_lshlrev_b32_e32 v52, 4, v1
	v_add_nc_u32_e32 v18, s5, v17
	v_and_b32_e32 v7, 3, v0
	v_lshrrev_b32_e32 v42, 1, v20
	v_mul_lo_u32 v23, s16, v2
	v_lshrrev_b16 v14, 1, v14
	v_add_nc_u32_e32 v22, s5, v18
	v_and_b32_e32 v48, 0xfc, v41
	v_and_b32_e32 v53, 0xfc, v43
	v_lshrrev_b32_e32 v6, 3, v0
	v_lshlrev_b32_e32 v45, 2, v7
	v_add_nc_u32_e32 v27, s5, v22
	v_mul_hi_u32 v23, v2, v23
	v_and_b32_e32 v49, 0xfc, v42
	v_and_b32_e32 v14, 0x7fc, v14
	;; [unrolled: 1-line block ×3, first 2 shown]
	v_add_nc_u32_e32 v31, s5, v27
	v_and_b32_e32 v16, 31, v0
	v_lshlrev_b32_e32 v50, 4, v0
	v_add_nc_u32_e32 v3, 0x4e40, v3
	v_add_nc_u32_e32 v2, v2, v23
	;; [unrolled: 1-line block ×3, first 2 shown]
	v_lshlrev_b32_e32 v51, 2, v6
	v_add3_u32 v14, v14, v45, 0x4200
	v_cmp_gt_u32_e64 s0, 4, v0
	v_mul_hi_u32 v2, v37, v2
	v_add_nc_u32_e32 v39, s5, v36
	v_mov_b32_e32 v5, 0
	v_lshl_add_u32 v16, v16, 2, v8
	v_add_nc_u32_e32 v20, 0x840, v13
	v_add_nc_u32_e32 v21, 0xc60, v13
	;; [unrolled: 1-line block ×4, first 2 shown]
	v_mul_lo_u32 v38, v2, s4
	v_add_nc_u32_e32 v40, 1, v2
	v_add_nc_u32_e32 v25, 0x18c0, v13
	;; [unrolled: 1-line block ×7, first 2 shown]
	v_sub_nc_u32_e32 v46, v37, v38
	v_mul_lo_u32 v38, s7, v1
	v_add_nc_u32_e32 v1, 64, v1
	v_add_nc_u32_e32 v33, 0x3180, v13
	;; [unrolled: 1-line block ×3, first 2 shown]
	v_subrev_nc_u32_e32 v47, s4, v46
	v_cmp_le_u32_e32 vcc_lo, s4, v46
	v_lshrrev_b32_e32 v43, 1, v1
	v_lshlrev_b32_e32 v54, 4, v1
	v_add_nc_u32_e32 v35, 0x39c0, v13
	v_add_nc_u32_e32 v37, 0x3de0, v13
	v_cndmask_b32_e32 v2, v2, v40, vcc_lo
	v_cndmask_b32_e32 v46, v46, v47, vcc_lo
	v_add_nc_u32_e32 v40, s5, v39
	v_and_b32_e32 v1, 0xffc, v43
	v_add_nc_u32_e32 v52, v14, v52
	v_add_nc_u32_e32 v47, 1, v2
	v_cmp_le_u32_e32 vcc_lo, s4, v46
	v_add_nc_u32_e32 v41, s5, v40
	v_add3_u32 v55, v1, v45, 0x4200
	v_add_co_u32 v1, s4, s2, v11
	v_cndmask_b32_e32 v2, v2, v47, vcc_lo
	v_add_nc_u32_e32 v42, s5, v41
	v_add3_u32 v47, v50, v48, 0x4800
	v_add3_u32 v48, v50, v49, 0x4600
	;; [unrolled: 1-line block ×3, first 2 shown]
	v_xor_b32_e32 v2, v2, v44
	v_add_nc_u32_e32 v43, s5, v42
	v_add3_u32 v50, v50, v51, 0x4200
	v_add_nc_u32_e32 v51, 0x4e40, v19
	v_add_nc_u32_e32 v53, v55, v54
	v_sub_nc_u32_e32 v2, v2, v44
	v_lshl_add_u32 v44, s7, 6, v38
	v_add_nc_u32_e32 v45, s5, v43
	v_add_nc_u32_e32 v54, v3, v19
	v_mov_b32_e32 v19, 0
	v_mul_lo_u32 v46, v2, s9
	v_cmp_gt_i32_e32 vcc_lo, s8, v2
	v_add_co_ci_u32_e64 v2, null, s3, 0, s4
	v_mov_b32_e32 v14, 0
	v_mov_b32_e32 v3, 0
	s_mov_b32 s16, 0
	s_and_b32 s17, s0, vcc_lo
	s_branch .LBB205_5
.LBB205_4:                              ;   in Loop: Header=BB205_5 Depth=1
	s_add_i32 s16, s16, 4
	s_cmp_ge_i32 s16, s7
	s_cbranch_scc1 .LBB205_13
.LBB205_5:                              ; =>This Loop Header: Depth=1
                                        ;     Child Loop BB205_11 Depth 2
	s_mul_i32 s0, s16, 34
	s_mul_hi_u32 s5, s16, 34
	s_add_u32 s4, s1, s0
	s_addc_u32 s5, s14, s5
	v_mad_u64_u32 v[55:56], null, v6, 34, s[4:5]
	v_mad_u64_u32 v[57:58], null, v9, 34, v[55:56]
	v_mad_u64_u32 v[59:60], null, v10, 34, v[55:56]
	v_mad_u64_u32 v[61:62], null, v12, 34, v[55:56]
	v_mad_u64_u32 v[63:64], null, v15, 34, v[55:56]
	v_add_co_u32 v57, s0, v57, v11
	v_mad_u64_u32 v[65:66], null, v17, 34, v[55:56]
	v_add_co_ci_u32_e64 v58, null, 0, v58, s0
	v_add_co_u32 v59, s0, v59, v11
	v_mad_u64_u32 v[67:68], null, v18, 34, v[55:56]
	v_add_co_ci_u32_e64 v60, null, 0, v60, s0
	v_add_co_u32 v61, s0, v61, v11
	v_mad_u64_u32 v[69:70], null, v22, 34, v[55:56]
	v_add_co_ci_u32_e64 v62, null, 0, v62, s0
	v_add_co_u32 v63, s0, v63, v11
	v_mad_u64_u32 v[71:72], null, v27, 34, v[55:56]
	v_add_co_ci_u32_e64 v64, null, 0, v64, s0
	v_add_co_u32 v65, s0, v65, v11
	v_add_co_ci_u32_e64 v66, null, 0, v66, s0
	v_add_co_u32 v67, s0, v67, v11
	v_add_co_ci_u32_e64 v68, null, 0, v68, s0
	;; [unrolled: 2-line block ×3, first 2 shown]
	v_add_co_u32 v71, s0, v71, v11
	v_mad_u64_u32 v[73:74], null, v31, 34, v[55:56]
	v_add_co_ci_u32_e64 v72, null, 0, v72, s0
	s_clause 0x7
	global_load_dword v75, v[57:58], off offset:2
	global_load_dword v76, v[59:60], off offset:2
	;; [unrolled: 1-line block ×8, first 2 shown]
	v_mad_u64_u32 v[57:58], null, v36, 34, v[55:56]
	v_mad_u64_u32 v[61:62], null, v39, 34, v[55:56]
	;; [unrolled: 1-line block ×4, first 2 shown]
	v_add_co_u32 v59, s0, v73, v11
	v_mad_u64_u32 v[65:66], null, v41, 34, v[55:56]
	v_add_co_ci_u32_e64 v60, null, 0, v74, s0
	v_add_co_u32 v57, s0, v57, v11
	v_mad_u64_u32 v[69:70], null, v42, 34, v[55:56]
	v_add_co_ci_u32_e64 v58, null, 0, v58, s0
	v_add_co_u32 v61, s0, v61, v11
	v_mad_u64_u32 v[71:72], null, v43, 34, v[55:56]
	v_mad_u64_u32 v[73:74], null, v38, 34, v[67:68]
	;; [unrolled: 1-line block ×3, first 2 shown]
	v_add_co_ci_u32_e64 v62, null, 0, v62, s0
	v_add_co_u32 v63, s0, v63, v11
	v_mad_u64_u32 v[55:56], null, v45, 34, v[55:56]
	v_add_co_ci_u32_e64 v64, null, 0, v64, s0
	v_add_co_u32 v65, s0, v65, v11
	v_add_co_ci_u32_e64 v66, null, 0, v66, s0
	v_add_co_u32 v69, s0, v69, v11
	v_add_co_ci_u32_e64 v70, null, 0, v70, s0
	s_clause 0x1
	global_load_ushort v73, v[73:74], off
	global_load_ushort v74, v[67:68], off
	v_add_co_u32 v67, s0, v71, v11
	v_add_co_ci_u32_e64 v68, null, 0, v72, s0
	v_add_co_u32 v55, s0, v55, v11
	v_add_co_ci_u32_e64 v56, null, 0, v56, s0
	s_clause 0x7
	global_load_dword v59, v[59:60], off offset:2
	global_load_dword v57, v[57:58], off offset:2
	;; [unrolled: 1-line block ×8, first 2 shown]
	s_lshl_b32 s0, s16, 5
	v_add_nc_u32_e32 v56, 0x420, v13
	s_cmp_ge_i32 s0, s15
	s_waitcnt vmcnt(9)
	v_cvt_f32_f16_e32 v64, v73
	s_waitcnt vmcnt(8)
	v_cvt_f32_f16_e32 v65, v74
	ds_write_b32 v13, v75
	ds_write_b32 v56, v76
	;; [unrolled: 1-line block ×8, first 2 shown]
	s_waitcnt vmcnt(7)
	ds_write_b32 v28, v59
	s_waitcnt vmcnt(6)
	ds_write_b32 v29, v57
	;; [unrolled: 2-line block ×8, first 2 shown]
	ds_write_b32 v52, v64
	ds_write_b32 v53, v65
	s_cbranch_scc1 .LBB205_4
; %bb.6:                                ;   in Loop: Header=BB205_5 Depth=1
	v_add_nc_u32_e32 v55, s16, v6
	v_cmp_gt_i32_e64 s0, s9, v55
	s_and_b32 s4, vcc_lo, s0
	s_and_saveexec_b32 s0, s4
	s_cbranch_execz .LBB205_8
; %bb.7:                                ;   in Loop: Header=BB205_5 Depth=1
	v_add_nc_u32_e32 v55, v46, v55
	v_mad_i64_i32 v[55:56], null, v55, 36, v[1:2]
	global_load_dword v55, v[55:56], off offset:4
	s_waitcnt vmcnt(0)
	ds_write_b32 v16, v55
.LBB205_8:                              ;   in Loop: Header=BB205_5 Depth=1
	s_or_b32 exec_lo, exec_lo, s0
	v_or_b32_e32 v55, s16, v0
	v_cmp_gt_i32_e64 s0, s9, v55
	s_and_b32 s4, s17, s0
	s_and_saveexec_b32 s0, s4
	s_cbranch_execz .LBB205_10
; %bb.9:                                ;   in Loop: Header=BB205_5 Depth=1
	v_add_nc_u32_e32 v55, v46, v55
	v_mad_i64_i32 v[55:56], null, v55, 36, s[2:3]
	global_load_dword v55, v[55:56], off
	s_waitcnt vmcnt(0)
	v_cvt_f32_f16_e32 v55, v55
	ds_write_b32 v54, v55
.LBB205_10:                             ;   in Loop: Header=BB205_5 Depth=1
	s_or_b32 exec_lo, exec_lo, s0
	v_mov_b32_e32 v55, v8
	v_mov_b32_e32 v56, v51
	v_mul_u32_u24_e32 v61, 0x84, v0
	v_mov_b32_e32 v57, v50
	v_mov_b32_e32 v58, v49
	;; [unrolled: 1-line block ×4, first 2 shown]
	s_mov_b32 s0, -8
	s_waitcnt lgkmcnt(0)
	s_barrier
	buffer_gl0_inv
.LBB205_11:                             ;   Parent Loop BB205_5 Depth=1
                                        ; =>  This Inner Loop Header: Depth=2
	v_add_nc_u32_e32 v78, 0x1080, v61
	v_add_nc_u32_e32 v80, 0x2100, v61
	;; [unrolled: 1-line block ×3, first 2 shown]
	ds_read_b128 v[62:65], v55
	ds_read_b128 v[66:69], v55 offset:16
	ds_read2_b32 v[70:71], v61 offset0:2 offset1:3
	ds_read2_b32 v[72:73], v61 offset0:4 offset1:5
	;; [unrolled: 1-line block ×3, first 2 shown]
	ds_read_b32 v105, v56
	ds_read_b32 v106, v57
	ds_read2_b32 v[76:77], v61 offset1:1
	ds_read_b32 v107, v58
	ds_read_b32 v108, v59
	;; [unrolled: 1-line block ×3, first 2 shown]
	ds_read2_b32 v[78:79], v78 offset1:1
	ds_read2_b32 v[80:81], v80 offset1:1
	;; [unrolled: 1-line block ×3, first 2 shown]
	v_add_nc_u32_e32 v84, 0x1088, v61
	v_add_nc_u32_e32 v86, 0x2108, v61
	;; [unrolled: 1-line block ×4, first 2 shown]
	v_mov_b32_e32 v102, 0
	v_mov_b32_e32 v103, 0
	v_add_nc_u32_e32 v92, 0x1098, v61
	v_mov_b32_e32 v104, 0
	v_add_nc_u32_e32 v94, 0x2110, v61
	v_add_nc_u32_e32 v96, 0x2118, v61
	v_mov_b32_e32 v110, 0
	v_add_nc_u32_e32 v98, 0x3190, v61
	v_add_nc_u32_e32 v100, 0x3198, v61
	ds_read2_b32 v[84:85], v84 offset1:1
	ds_read2_b32 v[86:87], v86 offset1:1
	;; [unrolled: 1-line block ×9, first 2 shown]
	v_add_nc_u32_e32 v61, 32, v61
	v_add_nc_u32_e32 v60, 4, v60
	s_waitcnt lgkmcnt(15)
	v_dot4c_i32_i8 v102, v76, v62
	s_waitcnt lgkmcnt(11)
	v_dot4c_i32_i8 v103, v78, v62
	;; [unrolled: 2-line block ×4, first 2 shown]
	v_mul_f32_e32 v62, v105, v106
	v_dot4c_i32_i8 v102, v77, v63
	v_dot4c_i32_i8 v103, v79, v63
	;; [unrolled: 1-line block ×4, first 2 shown]
	v_mul_f32_e32 v63, v105, v107
	v_dot4c_i32_i8 v102, v70, v64
	s_waitcnt lgkmcnt(8)
	v_dot4c_i32_i8 v103, v84, v64
	s_waitcnt lgkmcnt(7)
	;; [unrolled: 2-line block ×3, first 2 shown]
	v_dot4c_i32_i8 v110, v88, v64
	v_mul_f32_e32 v64, v105, v108
	v_dot4c_i32_i8 v102, v71, v65
	v_dot4c_i32_i8 v103, v85, v65
	;; [unrolled: 1-line block ×4, first 2 shown]
	v_mul_f32_e32 v65, v105, v109
	v_dot4c_i32_i8 v102, v72, v66
	s_waitcnt lgkmcnt(5)
	v_dot4c_i32_i8 v103, v90, v66
	s_waitcnt lgkmcnt(3)
	;; [unrolled: 2-line block ×3, first 2 shown]
	v_dot4c_i32_i8 v110, v98, v66
	v_add_nc_u32_e32 v59, 4, v59
	v_dot4c_i32_i8 v102, v73, v67
	v_dot4c_i32_i8 v103, v91, v67
	;; [unrolled: 1-line block ×4, first 2 shown]
	v_add_nc_u32_e32 v58, 4, v58
	v_dot4c_i32_i8 v102, v74, v68
	v_dot4c_i32_i8 v103, v92, v68
	;; [unrolled: 1-line block ×3, first 2 shown]
	s_waitcnt lgkmcnt(0)
	v_dot4c_i32_i8 v110, v100, v68
	v_add_nc_u32_e32 v57, 4, v57
	v_dot4c_i32_i8 v102, v75, v69
	v_dot4c_i32_i8 v103, v93, v69
	;; [unrolled: 1-line block ×4, first 2 shown]
	v_add_nc_u32_e32 v56, 4, v56
	v_cvt_f32_i32_e32 v66, v102
	v_cvt_f32_i32_e32 v67, v103
	;; [unrolled: 1-line block ×4, first 2 shown]
	v_add_nc_u32_e32 v55, 32, v55
	v_fmac_f32_e32 v5, v62, v66
	v_fmac_f32_e32 v19, v63, v67
	;; [unrolled: 1-line block ×4, first 2 shown]
	s_add_i32 s0, s0, 8
	s_cmp_lt_u32 s0, 24
	s_cbranch_scc1 .LBB205_11
; %bb.12:                               ;   in Loop: Header=BB205_5 Depth=1
	s_barrier
	buffer_gl0_inv
	s_branch .LBB205_4
.LBB205_13:
	s_mul_i32 s0, s11, s8
	s_waitcnt vmcnt(0)
	v_cmp_gt_i32_e32 vcc_lo, s0, v4
	s_and_saveexec_b32 s0, vcc_lo
	s_cbranch_execz .LBB205_22
; %bb.14:
	v_add_nc_u32_e32 v1, s6, v0
	v_mul_lo_u32 v0, v4, s10
	s_mov_b32 s0, exec_lo
	v_cmpx_gt_u32_e64 s10, v1
	s_cbranch_execz .LBB205_16
; %bb.15:
	v_add_nc_u32_e32 v6, v0, v1
	v_mov_b32_e32 v7, 0
	v_cvt_f16_f32_e32 v2, v5
	v_lshlrev_b64 v[6:7], 1, v[6:7]
	v_add_co_u32 v6, vcc_lo, s12, v6
	v_add_co_ci_u32_e64 v7, null, s13, v7, vcc_lo
	global_store_short v[6:7], v2, off
.LBB205_16:
	s_or_b32 exec_lo, exec_lo, s0
	v_add_nc_u32_e32 v2, 32, v1
	s_mov_b32 s0, exec_lo
	v_cmpx_gt_u32_e64 s10, v2
	s_cbranch_execz .LBB205_18
; %bb.17:
	v_add_nc_u32_e32 v4, v0, v2
	v_mov_b32_e32 v5, 0
	v_cvt_f16_f32_e32 v2, v19
	v_lshlrev_b64 v[4:5], 1, v[4:5]
	v_add_co_u32 v4, vcc_lo, s12, v4
	v_add_co_ci_u32_e64 v5, null, s13, v5, vcc_lo
	global_store_short v[4:5], v2, off
.LBB205_18:
	s_or_b32 exec_lo, exec_lo, s0
	v_add_nc_u32_e32 v2, 64, v1
	;; [unrolled: 14-line block ×3, first 2 shown]
	v_cmp_gt_u32_e32 vcc_lo, s10, v1
	s_and_b32 exec_lo, exec_lo, vcc_lo
	s_cbranch_execz .LBB205_22
; %bb.21:
	v_add_nc_u32_e32 v0, v0, v1
	v_mov_b32_e32 v1, 0
	v_cvt_f16_f32_e32 v2, v3
	v_lshlrev_b64 v[0:1], 1, v[0:1]
	v_add_co_u32 v0, vcc_lo, s12, v0
	v_add_co_ci_u32_e64 v1, null, s13, v1, vcc_lo
	global_store_short v[0:1], v2, off
.LBB205_22:
	s_endpgm
	.section	.rodata,"a",@progbits
	.p2align	6, 0x0
	.amdhsa_kernel _ZL8moe_q8_0IN3c104HalfELb0EEvPKvS3_PT_PKiS7_S7_iiiiiii
		.amdhsa_group_segment_fixed_size 20160
		.amdhsa_private_segment_fixed_size 0
		.amdhsa_kernarg_size 76
		.amdhsa_user_sgpr_count 6
		.amdhsa_user_sgpr_private_segment_buffer 1
		.amdhsa_user_sgpr_dispatch_ptr 0
		.amdhsa_user_sgpr_queue_ptr 0
		.amdhsa_user_sgpr_kernarg_segment_ptr 1
		.amdhsa_user_sgpr_dispatch_id 0
		.amdhsa_user_sgpr_flat_scratch_init 0
		.amdhsa_user_sgpr_private_segment_size 0
		.amdhsa_wavefront_size32 1
		.amdhsa_uses_dynamic_stack 0
		.amdhsa_system_sgpr_private_segment_wavefront_offset 0
		.amdhsa_system_sgpr_workgroup_id_x 1
		.amdhsa_system_sgpr_workgroup_id_y 1
		.amdhsa_system_sgpr_workgroup_id_z 0
		.amdhsa_system_sgpr_workgroup_info 0
		.amdhsa_system_vgpr_workitem_id 1
		.amdhsa_next_free_vgpr 111
		.amdhsa_next_free_sgpr 18
		.amdhsa_reserve_vcc 1
		.amdhsa_reserve_flat_scratch 0
		.amdhsa_float_round_mode_32 0
		.amdhsa_float_round_mode_16_64 0
		.amdhsa_float_denorm_mode_32 3
		.amdhsa_float_denorm_mode_16_64 3
		.amdhsa_dx10_clamp 1
		.amdhsa_ieee_mode 1
		.amdhsa_fp16_overflow 0
		.amdhsa_workgroup_processor_mode 1
		.amdhsa_memory_ordered 1
		.amdhsa_forward_progress 1
		.amdhsa_shared_vgpr_count 0
		.amdhsa_exception_fp_ieee_invalid_op 0
		.amdhsa_exception_fp_denorm_src 0
		.amdhsa_exception_fp_ieee_div_zero 0
		.amdhsa_exception_fp_ieee_overflow 0
		.amdhsa_exception_fp_ieee_underflow 0
		.amdhsa_exception_fp_ieee_inexact 0
		.amdhsa_exception_int_div_zero 0
	.end_amdhsa_kernel
	.section	.text._ZL8moe_q8_0IN3c104HalfELb0EEvPKvS3_PT_PKiS7_S7_iiiiiii,"axG",@progbits,_ZL8moe_q8_0IN3c104HalfELb0EEvPKvS3_PT_PKiS7_S7_iiiiiii,comdat
.Lfunc_end205:
	.size	_ZL8moe_q8_0IN3c104HalfELb0EEvPKvS3_PT_PKiS7_S7_iiiiiii, .Lfunc_end205-_ZL8moe_q8_0IN3c104HalfELb0EEvPKvS3_PT_PKiS7_S7_iiiiiii
                                        ; -- End function
	.set _ZL8moe_q8_0IN3c104HalfELb0EEvPKvS3_PT_PKiS7_S7_iiiiiii.num_vgpr, 111
	.set _ZL8moe_q8_0IN3c104HalfELb0EEvPKvS3_PT_PKiS7_S7_iiiiiii.num_agpr, 0
	.set _ZL8moe_q8_0IN3c104HalfELb0EEvPKvS3_PT_PKiS7_S7_iiiiiii.numbered_sgpr, 18
	.set _ZL8moe_q8_0IN3c104HalfELb0EEvPKvS3_PT_PKiS7_S7_iiiiiii.num_named_barrier, 0
	.set _ZL8moe_q8_0IN3c104HalfELb0EEvPKvS3_PT_PKiS7_S7_iiiiiii.private_seg_size, 0
	.set _ZL8moe_q8_0IN3c104HalfELb0EEvPKvS3_PT_PKiS7_S7_iiiiiii.uses_vcc, 1
	.set _ZL8moe_q8_0IN3c104HalfELb0EEvPKvS3_PT_PKiS7_S7_iiiiiii.uses_flat_scratch, 0
	.set _ZL8moe_q8_0IN3c104HalfELb0EEvPKvS3_PT_PKiS7_S7_iiiiiii.has_dyn_sized_stack, 0
	.set _ZL8moe_q8_0IN3c104HalfELb0EEvPKvS3_PT_PKiS7_S7_iiiiiii.has_recursion, 0
	.set _ZL8moe_q8_0IN3c104HalfELb0EEvPKvS3_PT_PKiS7_S7_iiiiiii.has_indirect_call, 0
	.section	.AMDGPU.csdata,"",@progbits
; Kernel info:
; codeLenInByte = 2796
; TotalNumSgprs: 20
; NumVgprs: 111
; ScratchSize: 0
; MemoryBound: 0
; FloatMode: 240
; IeeeMode: 1
; LDSByteSize: 20160 bytes/workgroup (compile time only)
; SGPRBlocks: 0
; VGPRBlocks: 13
; NumSGPRsForWavesPerEU: 20
; NumVGPRsForWavesPerEU: 111
; Occupancy: 9
; WaveLimiterHint : 1
; COMPUTE_PGM_RSRC2:SCRATCH_EN: 0
; COMPUTE_PGM_RSRC2:USER_SGPR: 6
; COMPUTE_PGM_RSRC2:TRAP_HANDLER: 0
; COMPUTE_PGM_RSRC2:TGID_X_EN: 1
; COMPUTE_PGM_RSRC2:TGID_Y_EN: 1
; COMPUTE_PGM_RSRC2:TGID_Z_EN: 0
; COMPUTE_PGM_RSRC2:TIDIG_COMP_CNT: 1
	.section	.text._ZL8moe_q8_0IN3c104HalfELb1EEvPKvS3_PT_PKiS7_S7_iiiiiii,"axG",@progbits,_ZL8moe_q8_0IN3c104HalfELb1EEvPKvS3_PT_PKiS7_S7_iiiiiii,comdat
	.globl	_ZL8moe_q8_0IN3c104HalfELb1EEvPKvS3_PT_PKiS7_S7_iiiiiii ; -- Begin function _ZL8moe_q8_0IN3c104HalfELb1EEvPKvS3_PT_PKiS7_S7_iiiiiii
	.p2align	8
	.type	_ZL8moe_q8_0IN3c104HalfELb1EEvPKvS3_PT_PKiS7_S7_iiiiiii,@function
_ZL8moe_q8_0IN3c104HalfELb1EEvPKvS3_PT_PKiS7_S7_iiiiiii: ; @_ZL8moe_q8_0IN3c104HalfELb1EEvPKvS3_PT_PKiS7_S7_iiiiiii
; %bb.0:
	s_load_dwordx4 s[0:3], s[4:5], 0x18
	s_mov_b32 s8, s7
	s_mov_b32 s9, 0
	s_lshl_b64 s[10:11], s[8:9], 2
	s_waitcnt lgkmcnt(0)
	s_add_u32 s2, s2, s10
	s_addc_u32 s3, s3, s11
	s_load_dword s7, s[2:3], 0x0
	s_waitcnt lgkmcnt(0)
	s_cmpk_gt_u32 s7, 0xff
	s_cbranch_scc1 .LBB206_22
; %bb.1:
	s_load_dwordx2 s[2:3], s[4:5], 0x28
	s_waitcnt lgkmcnt(0)
	s_load_dword s3, s[2:3], 0x0
	s_lshl_b32 s2, s8, 3
	s_waitcnt lgkmcnt(0)
	s_cmp_gt_u32 s2, s3
	s_cbranch_scc1 .LBB206_22
; %bb.2:
	v_add_nc_u32_e32 v8, s2, v1
	v_mov_b32_e32 v9, 0
	s_lshl_b32 s6, s6, 7
	v_lshlrev_b64 v[2:3], 2, v[8:9]
	v_mov_b32_e32 v39, v9
	v_mov_b32_e32 v44, v9
	v_mov_b32_e32 v22, v9
	v_add_co_u32 v2, vcc_lo, s0, v2
	v_add_co_ci_u32_e64 v3, null, s1, v3, vcc_lo
	global_load_dword v21, v[2:3], off
	s_clause 0x1
	s_load_dwordx8 s[8:15], s[4:5], 0x30
	s_load_dwordx2 s[16:17], s[4:5], 0x10
	s_waitcnt lgkmcnt(0)
	s_cmp_lt_i32 s9, 32
	s_cbranch_scc1 .LBB206_13
; %bb.3:
	s_load_dwordx4 s[0:3], s[4:5], 0x0
	s_ashr_i32 s4, s9, 31
	s_ashr_i32 s5, s12, 31
	s_lshr_b32 s4, s4, 27
	s_lshr_b32 s5, s5, 27
	s_add_i32 s4, s9, s4
	s_mul_i32 s15, s7, s8
	s_ashr_i32 s7, s4, 5
	s_add_i32 s4, s12, s5
	s_mul_i32 s5, s7, s6
	s_ashr_i32 s18, s15, 31
	s_ashr_i32 s8, s4, 5
	s_mul_hi_i32 s4, s5, 34
	s_mul_i32 s5, s5, 34
	v_add_nc_u32_e32 v2, 8, v1
	v_add_nc_u32_e32 v3, 16, v1
	;; [unrolled: 1-line block ×4, first 2 shown]
	v_lshlrev_b32_e32 v20, 2, v0
	v_add_nc_u32_e32 v9, 40, v1
	s_waitcnt lgkmcnt(0)
	s_add_u32 s0, s0, s15
	s_addc_u32 s12, s1, s18
	s_add_u32 s1, s0, s5
	s_addc_u32 s12, s12, s4
	s_abs_i32 s4, s14
	s_not_b32 s0, s6
	v_cvt_f32_u32_e32 v13, s4
	s_add_i32 s0, s10, s0
	v_add_nc_u32_e32 v10, 48, v1
	v_min_i32_e32 v4, s0, v1
	v_min_i32_e32 v5, s0, v2
	v_rcp_iflag_f32_e32 v16, v13
	v_min_i32_e32 v6, s0, v3
	v_min_i32_e32 v7, s0, v7
	;; [unrolled: 1-line block ×3, first 2 shown]
	s_waitcnt vmcnt(0)
	v_mad_u64_u32 v[2:3], null, 0x84, v4, v[20:21]
	v_min_i32_e32 v9, s0, v9
	v_mul_lo_u32 v25, v4, s7
	v_mad_u64_u32 v[3:4], null, 0x84, v5, v[20:21]
	v_min_i32_e32 v10, s0, v10
	v_mul_lo_u32 v26, v5, s7
	v_mad_u64_u32 v[4:5], null, 0x84, v6, v[20:21]
	v_add_nc_u32_e32 v11, 56, v1
	v_add_nc_u32_e32 v12, 64, v1
	v_mul_f32_e32 v16, 0x4f7ffffe, v16
	v_mul_lo_u32 v27, v6, s7
	v_mad_u64_u32 v[5:6], null, 0x84, v7, v[20:21]
	v_mul_lo_u32 v28, v7, s7
	v_mad_u64_u32 v[6:7], null, 0x84, v8, v[20:21]
	v_mul_lo_u32 v29, v8, s7
	v_mad_u64_u32 v[7:8], null, 0x84, v9, v[20:21]
	v_mul_lo_u32 v30, v9, s7
	v_mad_u64_u32 v[8:9], null, 0x84, v10, v[20:21]
	v_min_i32_e32 v11, s0, v11
	v_min_i32_e32 v9, s0, v12
	v_add_nc_u32_e32 v12, 0x48, v1
	v_cvt_u32_f32_e32 v18, v16
	v_add_nc_u32_e32 v14, 0x50, v1
	s_sub_i32 s5, 0, s4
	v_mul_lo_u32 v31, v10, s7
	v_mul_lo_u32 v32, v11, s7
	v_mad_u64_u32 v[10:11], null, 0x84, v11, v[20:21]
	v_min_i32_e32 v15, s0, v12
	v_mul_lo_u32 v19, s5, v18
	v_mul_lo_u32 v33, v9, s7
	v_mad_u64_u32 v[11:12], null, 0x84, v9, v[20:21]
	v_min_i32_e32 v9, s0, v14
	v_add_nc_u32_e32 v14, 0x58, v1
	v_add_nc_u32_e32 v17, 0x60, v1
	v_lshrrev_b32_e32 v16, 2, v0
	v_mad_u64_u32 v[12:13], null, 0x84, v15, v[20:21]
	v_mul_lo_u32 v34, v15, s7
	v_mul_lo_u32 v35, v9, s7
	v_min_i32_e32 v15, s0, v14
	v_mad_u64_u32 v[13:14], null, 0x84, v9, v[20:21]
	v_min_i32_e32 v9, s0, v17
	v_add_nc_u32_e32 v17, 0x68, v1
	v_lshl_add_u32 v39, v1, 3, v16
	v_mul_hi_u32 v19, v18, v19
	v_mul_lo_u32 v36, v15, s7
	v_mad_u64_u32 v[14:15], null, 0x84, v15, v[20:21]
	v_min_i32_e32 v17, s0, v17
	v_sub_nc_u32_e32 v41, 0, v21
	v_mul_lo_u32 v37, v9, s7
	v_mad_u64_u32 v[15:16], null, 0x84, v9, v[20:21]
	v_min_i32_e32 v9, s0, v39
	v_mul_lo_u32 v38, v17, s7
	v_mad_u64_u32 v[16:17], null, 0x84, v17, v[20:21]
	v_max_i32_e32 v43, v21, v41
	v_add_nc_u32_e32 v18, v18, v19
	v_ashrrev_i32_e32 v17, 31, v9
	v_add_nc_u32_e32 v40, 0x70, v1
	v_add_nc_u32_e32 v39, 64, v39
	;; [unrolled: 1-line block ×3, first 2 shown]
	v_mul_hi_u32 v44, v43, v18
	v_lshrrev_b32_e32 v17, 29, v17
	v_min_i32_e32 v42, s0, v40
	v_min_i32_e32 v39, s0, v39
	;; [unrolled: 1-line block ×3, first 2 shown]
	v_and_b32_e32 v24, 28, v20
	v_add_nc_u32_e32 v45, v9, v17
	v_mul_lo_u32 v40, v42, s7
	v_mul_lo_u32 v46, v44, s4
	v_mad_u64_u32 v[17:18], null, 0x84, v42, v[20:21]
	v_ashrrev_i32_e32 v45, 3, v45
	v_and_b32_e32 v42, 3, v0
	v_ashrrev_i32_e32 v47, 31, v39
	v_mul_lo_u32 v41, v19, s7
	v_mad_u64_u32 v[18:19], null, 0x84, v19, v[20:21]
	v_lshlrev_b32_e32 v19, 2, v45
	v_lshlrev_b32_e32 v48, 2, v42
	v_lshrrev_b32_e32 v45, 29, v47
	v_sub_nc_u32_e32 v46, v43, v46
	v_add_nc_u32_e32 v47, 1, v44
	v_lshrrev_b32_e32 v23, 3, v0
	v_add3_u32 v54, v19, v48, 0x4200
	v_add_nc_u32_e32 v19, v39, v45
	v_subrev_nc_u32_e32 v45, s4, v46
	v_cmp_le_u32_e32 vcc_lo, s4, v46
	v_mul_lo_u32 v43, v9, s7
	v_lshlrev_b32_e32 v9, 4, v9
	v_ashrrev_i32_e32 v19, 3, v19
	v_lshlrev_b32_e32 v56, 4, v1
	v_cndmask_b32_e32 v44, v44, v47, vcc_lo
	v_cndmask_b32_e32 v46, v46, v45, vcc_lo
	v_xor_b32_e32 v47, s14, v21
	v_lshlrev_b32_e32 v19, 2, v19
	v_mul_lo_u32 v45, v39, s7
	v_add_nc_u32_e32 v49, 1, v44
	v_cmp_le_u32_e32 vcc_lo, s4, v46
	v_ashrrev_i32_e32 v50, 31, v47
	v_add3_u32 v55, v19, v48, 0x4200
	v_add_nc_u32_e32 v48, 64, v0
	v_and_b32_e32 v47, 31, v0
	v_cndmask_b32_e32 v44, v44, v49, vcc_lo
	v_add_nc_u32_e32 v49, 32, v0
	v_lshl_add_u32 v46, v1, 7, 0x4a40
	v_lshlrev_b32_e32 v39, 4, v39
	v_lshlrev_b32_e32 v52, 4, v0
	v_xor_b32_e32 v19, v44, v50
	v_add_nc_u32_e32 v44, 0x4e40, v20
	v_add_nc_u32_e32 v20, 0x60, v0
	v_lshrrev_b32_e32 v49, 1, v49
	v_lshlrev_b32_e32 v57, 2, v23
	v_sub_nc_u32_e32 v19, v19, v50
	v_lshrrev_b32_e32 v50, 1, v48
	v_lshrrev_b32_e32 v20, 1, v20
	v_and_b32_e32 v53, 0xfc, v49
	v_cmp_gt_u32_e64 s0, 4, v0
	v_mul_lo_u32 v48, v19, s8
	v_and_b32_e32 v50, 0xfc, v50
	v_and_b32_e32 v51, 0xfc, v20
	v_cmp_gt_i32_e32 vcc_lo, s11, v19
	v_add_co_u32 v19, s4, s2, v24
	v_mov_b32_e32 v22, 0
	v_lshl_add_u32 v47, v47, 2, v46
	v_mul_u32_u24_e32 v1, 0x84, v0
	v_add_co_ci_u32_e64 v20, null, s3, 0, s4
	v_add3_u32 v49, v52, v51, 0x4800
	v_add3_u32 v50, v52, v50, 0x4600
	;; [unrolled: 1-line block ×4, first 2 shown]
	v_add_nc_u32_e32 v53, 0x4e40, v56
	v_add_nc_u32_e32 v54, v54, v9
	;; [unrolled: 1-line block ×4, first 2 shown]
	v_mov_b32_e32 v44, 0
	v_mov_b32_e32 v39, 0
	;; [unrolled: 1-line block ×3, first 2 shown]
	s_mov_b32 s10, 0
	s_and_b32 s15, s0, vcc_lo
	s_branch .LBB206_5
.LBB206_4:                              ;   in Loop: Header=BB206_5 Depth=1
	s_add_i32 s10, s10, 4
	s_cmp_ge_i32 s10, s7
	s_cbranch_scc1 .LBB206_13
.LBB206_5:                              ; =>This Loop Header: Depth=1
                                        ;     Child Loop BB206_11 Depth 2
	s_mul_i32 s0, s10, 34
	s_mul_hi_u32 s5, s10, 34
	s_add_u32 s4, s1, s0
	s_addc_u32 s5, s12, s5
	v_mad_u64_u32 v[57:58], null, v23, 34, s[4:5]
	v_mad_u64_u32 v[87:88], null, v42, 34, s[4:5]
	v_mad_i64_i32 v[59:60], null, v25, 34, v[57:58]
	v_mad_i64_i32 v[61:62], null, v26, 34, v[57:58]
	;; [unrolled: 1-line block ×4, first 2 shown]
	v_add_co_u32 v59, s0, v59, v24
	v_mad_i64_i32 v[67:68], null, v29, 34, v[57:58]
	v_add_co_ci_u32_e64 v60, null, 0, v60, s0
	v_add_co_u32 v61, s0, v61, v24
	v_mad_i64_i32 v[69:70], null, v30, 34, v[57:58]
	v_add_co_ci_u32_e64 v62, null, 0, v62, s0
	;; [unrolled: 3-line block ×12, first 2 shown]
	v_add_co_u32 v83, s0, v83, v24
	v_mad_i64_i32 v[91:92], null, v43, 34, v[87:88]
	v_mad_i64_i32 v[87:88], null, v45, 34, v[87:88]
	v_add_co_ci_u32_e64 v84, null, 0, v84, s0
	v_add_co_u32 v85, s0, v85, v24
	v_add_co_ci_u32_e64 v86, null, 0, v86, s0
	v_add_co_u32 v89, s0, v89, v24
	;; [unrolled: 2-line block ×3, first 2 shown]
	v_add_co_ci_u32_e64 v58, null, 0, v58, s0
	s_clause 0x11
	global_load_ushort v91, v[91:92], off
	global_load_ushort v87, v[87:88], off
	global_load_dword v59, v[59:60], off offset:2
	global_load_dword v60, v[61:62], off offset:2
	;; [unrolled: 1-line block ×16, first 2 shown]
	s_lshl_b32 s0, s10, 5
	s_cmp_ge_i32 s0, s9
	s_waitcnt vmcnt(17)
	v_cvt_f32_f16_e32 v58, v91
	s_waitcnt vmcnt(16)
	v_cvt_f32_f16_e32 v74, v87
	s_waitcnt vmcnt(15)
	ds_write_b32 v2, v59
	s_waitcnt vmcnt(14)
	ds_write_b32 v3, v60
	;; [unrolled: 2-line block ×16, first 2 shown]
	ds_write_b32 v54, v58
	ds_write_b32 v55, v74
	s_cbranch_scc1 .LBB206_4
; %bb.6:                                ;   in Loop: Header=BB206_5 Depth=1
	v_add_nc_u32_e32 v57, s10, v23
	v_cmp_gt_i32_e64 s0, s8, v57
	s_and_b32 s4, vcc_lo, s0
	s_and_saveexec_b32 s0, s4
	s_cbranch_execz .LBB206_8
; %bb.7:                                ;   in Loop: Header=BB206_5 Depth=1
	v_add_nc_u32_e32 v57, v48, v57
	v_mad_i64_i32 v[57:58], null, v57, 36, v[19:20]
	global_load_dword v57, v[57:58], off offset:4
	s_waitcnt vmcnt(0)
	ds_write_b32 v47, v57
.LBB206_8:                              ;   in Loop: Header=BB206_5 Depth=1
	s_or_b32 exec_lo, exec_lo, s0
	v_or_b32_e32 v57, s10, v0
	v_cmp_gt_i32_e64 s0, s8, v57
	s_and_b32 s4, s15, s0
	s_and_saveexec_b32 s0, s4
	s_cbranch_execz .LBB206_10
; %bb.9:                                ;   in Loop: Header=BB206_5 Depth=1
	v_add_nc_u32_e32 v57, v48, v57
	v_mad_i64_i32 v[57:58], null, v57, 36, s[2:3]
	global_load_dword v57, v[57:58], off
	s_waitcnt vmcnt(0)
	v_cvt_f32_f16_e32 v57, v57
	ds_write_b32 v56, v57
.LBB206_10:                             ;   in Loop: Header=BB206_5 Depth=1
	s_or_b32 exec_lo, exec_lo, s0
	v_mov_b32_e32 v57, v46
	v_mov_b32_e32 v58, v53
	;; [unrolled: 1-line block ×7, first 2 shown]
	s_mov_b32 s0, -8
	s_waitcnt lgkmcnt(0)
	s_barrier
	buffer_gl0_inv
.LBB206_11:                             ;   Parent Loop BB206_5 Depth=1
                                        ; =>  This Inner Loop Header: Depth=2
	v_add_nc_u32_e32 v80, 0x1080, v63
	v_add_nc_u32_e32 v82, 0x2100, v63
	;; [unrolled: 1-line block ×3, first 2 shown]
	ds_read_b128 v[64:67], v57
	ds_read_b128 v[68:71], v57 offset:16
	ds_read2_b32 v[72:73], v63 offset0:2 offset1:3
	ds_read2_b32 v[74:75], v63 offset0:4 offset1:5
	;; [unrolled: 1-line block ×3, first 2 shown]
	ds_read_b32 v105, v58
	ds_read_b32 v106, v59
	ds_read2_b32 v[78:79], v63 offset1:1
	ds_read_b32 v107, v60
	ds_read_b32 v108, v61
	;; [unrolled: 1-line block ×3, first 2 shown]
	ds_read2_b32 v[80:81], v80 offset1:1
	ds_read2_b32 v[82:83], v82 offset1:1
	;; [unrolled: 1-line block ×3, first 2 shown]
	v_add_nc_u32_e32 v86, 0x1088, v63
	v_add_nc_u32_e32 v88, 0x2108, v63
	;; [unrolled: 1-line block ×3, first 2 shown]
	ds_read2_b32 v[86:87], v86 offset1:1
	ds_read2_b32 v[88:89], v88 offset1:1
	;; [unrolled: 1-line block ×3, first 2 shown]
	v_mov_b32_e32 v102, 0
	v_mov_b32_e32 v103, 0
	v_add_nc_u32_e32 v92, 0x1090, v63
	v_mov_b32_e32 v104, 0
	v_mov_b32_e32 v110, 0
	v_add_nc_u32_e32 v94, 0x1098, v63
	v_add_nc_u32_e32 v96, 0x2110, v63
	;; [unrolled: 1-line block ×3, first 2 shown]
	ds_read2_b32 v[92:93], v92 offset1:1
	ds_read2_b32 v[94:95], v94 offset1:1
	;; [unrolled: 1-line block ×4, first 2 shown]
	s_waitcnt lgkmcnt(13)
	v_dot4c_i32_i8 v102, v78, v64
	s_waitcnt lgkmcnt(9)
	v_dot4c_i32_i8 v103, v80, v64
	;; [unrolled: 2-line block ×4, first 2 shown]
	v_add_nc_u32_e32 v100, 0x2118, v63
	v_add_nc_u32_e32 v111, 0x3198, v63
	v_dot4c_i32_i8 v102, v79, v65
	v_dot4c_i32_i8 v103, v81, v65
	;; [unrolled: 1-line block ×4, first 2 shown]
	ds_read2_b32 v[100:101], v100 offset1:1
	ds_read2_b32 v[64:65], v111 offset1:1
	v_dot4c_i32_i8 v102, v72, v66
	s_waitcnt lgkmcnt(8)
	v_dot4c_i32_i8 v103, v86, v66
	s_waitcnt lgkmcnt(7)
	;; [unrolled: 2-line block ×3, first 2 shown]
	v_dot4c_i32_i8 v110, v90, v66
	v_mul_f32_e32 v66, v105, v106
	v_dot4c_i32_i8 v102, v73, v67
	v_dot4c_i32_i8 v103, v87, v67
	;; [unrolled: 1-line block ×4, first 2 shown]
	v_mul_f32_e32 v67, v105, v107
	v_dot4c_i32_i8 v102, v74, v68
	s_waitcnt lgkmcnt(5)
	v_dot4c_i32_i8 v103, v92, v68
	s_waitcnt lgkmcnt(3)
	;; [unrolled: 2-line block ×3, first 2 shown]
	v_dot4c_i32_i8 v110, v98, v68
	v_add_nc_u32_e32 v63, 32, v63
	v_dot4c_i32_i8 v102, v75, v69
	v_dot4c_i32_i8 v103, v93, v69
	v_dot4c_i32_i8 v104, v97, v69
	v_dot4c_i32_i8 v110, v99, v69
	v_add_nc_u32_e32 v62, 4, v62
	v_dot4c_i32_i8 v102, v76, v70
	v_dot4c_i32_i8 v103, v94, v70
	s_waitcnt lgkmcnt(1)
	v_dot4c_i32_i8 v104, v100, v70
	s_waitcnt lgkmcnt(0)
	v_dot4c_i32_i8 v110, v64, v70
	v_mul_f32_e32 v64, v105, v108
	v_dot4c_i32_i8 v102, v77, v71
	v_dot4c_i32_i8 v103, v95, v71
	;; [unrolled: 1-line block ×4, first 2 shown]
	v_mul_f32_e32 v65, v105, v109
	v_cvt_f32_i32_e32 v68, v102
	v_cvt_f32_i32_e32 v69, v103
	v_cvt_f32_i32_e32 v70, v104
	v_cvt_f32_i32_e32 v71, v110
	v_add_nc_u32_e32 v61, 4, v61
	v_add_nc_u32_e32 v60, 4, v60
	;; [unrolled: 1-line block ×5, first 2 shown]
	v_fmac_f32_e32 v22, v66, v68
	v_fmac_f32_e32 v44, v67, v69
	;; [unrolled: 1-line block ×4, first 2 shown]
	s_add_i32 s0, s0, 8
	s_cmp_lt_u32 s0, 24
	s_cbranch_scc1 .LBB206_11
; %bb.12:                               ;   in Loop: Header=BB206_5 Depth=1
	s_barrier
	buffer_gl0_inv
	s_branch .LBB206_4
.LBB206_13:
	s_mul_i32 s0, s14, s11
	s_waitcnt vmcnt(0)
	v_cmp_gt_i32_e32 vcc_lo, s0, v21
	s_and_saveexec_b32 s0, vcc_lo
	s_cbranch_execz .LBB206_22
; %bb.14:
	v_add_nc_u32_e32 v1, s6, v0
	v_mul_lo_u32 v0, v21, s13
	s_mov_b32 s0, exec_lo
	v_cmpx_gt_u32_e64 s13, v1
	s_cbranch_execz .LBB206_16
; %bb.15:
	v_add_nc_u32_e32 v2, v0, v1
	v_mov_b32_e32 v3, 0
	v_cvt_f16_f32_e32 v4, v22
	v_lshlrev_b64 v[2:3], 1, v[2:3]
	v_add_co_u32 v2, vcc_lo, s16, v2
	v_add_co_ci_u32_e64 v3, null, s17, v3, vcc_lo
	global_store_short v[2:3], v4, off
.LBB206_16:
	s_or_b32 exec_lo, exec_lo, s0
	v_add_nc_u32_e32 v2, 32, v1
	s_mov_b32 s0, exec_lo
	v_cmpx_gt_u32_e64 s13, v2
	s_cbranch_execz .LBB206_18
; %bb.17:
	v_add_nc_u32_e32 v2, v0, v2
	v_mov_b32_e32 v3, 0
	v_cvt_f16_f32_e32 v4, v44
	v_lshlrev_b64 v[2:3], 1, v[2:3]
	v_add_co_u32 v2, vcc_lo, s16, v2
	v_add_co_ci_u32_e64 v3, null, s17, v3, vcc_lo
	global_store_short v[2:3], v4, off
.LBB206_18:
	s_or_b32 exec_lo, exec_lo, s0
	v_add_nc_u32_e32 v2, 64, v1
	;; [unrolled: 14-line block ×3, first 2 shown]
	v_cmp_gt_u32_e32 vcc_lo, s13, v1
	s_and_b32 exec_lo, exec_lo, vcc_lo
	s_cbranch_execz .LBB206_22
; %bb.21:
	v_add_nc_u32_e32 v0, v0, v1
	v_mov_b32_e32 v1, 0
	v_cvt_f16_f32_e32 v2, v9
	v_lshlrev_b64 v[0:1], 1, v[0:1]
	v_add_co_u32 v0, vcc_lo, s16, v0
	v_add_co_ci_u32_e64 v1, null, s17, v1, vcc_lo
	global_store_short v[0:1], v2, off
.LBB206_22:
	s_endpgm
	.section	.rodata,"a",@progbits
	.p2align	6, 0x0
	.amdhsa_kernel _ZL8moe_q8_0IN3c104HalfELb1EEvPKvS3_PT_PKiS7_S7_iiiiiii
		.amdhsa_group_segment_fixed_size 20160
		.amdhsa_private_segment_fixed_size 0
		.amdhsa_kernarg_size 76
		.amdhsa_user_sgpr_count 6
		.amdhsa_user_sgpr_private_segment_buffer 1
		.amdhsa_user_sgpr_dispatch_ptr 0
		.amdhsa_user_sgpr_queue_ptr 0
		.amdhsa_user_sgpr_kernarg_segment_ptr 1
		.amdhsa_user_sgpr_dispatch_id 0
		.amdhsa_user_sgpr_flat_scratch_init 0
		.amdhsa_user_sgpr_private_segment_size 0
		.amdhsa_wavefront_size32 1
		.amdhsa_uses_dynamic_stack 0
		.amdhsa_system_sgpr_private_segment_wavefront_offset 0
		.amdhsa_system_sgpr_workgroup_id_x 1
		.amdhsa_system_sgpr_workgroup_id_y 1
		.amdhsa_system_sgpr_workgroup_id_z 0
		.amdhsa_system_sgpr_workgroup_info 0
		.amdhsa_system_vgpr_workitem_id 1
		.amdhsa_next_free_vgpr 112
		.amdhsa_next_free_sgpr 19
		.amdhsa_reserve_vcc 1
		.amdhsa_reserve_flat_scratch 0
		.amdhsa_float_round_mode_32 0
		.amdhsa_float_round_mode_16_64 0
		.amdhsa_float_denorm_mode_32 3
		.amdhsa_float_denorm_mode_16_64 3
		.amdhsa_dx10_clamp 1
		.amdhsa_ieee_mode 1
		.amdhsa_fp16_overflow 0
		.amdhsa_workgroup_processor_mode 1
		.amdhsa_memory_ordered 1
		.amdhsa_forward_progress 1
		.amdhsa_shared_vgpr_count 0
		.amdhsa_exception_fp_ieee_invalid_op 0
		.amdhsa_exception_fp_denorm_src 0
		.amdhsa_exception_fp_ieee_div_zero 0
		.amdhsa_exception_fp_ieee_overflow 0
		.amdhsa_exception_fp_ieee_underflow 0
		.amdhsa_exception_fp_ieee_inexact 0
		.amdhsa_exception_int_div_zero 0
	.end_amdhsa_kernel
	.section	.text._ZL8moe_q8_0IN3c104HalfELb1EEvPKvS3_PT_PKiS7_S7_iiiiiii,"axG",@progbits,_ZL8moe_q8_0IN3c104HalfELb1EEvPKvS3_PT_PKiS7_S7_iiiiiii,comdat
.Lfunc_end206:
	.size	_ZL8moe_q8_0IN3c104HalfELb1EEvPKvS3_PT_PKiS7_S7_iiiiiii, .Lfunc_end206-_ZL8moe_q8_0IN3c104HalfELb1EEvPKvS3_PT_PKiS7_S7_iiiiiii
                                        ; -- End function
	.set _ZL8moe_q8_0IN3c104HalfELb1EEvPKvS3_PT_PKiS7_S7_iiiiiii.num_vgpr, 112
	.set _ZL8moe_q8_0IN3c104HalfELb1EEvPKvS3_PT_PKiS7_S7_iiiiiii.num_agpr, 0
	.set _ZL8moe_q8_0IN3c104HalfELb1EEvPKvS3_PT_PKiS7_S7_iiiiiii.numbered_sgpr, 19
	.set _ZL8moe_q8_0IN3c104HalfELb1EEvPKvS3_PT_PKiS7_S7_iiiiiii.num_named_barrier, 0
	.set _ZL8moe_q8_0IN3c104HalfELb1EEvPKvS3_PT_PKiS7_S7_iiiiiii.private_seg_size, 0
	.set _ZL8moe_q8_0IN3c104HalfELb1EEvPKvS3_PT_PKiS7_S7_iiiiiii.uses_vcc, 1
	.set _ZL8moe_q8_0IN3c104HalfELb1EEvPKvS3_PT_PKiS7_S7_iiiiiii.uses_flat_scratch, 0
	.set _ZL8moe_q8_0IN3c104HalfELb1EEvPKvS3_PT_PKiS7_S7_iiiiiii.has_dyn_sized_stack, 0
	.set _ZL8moe_q8_0IN3c104HalfELb1EEvPKvS3_PT_PKiS7_S7_iiiiiii.has_recursion, 0
	.set _ZL8moe_q8_0IN3c104HalfELb1EEvPKvS3_PT_PKiS7_S7_iiiiiii.has_indirect_call, 0
	.section	.AMDGPU.csdata,"",@progbits
; Kernel info:
; codeLenInByte = 3108
; TotalNumSgprs: 21
; NumVgprs: 112
; ScratchSize: 0
; MemoryBound: 0
; FloatMode: 240
; IeeeMode: 1
; LDSByteSize: 20160 bytes/workgroup (compile time only)
; SGPRBlocks: 0
; VGPRBlocks: 13
; NumSGPRsForWavesPerEU: 21
; NumVGPRsForWavesPerEU: 112
; Occupancy: 9
; WaveLimiterHint : 1
; COMPUTE_PGM_RSRC2:SCRATCH_EN: 0
; COMPUTE_PGM_RSRC2:USER_SGPR: 6
; COMPUTE_PGM_RSRC2:TRAP_HANDLER: 0
; COMPUTE_PGM_RSRC2:TGID_X_EN: 1
; COMPUTE_PGM_RSRC2:TGID_Y_EN: 1
; COMPUTE_PGM_RSRC2:TGID_Z_EN: 0
; COMPUTE_PGM_RSRC2:TIDIG_COMP_CNT: 1
	.section	.text._ZL8moe_q2_KIN3c104HalfELb0EEvPKvS3_PT_PKiS7_S7_iiiiiii,"axG",@progbits,_ZL8moe_q2_KIN3c104HalfELb0EEvPKvS3_PT_PKiS7_S7_iiiiiii,comdat
	.globl	_ZL8moe_q2_KIN3c104HalfELb0EEvPKvS3_PT_PKiS7_S7_iiiiiii ; -- Begin function _ZL8moe_q2_KIN3c104HalfELb0EEvPKvS3_PT_PKiS7_S7_iiiiiii
	.p2align	8
	.type	_ZL8moe_q2_KIN3c104HalfELb0EEvPKvS3_PT_PKiS7_S7_iiiiiii,@function
_ZL8moe_q2_KIN3c104HalfELb0EEvPKvS3_PT_PKiS7_S7_iiiiiii: ; @_ZL8moe_q2_KIN3c104HalfELb0EEvPKvS3_PT_PKiS7_S7_iiiiiii
; %bb.0:
	s_load_dwordx4 s[0:3], s[4:5], 0x18
	s_mov_b32 s8, s7
	s_mov_b32 s9, 0
	s_lshl_b64 s[10:11], s[8:9], 2
	s_waitcnt lgkmcnt(0)
	s_add_u32 s2, s2, s10
	s_addc_u32 s3, s3, s11
	s_load_dword s7, s[2:3], 0x0
	s_waitcnt lgkmcnt(0)
	s_cmpk_gt_u32 s7, 0xff
	s_cbranch_scc1 .LBB207_46
; %bb.1:
	s_load_dwordx2 s[2:3], s[4:5], 0x28
	s_waitcnt lgkmcnt(0)
	s_load_dword s3, s[2:3], 0x0
	s_lshl_b32 s2, s8, 3
	s_waitcnt lgkmcnt(0)
	s_cmp_gt_u32 s2, s3
	s_cbranch_scc1 .LBB207_46
; %bb.2:
	v_add_nc_u32_e32 v4, s2, v1
	v_mov_b32_e32 v5, 0
	s_lshl_b32 s6, s6, 7
	v_lshlrev_b64 v[2:3], 2, v[4:5]
	v_mov_b32_e32 v39, v5
	v_mov_b32_e32 v44, v5
	;; [unrolled: 1-line block ×3, first 2 shown]
	v_add_co_u32 v2, vcc_lo, s0, v2
	v_add_co_ci_u32_e64 v3, null, s1, v3, vcc_lo
	global_load_dword v8, v[2:3], off
	s_clause 0x2
	s_load_dwordx2 s[14:15], s[4:5], 0x30
	s_load_dwordx2 s[12:13], s[4:5], 0x10
	s_load_dwordx4 s[8:11], s[4:5], 0x3c
	s_waitcnt lgkmcnt(0)
	s_cmpk_lt_i32 s15, 0x100
	s_cbranch_scc1 .LBB207_37
; %bb.3:
	s_load_dwordx4 s[0:3], s[4:5], 0x0
	s_ashr_i32 s4, s15, 31
	s_ashr_i32 s5, s9, 31
	s_lshr_b32 s4, s4, 24
	s_lshr_b32 s5, s5, 27
	s_add_i32 s4, s15, s4
	s_mul_i32 s14, s7, s14
	s_ashr_i32 s7, s4, 8
	s_add_i32 s4, s9, s5
	s_mul_i32 s5, s7, s6
	s_ashr_i32 s16, s14, 31
	s_ashr_i32 s9, s4, 5
	s_mul_hi_i32 s4, s5, 0x54
	s_mulk_i32 s5, 0x54
	v_lshlrev_b32_e32 v2, 2, v0
	v_lshrrev_b32_e32 v13, 3, v0
	v_lshlrev_b32_e32 v3, 4, v1
	v_lshl_add_u32 v15, v1, 7, 0x56a0
	v_mul_i32_i24_e32 v24, s7, v1
	v_mad_u32_u24 v18, 0x84, v1, v2
	s_waitcnt lgkmcnt(0)
	s_add_u32 s0, s0, s14
	s_addc_u32 s1, s1, s16
	s_add_u32 s14, s0, s5
	s_addc_u32 s16, s1, s4
	s_lshl_b32 s0, s7, 3
	s_abs_i32 s1, s11
	v_mad_i32_i24 v12, s7, v1, s0
	v_cvt_f32_u32_e32 v6, s1
	s_sub_i32 s4, 0, s1
	v_lshl_add_u32 v33, v1, 2, v13
	v_lshrrev_b32_e32 v4, 1, v0
	v_add_nc_u32_e32 v14, s0, v12
	v_rcp_iflag_f32_e32 v6, v6
	v_and_b32_e32 v11, 1, v0
	s_waitcnt vmcnt(0)
	v_sub_nc_u32_e32 v7, 0, v8
	v_add_nc_u32_e32 v4, v4, v3
	v_add_nc_u32_e32 v16, s0, v14
	v_and_b32_e32 v5, 7, v0
	v_lshlrev_b32_e32 v30, 2, v11
	v_max_i32_e32 v7, v8, v7
	v_and_b32_e32 v31, 0x7f, v4
	v_add_nc_u32_e32 v19, s0, v16
	v_mul_f32_e32 v6, 0x4f7ffffe, v6
	v_cmp_lt_u32_e32 vcc_lo, 3, v5
	v_lshlrev_b32_e32 v5, 2, v5
	v_lshl_or_b32 v37, v31, 3, v30
	v_add_nc_u32_e32 v21, s0, v19
	v_cvt_u32_f32_e32 v6, v6
	v_and_b32_e32 v32, 0x7fc, v33
	v_mul_i32_i24_e32 v29, s7, v31
	v_lshrrev_b32_e32 v4, 2, v4
	v_add_nc_u32_e32 v23, s0, v21
	v_mul_lo_u32 v1, s4, v6
	v_add_nc_u32_e32 v34, 32, v33
	v_add3_u32 v57, v32, v5, 0x4200
	v_add_nc_u32_e32 v35, 64, v33
	v_add_nc_u32_e32 v25, s0, v23
	;; [unrolled: 1-line block ×3, first 2 shown]
	v_and_b32_e32 v4, 28, v4
	v_lshlrev_b32_e32 v58, 5, v34
	v_mul_hi_u32 v1, v6, v1
	v_add_nc_u32_e32 v27, s0, v25
	v_and_b32_e32 v38, 0xffc, v35
	v_and_b32_e32 v40, 0xffc, v36
	v_lshlrev_b32_e32 v59, 5, v35
	v_add3_u32 v35, v37, v4, 0x5280
	v_add_nc_u32_e32 v28, s0, v27
	v_add3_u32 v61, v38, v5, 0x4200
	v_add_nc_u32_e32 v1, v6, v1
	v_and_b32_e32 v6, 0xffc, v34
	v_add_nc_u32_e32 v42, 0x5aa0, v3
	v_add_nc_u32_e32 v30, s0, v28
	v_and_b32_e32 v17, 60, v2
	v_mul_hi_u32 v1, v7, v1
	v_add3_u32 v4, v6, v5, 0x4200
	v_add3_u32 v5, v40, v5, 0x4200
	v_add_nc_u32_e32 v31, s0, v30
	v_and_b32_e32 v22, 12, v2
	v_and_b32_e32 v44, 28, v2
	v_add_nc_u32_e32 v43, v42, v2
	v_xor_b32_e32 v2, s11, v8
	v_add_nc_u32_e32 v32, s0, v31
	v_mul_lo_u32 v41, v1, s1
	v_and_b32_e32 v39, 31, v0
	s_lshl_b32 s4, s7, 5
	v_ashrrev_i32_e32 v2, 31, v2
	v_add_nc_u32_e32 v34, s0, v32
	v_mul_i32_i24_e32 v26, s7, v33
	v_lshlrev_b32_e32 v56, 5, v33
	v_mad_i32_i24 v33, s7, v33, s4
	v_sub_nc_u32_e32 v6, v7, v41
	v_add_nc_u32_e32 v37, s0, v34
	v_add_nc_u32_e32 v7, 1, v1
	v_lshl_add_u32 v41, v39, 2, v15
	v_mul_u32_u24_e32 v39, 33, v0
	v_subrev_nc_u32_e32 v3, s1, v6
	v_add_nc_u32_e32 v40, s0, v37
	v_cmp_le_u32_e64 s0, s1, v6
	v_add_nc_u32_e32 v51, 32, v0
	v_add_nc_u32_e32 v52, 64, v0
	;; [unrolled: 1-line block ×3, first 2 shown]
	v_and_b32_e32 v53, 0xfc, v0
	v_cndmask_b32_e64 v1, v1, v7, s0
	v_cndmask_b32_e64 v3, v6, v3, s0
	v_lshrrev_b32_e32 v10, 4, v0
	v_lshlrev_b32_e32 v60, 5, v36
	v_add_nc_u32_e32 v36, s4, v33
	v_add_nc_u32_e32 v6, 1, v1
	v_cmp_le_u32_e64 s0, s1, v3
	v_lshlrev_b32_e32 v3, 1, v0
	v_lshlrev_b32_e32 v63, 1, v51
	v_lshrrev_b32_e32 v62, 4, v51
	v_lshlrev_b32_e32 v65, 1, v52
	v_cndmask_b32_e64 v1, v1, v6, s0
	v_lshrrev_b32_e32 v64, 4, v52
	v_lshlrev_b32_e32 v67, 1, v50
	v_lshrrev_b32_e32 v47, 3, v50
	v_add_co_u32 v6, s1, s2, v44
	v_xor_b32_e32 v1, v1, v2
	v_lshlrev_b32_e32 v49, 2, v39
	v_and_b32_e32 v39, 0x1fc, v50
	v_and_b32_e32 v44, 0x1fc, v51
	;; [unrolled: 1-line block ×3, first 2 shown]
	v_sub_nc_u32_e32 v1, v1, v2
	v_lshrrev_b32_e32 v2, 4, v50
	v_cndmask_b32_e64 v20, 0, 1, vcc_lo
	v_cmp_gt_u32_e32 vcc_lo, 4, v0
	v_mov_b32_e32 v9, 0
	v_cmp_gt_i32_e64 s0, s8, v1
	v_mul_lo_u32 v48, v1, s9
	v_lshlrev_b32_e32 v1, 5, v0
	v_add_nc_u32_e32 v38, s4, v36
	v_lshrrev_b32_e32 v45, 3, v51
	v_lshrrev_b32_e32 v46, 3, v52
	v_add_co_ci_u32_e64 v7, null, s3, 0, s1
	v_add_nc_u32_e32 v50, v1, v53
	v_ashrrev_i32_e32 v51, 31, v48
	v_add_nc_u32_e32 v52, v1, v39
	v_add_nc_u32_e32 v54, v1, v44
	;; [unrolled: 1-line block ×8, first 2 shown]
	v_lshlrev_b32_e32 v60, 2, v10
	v_lshlrev_b32_e32 v61, 2, v3
	;; [unrolled: 1-line block ×8, first 2 shown]
	v_mov_b32_e32 v68, 0xffff
	v_mov_b32_e32 v44, 0
	;; [unrolled: 1-line block ×4, first 2 shown]
	s_mov_b32 s17, 0
	s_and_b32 s18, vcc_lo, s0
	s_branch .LBB207_5
.LBB207_4:                              ;   in Loop: Header=BB207_5 Depth=1
	s_add_i32 s17, s17, 2
	s_cmp_ge_i32 s17, s7
	s_cbranch_scc1 .LBB207_37
.LBB207_5:                              ; =>This Loop Header: Depth=1
                                        ;     Child Loop BB207_11 Depth 2
                                        ;     Child Loop BB207_19 Depth 2
	;; [unrolled: 1-line block ×4, first 2 shown]
	s_mul_i32 s1, s17, 0x54
	s_mul_hi_u32 s5, s17, 0x54
	s_add_u32 s4, s14, s1
	s_addc_u32 s5, s16, s5
	v_add_nc_u32_e32 v99, 0x39c0, v18
	v_mad_u64_u32 v[1:2], null, 0x54, v10, s[4:5]
	v_add_nc_u32_e32 v100, 0x3de0, v18
	v_mad_u64_u32 v[3:4], null, 0x54, v24, v[1:2]
	v_mad_u64_u32 v[69:70], null, 0x54, v12, v[1:2]
	;; [unrolled: 1-line block ×4, first 2 shown]
	v_add_co_u32 v3, s1, v3, v17
	v_mad_u64_u32 v[75:76], null, 0x54, v19, v[1:2]
	v_add_co_ci_u32_e64 v4, null, 0, v4, s1
	v_add_co_u32 v69, s1, v69, v17
	v_mad_u64_u32 v[77:78], null, 0x54, v21, v[1:2]
	v_add_co_ci_u32_e64 v70, null, 0, v70, s1
	;; [unrolled: 3-line block ×4, first 2 shown]
	v_add_co_u32 v75, s1, v75, v17
	v_add_co_ci_u32_e64 v76, null, 0, v76, s1
	v_add_co_u32 v77, s1, v77, v17
	v_add_co_ci_u32_e64 v78, null, 0, v78, s1
	;; [unrolled: 2-line block ×3, first 2 shown]
	v_add_co_u32 v81, s1, v81, v17
	v_mad_u64_u32 v[83:84], null, 0x54, v27, v[1:2]
	v_add_co_ci_u32_e64 v82, null, 0, v82, s1
	s_clause 0x7
	global_load_dword v91, v[3:4], off offset:16
	global_load_dword v92, v[69:70], off offset:16
	;; [unrolled: 1-line block ×8, first 2 shown]
	v_mad_u64_u32 v[3:4], null, 0x54, v28, v[1:2]
	v_mad_u64_u32 v[71:72], null, 0x54, v30, v[1:2]
	;; [unrolled: 1-line block ×3, first 2 shown]
	v_add_co_u32 v69, s1, v83, v17
	v_mad_u64_u32 v[75:76], null, 0x54, v32, v[1:2]
	v_add_co_ci_u32_e64 v70, null, 0, v84, s1
	v_add_co_u32 v3, s1, v3, v17
	v_mad_u64_u32 v[77:78], null, 0x54, v34, v[1:2]
	v_add_co_ci_u32_e64 v4, null, 0, v4, s1
	;; [unrolled: 3-line block ×4, first 2 shown]
	v_add_co_u32 v75, s1, v75, v17
	v_add_co_ci_u32_e64 v76, null, 0, v76, s1
	v_add_co_u32 v77, s1, v77, v17
	v_mad_u64_u32 v[1:2], null, 0x54, v40, v[1:2]
	v_add_co_ci_u32_e64 v78, null, 0, v78, s1
	v_add_co_u32 v79, s1, v79, v17
	v_mad_u64_u32 v[83:84], null, 0x54, v29, s[4:5]
	v_add_co_ci_u32_e64 v80, null, 0, v80, s1
	v_add_co_u32 v81, s1, v81, v22
	v_add_co_ci_u32_e64 v82, null, 0, v82, s1
	v_add_co_u32 v1, s1, v1, v17
	v_add_co_ci_u32_e64 v2, null, 0, v2, s1
	v_mad_u64_u32 v[83:84], null, 0x54, v11, v[83:84]
	v_mad_u64_u32 v[85:86], null, 0x54, v26, v[81:82]
	;; [unrolled: 1-line block ×5, first 2 shown]
	s_clause 0xc
	global_load_dword v69, v[69:70], off offset:16
	global_load_dword v3, v[3:4], off offset:16
	;; [unrolled: 1-line block ×9, first 2 shown]
	global_load_dword v74, v[85:86], off
	global_load_dword v75, v[87:88], off
	;; [unrolled: 1-line block ×4, first 2 shown]
	v_add_nc_u32_e32 v78, 0x420, v18
	s_lshl_b32 s4, s17, 8
	v_add_nc_u32_e32 v79, 0x840, v18
	v_add_nc_u32_e32 v80, 0xc60, v18
	s_cmp_lt_i32 s4, s15
	v_add_nc_u32_e32 v81, 0x1080, v18
	v_add_nc_u32_e32 v82, 0x14a0, v18
	;; [unrolled: 1-line block ×10, first 2 shown]
	s_waitcnt vmcnt(20)
	ds_write_b32 v18, v91
	s_waitcnt vmcnt(19)
	ds_write_b32 v78, v92
	;; [unrolled: 2-line block ×21, first 2 shown]
	s_cbranch_scc0 .LBB207_4
; %bb.6:                                ;   in Loop: Header=BB207_5 Depth=1
	s_lshl_b32 s5, s17, 3
	v_add_nc_u32_e32 v1, s5, v13
	v_cmp_gt_i32_e64 s1, s9, v1
	s_and_b32 s19, s0, s1
	s_and_saveexec_b32 s1, s19
	s_cbranch_execz .LBB207_8
; %bb.7:                                ;   in Loop: Header=BB207_5 Depth=1
	v_add_nc_u32_e32 v1, v48, v1
	v_mad_i64_i32 v[1:2], null, v1, 36, v[6:7]
	global_load_dword v1, v[1:2], off offset:4
	s_waitcnt vmcnt(0)
	ds_write_b32 v41, v1
.LBB207_8:                              ;   in Loop: Header=BB207_5 Depth=1
	s_or_b32 exec_lo, exec_lo, s1
	v_add_nc_u32_e32 v69, s5, v0
	v_cmp_gt_i32_e64 s1, s9, v69
	s_and_b32 s19, s18, s1
	s_and_saveexec_b32 s1, s19
	s_cbranch_execz .LBB207_10
; %bb.9:                                ;   in Loop: Header=BB207_5 Depth=1
	v_add_nc_u32_e32 v1, v48, v69
	v_mad_i64_i32 v[1:2], null, v1, 36, s[2:3]
	global_load_dword v1, v[1:2], off
	s_waitcnt vmcnt(0)
	v_cvt_f32_f16_e32 v1, v1
	ds_write_b32 v43, v1
.LBB207_10:                             ;   in Loop: Header=BB207_5 Depth=1
	s_or_b32 exec_lo, exec_lo, s1
	v_mov_b32_e32 v70, v42
	v_mov_b32_e32 v71, v15
	s_mov_b32 s1, 0
	s_waitcnt lgkmcnt(0)
	s_barrier
	buffer_gl0_inv
.LBB207_11:                             ;   Parent Loop BB207_5 Depth=1
                                        ; =>  This Inner Loop Header: Depth=2
	s_and_b32 s20, s1, 0x3ffffff8
	s_lshr_b32 s21, s1, 2
	v_lshl_add_u32 v85, s20, 2, v49
	s_and_b32 s20, s21, 0x3ffffffc
	s_and_b32 s19, s1, -16
	s_addk_i32 s20, 0x5280
	ds_read_b32 v72, v70
	ds_read_b128 v[73:76], v71
	ds_read_b128 v[1:4], v71 offset:16
	v_add3_u32 v87, s20, v62, v63
	v_add3_u32 v88, s20, v64, v65
	ds_read2_b32 v[77:78], v85 offset1:1
	ds_read2_b32 v[79:80], v85 offset0:2 offset1:3
	ds_read2_b32 v[81:82], v85 offset0:4 offset1:5
	;; [unrolled: 1-line block ×3, first 2 shown]
	s_add_i32 s19, s1, s19
	v_add3_u32 v90, s20, v66, v67
	v_add3_u32 v86, s20, v60, v61
	v_add_nc_u32_e32 v89, s19, v53
	v_add_nc_u32_e32 v93, s19, v54
	;; [unrolled: 1-line block ×16, first 2 shown]
	ds_read_b32 v122, v87
	ds_read_b32 v123, v88
	ds_read_b32 v124, v90
	ds_read_b32 v125, v86
	ds_read2_b32 v[85:86], v91 offset1:1
	ds_read2_b32 v[87:88], v92 offset1:1
	ds_read_u16 v126, v89
	ds_read2_b32 v[89:90], v94 offset1:1
	ds_read2_b32 v[91:92], v95 offset1:1
	ds_read_u16 v127, v93 offset:17920
	ds_read2_b32 v[93:94], v96 offset1:1
	ds_read2_b32 v[95:96], v97 offset1:1
	;; [unrolled: 1-line block ×6, first 2 shown]
	ds_read_u16 v128, v105 offset:18944
	ds_read2_b32 v[105:106], v106 offset1:1
	ds_read2_b32 v[107:108], v107 offset1:1
	ds_read_u16 v121, v121 offset:19968
	s_waitcnt lgkmcnt(23)
	v_ashrrev_i32_e32 v77, s1, v77
	s_waitcnt lgkmcnt(21)
	v_ashrrev_i32_e32 v81, s1, v81
	v_mov_b32_e32 v109, 0
	v_mov_b32_e32 v111, 0
	s_waitcnt lgkmcnt(15)
	v_ashrrev_i32_e32 v85, s1, v85
	v_and_b32_e32 v77, 0x3030303, v77
	v_and_b32_e32 v81, 0x3030303, v81
	s_waitcnt lgkmcnt(13)
	v_bfe_u32 v133, v126, 4, 4
	v_and_b32_e32 v134, 15, v126
	v_and_b32_sdwa v126, v68, v126 dst_sel:DWORD dst_unused:UNUSED_PAD src0_sel:DWORD src1_sel:BYTE_1
	s_waitcnt lgkmcnt(10)
	v_bfe_u32 v135, v127, 4, 4
	v_dot4c_i32_i8 v109, v77, v73
	v_mul_lo_u32 v133, 0x1010101, v133
	v_dot4c_i32_i8 v111, v81, v1
	v_lshrrev_b32_e32 v77, 4, v126
	v_and_b32_e32 v81, 15, v126
	s_waitcnt lgkmcnt(3)
	v_bfe_u32 v137, v128, 4, 4
	v_mul_lo_u32 v126, 0x1010101, v135
	v_ashrrev_i32_e32 v93, s1, v93
	s_waitcnt lgkmcnt(0)
	v_bfe_u32 v139, v121, 4, 4
	v_ashrrev_i32_e32 v101, s1, v101
	v_mul_lo_u32 v137, 0x1010101, v137
	v_mov_b32_e32 v110, 0
	v_mov_b32_e32 v113, 0
	v_mul_lo_u32 v139, 0x1010101, v139
	v_mov_b32_e32 v116, 0
	v_mov_b32_e32 v119, 0
	;; [unrolled: 1-line block ×3, first 2 shown]
	v_ashrrev_i32_e32 v78, s1, v78
	v_ashrrev_i32_e32 v86, s1, v86
	v_and_b32_e32 v85, 0x3030303, v85
	v_mov_b32_e32 v115, 0
	v_ashrrev_i32_e32 v94, s1, v94
	v_and_b32_e32 v93, 0x3030303, v93
	v_mov_b32_e32 v118, 0
	v_ashrrev_i32_e32 v102, s1, v102
	v_and_b32_e32 v101, 0x3030303, v101
	v_dot4c_i32_i8 v110, v133, v73
	v_dot4c_i32_i8 v113, v126, v73
	v_dot4c_i32_i8 v116, v137, v73
	v_dot4c_i32_i8 v119, v139, v73
	v_ashrrev_i32_e32 v79, s1, v79
	v_and_b32_e32 v78, 0x3030303, v78
	v_ashrrev_i32_e32 v87, s1, v87
	v_ashrrev_i32_e32 v89, s1, v89
	v_and_b32_e32 v86, 0x3030303, v86
	v_dot4c_i32_i8 v112, v85, v73
	v_ashrrev_i32_e32 v82, s1, v82
	v_and_b32_e32 v136, 15, v127
	v_and_b32_sdwa v127, v68, v127 dst_sel:DWORD dst_unused:UNUSED_PAD src0_sel:DWORD src1_sel:BYTE_1
	v_ashrrev_i32_e32 v97, s1, v97
	v_and_b32_e32 v138, 15, v128
	v_and_b32_sdwa v128, v68, v128 dst_sel:DWORD dst_unused:UNUSED_PAD src0_sel:DWORD src1_sel:BYTE_1
	v_and_b32_e32 v140, 15, v121
	v_and_b32_sdwa v121, v68, v121 dst_sel:DWORD dst_unused:UNUSED_PAD src0_sel:DWORD src1_sel:BYTE_1
	v_ashrrev_i32_e32 v95, s1, v95
	v_and_b32_e32 v94, 0x3030303, v94
	v_dot4c_i32_i8 v115, v93, v73
	v_ashrrev_i32_e32 v103, s1, v103
	v_and_b32_e32 v102, 0x3030303, v102
	v_dot4c_i32_i8 v118, v101, v73
	v_dot4c_i32_i8 v110, v133, v74
	;; [unrolled: 1-line block ×5, first 2 shown]
	v_mov_b32_e32 v114, 0
	v_ashrrev_i32_e32 v80, s1, v80
	v_and_b32_e32 v79, 0x3030303, v79
	v_ashrrev_i32_e32 v88, s1, v88
	v_ashrrev_i32_e32 v90, s1, v90
	v_and_b32_e32 v87, 0x3030303, v87
	v_and_b32_e32 v89, 0x3030303, v89
	v_dot4c_i32_i8 v109, v78, v74
	v_dot4c_i32_i8 v112, v86, v74
	v_mov_b32_e32 v117, 0
	v_and_b32_e32 v82, 0x3030303, v82
	v_ashrrev_i32_e32 v98, s1, v98
	v_ashrrev_i32_e32 v105, s1, v105
	v_lshrrev_b32_e32 v135, 4, v127
	v_and_b32_e32 v97, 0x3030303, v97
	v_lshrrev_b32_e32 v141, 4, v128
	v_lshrrev_b32_e32 v142, 4, v121
	v_ashrrev_i32_e32 v96, s1, v96
	v_and_b32_e32 v95, 0x3030303, v95
	v_dot4c_i32_i8 v115, v94, v74
	v_ashrrev_i32_e32 v83, s1, v83
	v_ashrrev_i32_e32 v104, s1, v104
	v_and_b32_e32 v103, 0x3030303, v103
	v_dot4c_i32_i8 v118, v102, v74
	v_dot4c_i32_i8 v110, v133, v75
	;; [unrolled: 1-line block ×5, first 2 shown]
	v_and_b32_e32 v80, 0x3030303, v80
	v_ashrrev_i32_e32 v91, s1, v91
	v_and_b32_e32 v88, 0x3030303, v88
	v_and_b32_e32 v90, 0x3030303, v90
	v_dot4c_i32_i8 v114, v89, v1
	v_dot4c_i32_i8 v109, v79, v75
	;; [unrolled: 1-line block ×3, first 2 shown]
	v_mov_b32_e32 v120, 0
	v_ashrrev_i32_e32 v99, s1, v99
	v_ashrrev_i32_e32 v106, s1, v106
	v_and_b32_e32 v98, 0x3030303, v98
	v_and_b32_e32 v105, 0x3030303, v105
	v_mul_lo_u32 v143, 0x1010101, v77
	v_dot4c_i32_i8 v111, v82, v2
	v_mul_lo_u32 v82, 0x1010101, v135
	v_mul_lo_u32 v85, 0x1010101, v141
	v_dot4c_i32_i8 v117, v97, v1
	v_mul_lo_u32 v89, 0x1010101, v142
	v_and_b32_e32 v96, 0x3030303, v96
	v_dot4c_i32_i8 v115, v95, v75
	v_ashrrev_i32_e32 v84, s1, v84
	v_and_b32_e32 v83, 0x3030303, v83
	v_and_b32_e32 v104, 0x3030303, v104
	v_dot4c_i32_i8 v118, v103, v75
	v_dot4c_i32_i8 v110, v133, v76
	;; [unrolled: 1-line block ×5, first 2 shown]
	v_ashrrev_i32_e32 v92, s1, v92
	v_and_b32_e32 v91, 0x3030303, v91
	v_dot4c_i32_i8 v114, v90, v2
	v_dot4c_i32_i8 v109, v80, v76
	;; [unrolled: 1-line block ×3, first 2 shown]
	v_ashrrev_i32_e32 v100, s1, v100
	v_ashrrev_i32_e32 v107, s1, v107
	v_and_b32_e32 v99, 0x3030303, v99
	v_and_b32_e32 v106, 0x3030303, v106
	v_dot4c_i32_i8 v120, v105, v1
	v_dot4c_i32_i8 v117, v98, v2
	;; [unrolled: 1-line block ×3, first 2 shown]
	v_and_b32_e32 v84, 0x3030303, v84
	v_dot4c_i32_i8 v111, v83, v3
	v_dot4c_i32_i8 v118, v104, v76
	;; [unrolled: 1-line block ×6, first 2 shown]
	v_and_b32_e32 v92, 0x3030303, v92
	v_dot4c_i32_i8 v114, v91, v3
	v_mul_lo_u32 v73, v134, v109
	v_mul_lo_u32 v74, v136, v112
	v_ashrrev_i32_e32 v108, s1, v108
	v_and_b32_e32 v100, 0x3030303, v100
	v_and_b32_e32 v107, 0x3030303, v107
	v_dot4c_i32_i8 v120, v106, v2
	v_dot4c_i32_i8 v117, v99, v3
	v_mul_lo_u32 v75, v138, v115
	v_dot4c_i32_i8 v111, v84, v4
	v_mul_lo_u32 v76, v140, v118
	v_dot4c_i32_i8 v110, v143, v2
	v_dot4c_i32_i8 v113, v82, v2
	;; [unrolled: 1-line block ×4, first 2 shown]
	v_and_b32_e32 v127, 15, v127
	v_dot4c_i32_i8 v114, v92, v4
	v_and_b32_e32 v128, 15, v128
	v_and_b32_e32 v108, 0x3030303, v108
	v_dot4c_i32_i8 v120, v107, v3
	v_dot4c_i32_i8 v117, v100, v4
	v_mad_u64_u32 v[77:78], null, v81, v111, v[73:74]
	v_dot4c_i32_i8 v110, v143, v3
	v_dot4c_i32_i8 v113, v82, v3
	v_dot4c_i32_i8 v116, v85, v3
	v_dot4c_i32_i8 v119, v89, v3
	v_mad_u64_u32 v[73:74], null, v127, v114, v[74:75]
	v_and_b32_e32 v121, 15, v121
	v_dot4c_i32_i8 v120, v108, v4
	v_mad_u64_u32 v[74:75], null, v128, v117, v[75:76]
	v_dot4c_i32_i8 v110, v143, v4
	v_dot4c_i32_i8 v113, v82, v4
	;; [unrolled: 1-line block ×4, first 2 shown]
	v_mad_u64_u32 v[1:2], null, v121, v120, v[76:77]
	v_cvt_f32_f16_sdwa v129, v125 dst_sel:DWORD dst_unused:UNUSED_PAD src0_sel:WORD_1
	v_cvt_f32_f16_sdwa v130, v122 dst_sel:DWORD dst_unused:UNUSED_PAD src0_sel:WORD_1
	;; [unrolled: 1-line block ×4, first 2 shown]
	v_cvt_f32_i32_e32 v3, v73
	v_cvt_f32_i32_e32 v4, v74
	;; [unrolled: 1-line block ×8, first 2 shown]
	v_mul_f32_e32 v73, v129, v73
	v_mul_f32_e32 v74, v130, v74
	;; [unrolled: 1-line block ×4, first 2 shown]
	v_add_nc_u32_e32 v71, 32, v71
	v_fma_mix_f32 v2, v125, v2, -v73 op_sel_hi:[1,0,0]
	v_fma_mix_f32 v3, v122, v3, -v74 op_sel_hi:[1,0,0]
	;; [unrolled: 1-line block ×4, first 2 shown]
	v_add_nc_u32_e32 v70, 4, v70
	v_fmac_f32_e32 v9, v72, v2
	v_fmac_f32_e32 v44, v72, v3
	;; [unrolled: 1-line block ×4, first 2 shown]
	s_add_i32 s19, s1, 2
	s_cmp_lt_u32 s1, 6
	s_mov_b32 s1, s19
	s_cbranch_scc1 .LBB207_11
; %bb.12:                               ;   in Loop: Header=BB207_5 Depth=1
	s_or_b32 s1, s4, 0x80
	s_cmp_ge_i32 s1, s15
	s_barrier
	buffer_gl0_inv
	s_cbranch_scc1 .LBB207_4
; %bb.13:                               ;   in Loop: Header=BB207_5 Depth=1
	v_add_nc_u32_e32 v1, s5, v45
	v_cmp_gt_i32_e64 s1, s9, v1
	s_and_b32 s19, s0, s1
	s_and_saveexec_b32 s1, s19
	s_cbranch_execz .LBB207_15
; %bb.14:                               ;   in Loop: Header=BB207_5 Depth=1
	v_add_nc_u32_e32 v1, v48, v1
	v_mad_i64_i32 v[1:2], null, v1, 36, v[6:7]
	global_load_dword v1, v[1:2], off offset:4
	s_waitcnt vmcnt(0)
	ds_write_b32 v41, v1
.LBB207_15:                             ;   in Loop: Header=BB207_5 Depth=1
	s_or_b32 exec_lo, exec_lo, s1
	s_and_saveexec_b32 s19, vcc_lo
	s_cbranch_execz .LBB207_18
; %bb.16:                               ;   in Loop: Header=BB207_5 Depth=1
	v_or_b32_e32 v1, 4, v69
	v_cmp_gt_i32_e64 s1, s9, v1
	s_and_b32 s1, s0, s1
	s_and_b32 exec_lo, exec_lo, s1
	s_cbranch_execz .LBB207_18
; %bb.17:                               ;   in Loop: Header=BB207_5 Depth=1
	v_ashrrev_i32_e32 v1, 31, v69
	v_add_co_u32 v2, s1, v48, v69
	v_add_co_ci_u32_e64 v3, null, v51, v1, s1
	v_mad_u64_u32 v[1:2], null, v2, 36, s[2:3]
	v_mad_i32_i24 v2, v3, 36, v2
	global_load_dword v1, v[1:2], off offset:144
	s_waitcnt vmcnt(0)
	v_cvt_f32_f16_e32 v1, v1
	ds_write_b32 v43, v1
.LBB207_18:                             ;   in Loop: Header=BB207_5 Depth=1
	s_or_b32 exec_lo, exec_lo, s19
	v_mov_b32_e32 v70, v15
	v_mov_b32_e32 v71, v42
	s_mov_b32 s1, 8
	s_waitcnt lgkmcnt(0)
	s_barrier
	buffer_gl0_inv
.LBB207_19:                             ;   Parent Loop BB207_5 Depth=1
                                        ; =>  This Inner Loop Header: Depth=2
	s_and_b32 s21, s1, 0x3ffffff8
	s_lshr_b32 s22, s1, 2
	v_lshl_add_u32 v85, s21, 2, v49
	s_and_b32 s21, s22, 0x3ffffffc
	s_and_b32 s20, s1, -16
	s_addk_i32 s21, 0x5280
	ds_read_b32 v72, v71
	ds_read_b128 v[73:76], v70
	ds_read_b128 v[1:4], v70 offset:16
	v_add3_u32 v87, s21, v62, v63
	v_add3_u32 v88, s21, v64, v65
	ds_read2_b32 v[77:78], v85 offset1:1
	ds_read2_b32 v[79:80], v85 offset0:2 offset1:3
	ds_read2_b32 v[81:82], v85 offset0:4 offset1:5
	;; [unrolled: 1-line block ×3, first 2 shown]
	s_add_i32 s20, s1, s20
	v_add3_u32 v90, s21, v66, v67
	v_add3_u32 v86, s21, v60, v61
	v_add_nc_u32_e32 v89, s20, v50
	v_add_nc_u32_e32 v93, s20, v54
	;; [unrolled: 1-line block ×16, first 2 shown]
	ds_read_b32 v122, v87
	ds_read_b32 v123, v88
	;; [unrolled: 1-line block ×4, first 2 shown]
	ds_read2_b32 v[85:86], v91 offset1:1
	ds_read2_b32 v[87:88], v92 offset1:1
	ds_read_u16 v126, v89 offset:16896
	ds_read2_b32 v[89:90], v94 offset1:1
	ds_read2_b32 v[91:92], v95 offset1:1
	ds_read_u16 v127, v93 offset:17920
	ds_read2_b32 v[93:94], v96 offset1:1
	ds_read2_b32 v[95:96], v97 offset1:1
	;; [unrolled: 1-line block ×6, first 2 shown]
	ds_read_u16 v128, v105 offset:18944
	ds_read2_b32 v[105:106], v106 offset1:1
	ds_read2_b32 v[107:108], v107 offset1:1
	ds_read_u16 v121, v121 offset:19968
	s_add_i32 s19, s1, -8
	v_mov_b32_e32 v109, 0
	s_waitcnt lgkmcnt(23)
	v_ashrrev_i32_e32 v77, s19, v77
	s_waitcnt lgkmcnt(21)
	v_ashrrev_i32_e32 v81, s19, v81
	v_mov_b32_e32 v111, 0
	s_waitcnt lgkmcnt(15)
	v_ashrrev_i32_e32 v85, s19, v85
	s_waitcnt lgkmcnt(13)
	v_bfe_u32 v133, v126, 4, 4
	v_and_b32_e32 v77, 0x3030303, v77
	v_and_b32_e32 v81, 0x3030303, v81
	;; [unrolled: 1-line block ×3, first 2 shown]
	v_and_b32_sdwa v126, v68, v126 dst_sel:DWORD dst_unused:UNUSED_PAD src0_sel:DWORD src1_sel:BYTE_1
	s_waitcnt lgkmcnt(10)
	v_bfe_u32 v135, v127, 4, 4
	v_mul_lo_u32 v133, 0x1010101, v133
	v_dot4c_i32_i8 v109, v77, v73
	v_dot4c_i32_i8 v111, v81, v1
	v_lshrrev_b32_e32 v77, 4, v126
	s_waitcnt lgkmcnt(3)
	v_bfe_u32 v137, v128, 4, 4
	v_and_b32_e32 v81, 15, v126
	v_mul_lo_u32 v126, 0x1010101, v135
	s_waitcnt lgkmcnt(0)
	v_bfe_u32 v139, v121, 4, 4
	v_ashrrev_i32_e32 v93, s19, v93
	v_mul_lo_u32 v137, 0x1010101, v137
	v_ashrrev_i32_e32 v101, s19, v101
	v_mov_b32_e32 v110, 0
	v_mul_lo_u32 v139, 0x1010101, v139
	v_mov_b32_e32 v113, 0
	v_mov_b32_e32 v116, 0
	;; [unrolled: 1-line block ×4, first 2 shown]
	v_ashrrev_i32_e32 v78, s19, v78
	v_ashrrev_i32_e32 v86, s19, v86
	v_and_b32_e32 v85, 0x3030303, v85
	v_mov_b32_e32 v115, 0
	v_ashrrev_i32_e32 v94, s19, v94
	v_and_b32_e32 v93, 0x3030303, v93
	v_mov_b32_e32 v118, 0
	v_ashrrev_i32_e32 v102, s19, v102
	v_and_b32_e32 v101, 0x3030303, v101
	v_dot4c_i32_i8 v110, v133, v73
	v_dot4c_i32_i8 v113, v126, v73
	;; [unrolled: 1-line block ×4, first 2 shown]
	v_ashrrev_i32_e32 v79, s19, v79
	v_and_b32_e32 v78, 0x3030303, v78
	v_ashrrev_i32_e32 v87, s19, v87
	v_ashrrev_i32_e32 v89, s19, v89
	v_and_b32_e32 v86, 0x3030303, v86
	v_dot4c_i32_i8 v112, v85, v73
	v_ashrrev_i32_e32 v82, s19, v82
	v_and_b32_e32 v136, 15, v127
	v_and_b32_sdwa v127, v68, v127 dst_sel:DWORD dst_unused:UNUSED_PAD src0_sel:DWORD src1_sel:BYTE_1
	v_ashrrev_i32_e32 v97, s19, v97
	v_and_b32_e32 v138, 15, v128
	v_and_b32_sdwa v128, v68, v128 dst_sel:DWORD dst_unused:UNUSED_PAD src0_sel:DWORD src1_sel:BYTE_1
	v_and_b32_e32 v140, 15, v121
	v_and_b32_sdwa v121, v68, v121 dst_sel:DWORD dst_unused:UNUSED_PAD src0_sel:DWORD src1_sel:BYTE_1
	v_ashrrev_i32_e32 v95, s19, v95
	v_and_b32_e32 v94, 0x3030303, v94
	v_dot4c_i32_i8 v115, v93, v73
	v_ashrrev_i32_e32 v103, s19, v103
	v_and_b32_e32 v102, 0x3030303, v102
	v_dot4c_i32_i8 v118, v101, v73
	v_dot4c_i32_i8 v110, v133, v74
	;; [unrolled: 1-line block ×5, first 2 shown]
	v_mov_b32_e32 v114, 0
	v_ashrrev_i32_e32 v80, s19, v80
	v_and_b32_e32 v79, 0x3030303, v79
	v_ashrrev_i32_e32 v88, s19, v88
	v_ashrrev_i32_e32 v90, s19, v90
	v_and_b32_e32 v87, 0x3030303, v87
	v_and_b32_e32 v89, 0x3030303, v89
	v_dot4c_i32_i8 v109, v78, v74
	v_dot4c_i32_i8 v112, v86, v74
	v_mov_b32_e32 v117, 0
	v_and_b32_e32 v82, 0x3030303, v82
	v_ashrrev_i32_e32 v98, s19, v98
	v_ashrrev_i32_e32 v105, s19, v105
	v_lshrrev_b32_e32 v135, 4, v127
	v_and_b32_e32 v97, 0x3030303, v97
	v_lshrrev_b32_e32 v141, 4, v128
	v_lshrrev_b32_e32 v142, 4, v121
	v_ashrrev_i32_e32 v96, s19, v96
	v_and_b32_e32 v95, 0x3030303, v95
	v_dot4c_i32_i8 v115, v94, v74
	v_ashrrev_i32_e32 v83, s19, v83
	v_ashrrev_i32_e32 v104, s19, v104
	v_and_b32_e32 v103, 0x3030303, v103
	v_dot4c_i32_i8 v118, v102, v74
	v_dot4c_i32_i8 v110, v133, v75
	;; [unrolled: 1-line block ×5, first 2 shown]
	v_and_b32_e32 v80, 0x3030303, v80
	v_ashrrev_i32_e32 v91, s19, v91
	v_and_b32_e32 v88, 0x3030303, v88
	v_and_b32_e32 v90, 0x3030303, v90
	v_dot4c_i32_i8 v114, v89, v1
	v_dot4c_i32_i8 v109, v79, v75
	v_dot4c_i32_i8 v112, v87, v75
	v_mov_b32_e32 v120, 0
	v_ashrrev_i32_e32 v99, s19, v99
	v_ashrrev_i32_e32 v106, s19, v106
	v_and_b32_e32 v98, 0x3030303, v98
	v_and_b32_e32 v105, 0x3030303, v105
	v_mul_lo_u32 v143, 0x1010101, v77
	v_dot4c_i32_i8 v111, v82, v2
	v_mul_lo_u32 v82, 0x1010101, v135
	v_mul_lo_u32 v85, 0x1010101, v141
	v_dot4c_i32_i8 v117, v97, v1
	v_mul_lo_u32 v89, 0x1010101, v142
	v_and_b32_e32 v96, 0x3030303, v96
	v_dot4c_i32_i8 v115, v95, v75
	v_ashrrev_i32_e32 v84, s19, v84
	v_and_b32_e32 v83, 0x3030303, v83
	v_and_b32_e32 v104, 0x3030303, v104
	v_dot4c_i32_i8 v118, v103, v75
	v_dot4c_i32_i8 v110, v133, v76
	;; [unrolled: 1-line block ×5, first 2 shown]
	v_ashrrev_i32_e32 v92, s19, v92
	v_and_b32_e32 v91, 0x3030303, v91
	v_dot4c_i32_i8 v114, v90, v2
	v_dot4c_i32_i8 v109, v80, v76
	;; [unrolled: 1-line block ×3, first 2 shown]
	v_ashrrev_i32_e32 v100, s19, v100
	v_ashrrev_i32_e32 v107, s19, v107
	v_and_b32_e32 v99, 0x3030303, v99
	v_and_b32_e32 v106, 0x3030303, v106
	v_dot4c_i32_i8 v120, v105, v1
	v_dot4c_i32_i8 v117, v98, v2
	;; [unrolled: 1-line block ×3, first 2 shown]
	v_and_b32_e32 v84, 0x3030303, v84
	v_dot4c_i32_i8 v111, v83, v3
	v_dot4c_i32_i8 v118, v104, v76
	;; [unrolled: 1-line block ×6, first 2 shown]
	v_and_b32_e32 v92, 0x3030303, v92
	v_dot4c_i32_i8 v114, v91, v3
	v_mul_lo_u32 v73, v134, v109
	v_mul_lo_u32 v74, v136, v112
	v_ashrrev_i32_e32 v108, s19, v108
	v_and_b32_e32 v100, 0x3030303, v100
	v_and_b32_e32 v107, 0x3030303, v107
	v_dot4c_i32_i8 v120, v106, v2
	v_dot4c_i32_i8 v117, v99, v3
	v_mul_lo_u32 v75, v138, v115
	v_dot4c_i32_i8 v111, v84, v4
	v_mul_lo_u32 v76, v140, v118
	v_dot4c_i32_i8 v110, v143, v2
	v_dot4c_i32_i8 v113, v82, v2
	;; [unrolled: 1-line block ×4, first 2 shown]
	v_and_b32_e32 v127, 15, v127
	v_dot4c_i32_i8 v114, v92, v4
	v_and_b32_e32 v128, 15, v128
	v_and_b32_e32 v108, 0x3030303, v108
	v_dot4c_i32_i8 v120, v107, v3
	v_dot4c_i32_i8 v117, v100, v4
	v_mad_u64_u32 v[77:78], null, v81, v111, v[73:74]
	v_dot4c_i32_i8 v110, v143, v3
	v_dot4c_i32_i8 v113, v82, v3
	;; [unrolled: 1-line block ×4, first 2 shown]
	v_mad_u64_u32 v[73:74], null, v127, v114, v[74:75]
	v_and_b32_e32 v121, 15, v121
	v_dot4c_i32_i8 v120, v108, v4
	v_mad_u64_u32 v[74:75], null, v128, v117, v[75:76]
	v_dot4c_i32_i8 v110, v143, v4
	v_dot4c_i32_i8 v113, v82, v4
	;; [unrolled: 1-line block ×4, first 2 shown]
	v_mad_u64_u32 v[1:2], null, v121, v120, v[76:77]
	v_cvt_f32_f16_sdwa v129, v125 dst_sel:DWORD dst_unused:UNUSED_PAD src0_sel:WORD_1
	v_cvt_f32_f16_sdwa v130, v122 dst_sel:DWORD dst_unused:UNUSED_PAD src0_sel:WORD_1
	;; [unrolled: 1-line block ×4, first 2 shown]
	v_cvt_f32_i32_e32 v3, v73
	v_cvt_f32_i32_e32 v4, v74
	;; [unrolled: 1-line block ×8, first 2 shown]
	v_mul_f32_e32 v73, v129, v73
	v_mul_f32_e32 v74, v130, v74
	;; [unrolled: 1-line block ×4, first 2 shown]
	v_add_nc_u32_e32 v71, 4, v71
	v_fma_mix_f32 v2, v125, v2, -v73 op_sel_hi:[1,0,0]
	v_fma_mix_f32 v3, v122, v3, -v74 op_sel_hi:[1,0,0]
	;; [unrolled: 1-line block ×4, first 2 shown]
	v_add_nc_u32_e32 v70, 32, v70
	v_fmac_f32_e32 v9, v72, v2
	v_fmac_f32_e32 v44, v72, v3
	;; [unrolled: 1-line block ×4, first 2 shown]
	s_add_i32 s19, s1, 2
	s_cmp_lt_u32 s1, 14
	s_mov_b32 s1, s19
	s_cbranch_scc1 .LBB207_19
; %bb.20:                               ;   in Loop: Header=BB207_5 Depth=1
	s_or_b32 s1, s4, 0x100
	s_cmp_ge_i32 s1, s15
	s_barrier
	buffer_gl0_inv
	s_cbranch_scc1 .LBB207_4
; %bb.21:                               ;   in Loop: Header=BB207_5 Depth=1
	v_add_nc_u32_e32 v1, s5, v46
	v_cmp_gt_i32_e64 s1, s9, v1
	s_and_b32 s19, s0, s1
	s_and_saveexec_b32 s1, s19
	s_cbranch_execz .LBB207_23
; %bb.22:                               ;   in Loop: Header=BB207_5 Depth=1
	v_add_nc_u32_e32 v1, v48, v1
	v_mad_i64_i32 v[1:2], null, v1, 36, v[6:7]
	global_load_dword v1, v[1:2], off offset:4
	s_waitcnt vmcnt(0)
	ds_write_b32 v41, v1
.LBB207_23:                             ;   in Loop: Header=BB207_5 Depth=1
	s_or_b32 exec_lo, exec_lo, s1
	s_and_saveexec_b32 s19, vcc_lo
	s_cbranch_execz .LBB207_26
; %bb.24:                               ;   in Loop: Header=BB207_5 Depth=1
	v_or_b32_e32 v1, 8, v69
	v_cmp_gt_i32_e64 s1, s9, v1
	s_and_b32 s1, s0, s1
	s_and_b32 exec_lo, exec_lo, s1
	s_cbranch_execz .LBB207_26
; %bb.25:                               ;   in Loop: Header=BB207_5 Depth=1
	v_ashrrev_i32_e32 v1, 31, v69
	v_add_co_u32 v2, s1, v48, v69
	v_add_co_ci_u32_e64 v3, null, v51, v1, s1
	v_mad_u64_u32 v[1:2], null, v2, 36, s[2:3]
	v_mad_i32_i24 v2, v3, 36, v2
	global_load_dword v1, v[1:2], off offset:288
	s_waitcnt vmcnt(0)
	v_cvt_f32_f16_e32 v1, v1
	ds_write_b32 v43, v1
.LBB207_26:                             ;   in Loop: Header=BB207_5 Depth=1
	s_or_b32 exec_lo, exec_lo, s19
	v_mov_b32_e32 v70, v15
	v_mov_b32_e32 v71, v42
	s_mov_b32 s1, 16
	s_waitcnt lgkmcnt(0)
	s_barrier
	buffer_gl0_inv
.LBB207_27:                             ;   Parent Loop BB207_5 Depth=1
                                        ; =>  This Inner Loop Header: Depth=2
	s_and_b32 s21, s1, 0x3ffffff8
	s_lshr_b32 s22, s1, 2
	v_lshl_add_u32 v85, s21, 2, v49
	s_and_b32 s21, s22, 0x3ffffffc
	s_and_b32 s20, s1, -16
	s_addk_i32 s21, 0x5280
	ds_read_b32 v72, v71
	ds_read_b128 v[73:76], v70
	ds_read_b128 v[1:4], v70 offset:16
	v_add3_u32 v87, s21, v62, v63
	v_add3_u32 v88, s21, v64, v65
	ds_read2_b32 v[77:78], v85 offset1:1
	ds_read2_b32 v[79:80], v85 offset0:2 offset1:3
	ds_read2_b32 v[81:82], v85 offset0:4 offset1:5
	;; [unrolled: 1-line block ×3, first 2 shown]
	s_add_i32 s20, s1, s20
	v_add3_u32 v90, s21, v66, v67
	v_add3_u32 v86, s21, v60, v61
	v_add_nc_u32_e32 v89, s20, v50
	v_add_nc_u32_e32 v93, s20, v54
	;; [unrolled: 1-line block ×16, first 2 shown]
	ds_read_b32 v122, v87
	ds_read_b32 v123, v88
	;; [unrolled: 1-line block ×4, first 2 shown]
	ds_read2_b32 v[85:86], v91 offset1:1
	ds_read2_b32 v[87:88], v92 offset1:1
	ds_read_u16 v126, v89 offset:16880
	ds_read2_b32 v[89:90], v94 offset1:1
	ds_read2_b32 v[91:92], v95 offset1:1
	ds_read_u16 v127, v93 offset:17904
	ds_read2_b32 v[93:94], v96 offset1:1
	ds_read2_b32 v[95:96], v97 offset1:1
	;; [unrolled: 1-line block ×6, first 2 shown]
	ds_read_u16 v128, v105 offset:18928
	ds_read2_b32 v[105:106], v106 offset1:1
	ds_read2_b32 v[107:108], v107 offset1:1
	ds_read_u16 v121, v121 offset:19952
	s_add_i32 s19, s1, -16
	v_mov_b32_e32 v109, 0
	s_waitcnt lgkmcnt(23)
	v_ashrrev_i32_e32 v77, s19, v77
	s_waitcnt lgkmcnt(21)
	v_ashrrev_i32_e32 v81, s19, v81
	v_mov_b32_e32 v111, 0
	s_waitcnt lgkmcnt(15)
	v_ashrrev_i32_e32 v85, s19, v85
	s_waitcnt lgkmcnt(13)
	v_bfe_u32 v133, v126, 4, 4
	v_and_b32_e32 v77, 0x3030303, v77
	v_and_b32_e32 v81, 0x3030303, v81
	;; [unrolled: 1-line block ×3, first 2 shown]
	v_and_b32_sdwa v126, v68, v126 dst_sel:DWORD dst_unused:UNUSED_PAD src0_sel:DWORD src1_sel:BYTE_1
	s_waitcnt lgkmcnt(10)
	v_bfe_u32 v135, v127, 4, 4
	v_mul_lo_u32 v133, 0x1010101, v133
	v_dot4c_i32_i8 v109, v77, v73
	v_dot4c_i32_i8 v111, v81, v1
	v_lshrrev_b32_e32 v77, 4, v126
	s_waitcnt lgkmcnt(3)
	v_bfe_u32 v137, v128, 4, 4
	v_and_b32_e32 v81, 15, v126
	v_mul_lo_u32 v126, 0x1010101, v135
	s_waitcnt lgkmcnt(0)
	v_bfe_u32 v139, v121, 4, 4
	v_ashrrev_i32_e32 v93, s19, v93
	v_mul_lo_u32 v137, 0x1010101, v137
	v_ashrrev_i32_e32 v101, s19, v101
	v_mov_b32_e32 v110, 0
	v_mul_lo_u32 v139, 0x1010101, v139
	v_mov_b32_e32 v113, 0
	v_mov_b32_e32 v116, 0
	;; [unrolled: 1-line block ×4, first 2 shown]
	v_ashrrev_i32_e32 v78, s19, v78
	v_ashrrev_i32_e32 v86, s19, v86
	v_and_b32_e32 v85, 0x3030303, v85
	v_mov_b32_e32 v115, 0
	v_ashrrev_i32_e32 v94, s19, v94
	v_and_b32_e32 v93, 0x3030303, v93
	v_mov_b32_e32 v118, 0
	v_ashrrev_i32_e32 v102, s19, v102
	v_and_b32_e32 v101, 0x3030303, v101
	v_dot4c_i32_i8 v110, v133, v73
	v_dot4c_i32_i8 v113, v126, v73
	;; [unrolled: 1-line block ×4, first 2 shown]
	v_ashrrev_i32_e32 v79, s19, v79
	v_and_b32_e32 v78, 0x3030303, v78
	v_ashrrev_i32_e32 v87, s19, v87
	v_ashrrev_i32_e32 v89, s19, v89
	v_and_b32_e32 v86, 0x3030303, v86
	v_dot4c_i32_i8 v112, v85, v73
	v_ashrrev_i32_e32 v82, s19, v82
	v_and_b32_e32 v136, 15, v127
	v_and_b32_sdwa v127, v68, v127 dst_sel:DWORD dst_unused:UNUSED_PAD src0_sel:DWORD src1_sel:BYTE_1
	v_ashrrev_i32_e32 v97, s19, v97
	v_and_b32_e32 v138, 15, v128
	v_and_b32_sdwa v128, v68, v128 dst_sel:DWORD dst_unused:UNUSED_PAD src0_sel:DWORD src1_sel:BYTE_1
	v_and_b32_e32 v140, 15, v121
	v_and_b32_sdwa v121, v68, v121 dst_sel:DWORD dst_unused:UNUSED_PAD src0_sel:DWORD src1_sel:BYTE_1
	v_ashrrev_i32_e32 v95, s19, v95
	v_and_b32_e32 v94, 0x3030303, v94
	v_dot4c_i32_i8 v115, v93, v73
	v_ashrrev_i32_e32 v103, s19, v103
	v_and_b32_e32 v102, 0x3030303, v102
	v_dot4c_i32_i8 v118, v101, v73
	v_dot4c_i32_i8 v110, v133, v74
	;; [unrolled: 1-line block ×5, first 2 shown]
	v_mov_b32_e32 v114, 0
	v_ashrrev_i32_e32 v80, s19, v80
	v_and_b32_e32 v79, 0x3030303, v79
	v_ashrrev_i32_e32 v88, s19, v88
	v_ashrrev_i32_e32 v90, s19, v90
	v_and_b32_e32 v87, 0x3030303, v87
	v_and_b32_e32 v89, 0x3030303, v89
	v_dot4c_i32_i8 v109, v78, v74
	v_dot4c_i32_i8 v112, v86, v74
	v_mov_b32_e32 v117, 0
	v_and_b32_e32 v82, 0x3030303, v82
	v_ashrrev_i32_e32 v98, s19, v98
	v_ashrrev_i32_e32 v105, s19, v105
	v_lshrrev_b32_e32 v135, 4, v127
	v_and_b32_e32 v97, 0x3030303, v97
	v_lshrrev_b32_e32 v141, 4, v128
	v_lshrrev_b32_e32 v142, 4, v121
	v_ashrrev_i32_e32 v96, s19, v96
	v_and_b32_e32 v95, 0x3030303, v95
	v_dot4c_i32_i8 v115, v94, v74
	v_ashrrev_i32_e32 v83, s19, v83
	v_ashrrev_i32_e32 v104, s19, v104
	v_and_b32_e32 v103, 0x3030303, v103
	v_dot4c_i32_i8 v118, v102, v74
	v_dot4c_i32_i8 v110, v133, v75
	;; [unrolled: 1-line block ×5, first 2 shown]
	v_and_b32_e32 v80, 0x3030303, v80
	v_ashrrev_i32_e32 v91, s19, v91
	v_and_b32_e32 v88, 0x3030303, v88
	v_and_b32_e32 v90, 0x3030303, v90
	v_dot4c_i32_i8 v114, v89, v1
	v_dot4c_i32_i8 v109, v79, v75
	;; [unrolled: 1-line block ×3, first 2 shown]
	v_mov_b32_e32 v120, 0
	v_ashrrev_i32_e32 v99, s19, v99
	v_ashrrev_i32_e32 v106, s19, v106
	v_and_b32_e32 v98, 0x3030303, v98
	v_and_b32_e32 v105, 0x3030303, v105
	v_mul_lo_u32 v143, 0x1010101, v77
	v_dot4c_i32_i8 v111, v82, v2
	v_mul_lo_u32 v82, 0x1010101, v135
	v_mul_lo_u32 v85, 0x1010101, v141
	v_dot4c_i32_i8 v117, v97, v1
	v_mul_lo_u32 v89, 0x1010101, v142
	v_and_b32_e32 v96, 0x3030303, v96
	v_dot4c_i32_i8 v115, v95, v75
	v_ashrrev_i32_e32 v84, s19, v84
	v_and_b32_e32 v83, 0x3030303, v83
	v_and_b32_e32 v104, 0x3030303, v104
	v_dot4c_i32_i8 v118, v103, v75
	v_dot4c_i32_i8 v110, v133, v76
	;; [unrolled: 1-line block ×5, first 2 shown]
	v_ashrrev_i32_e32 v92, s19, v92
	v_and_b32_e32 v91, 0x3030303, v91
	v_dot4c_i32_i8 v114, v90, v2
	v_dot4c_i32_i8 v109, v80, v76
	v_dot4c_i32_i8 v112, v88, v76
	v_ashrrev_i32_e32 v100, s19, v100
	v_ashrrev_i32_e32 v107, s19, v107
	v_and_b32_e32 v99, 0x3030303, v99
	v_and_b32_e32 v106, 0x3030303, v106
	v_dot4c_i32_i8 v120, v105, v1
	v_dot4c_i32_i8 v117, v98, v2
	;; [unrolled: 1-line block ×3, first 2 shown]
	v_and_b32_e32 v84, 0x3030303, v84
	v_dot4c_i32_i8 v111, v83, v3
	v_dot4c_i32_i8 v118, v104, v76
	;; [unrolled: 1-line block ×6, first 2 shown]
	v_and_b32_e32 v92, 0x3030303, v92
	v_dot4c_i32_i8 v114, v91, v3
	v_mul_lo_u32 v73, v134, v109
	v_mul_lo_u32 v74, v136, v112
	v_ashrrev_i32_e32 v108, s19, v108
	v_and_b32_e32 v100, 0x3030303, v100
	v_and_b32_e32 v107, 0x3030303, v107
	v_dot4c_i32_i8 v120, v106, v2
	v_dot4c_i32_i8 v117, v99, v3
	v_mul_lo_u32 v75, v138, v115
	v_dot4c_i32_i8 v111, v84, v4
	v_mul_lo_u32 v76, v140, v118
	v_dot4c_i32_i8 v110, v143, v2
	v_dot4c_i32_i8 v113, v82, v2
	;; [unrolled: 1-line block ×4, first 2 shown]
	v_and_b32_e32 v127, 15, v127
	v_dot4c_i32_i8 v114, v92, v4
	v_and_b32_e32 v128, 15, v128
	v_and_b32_e32 v108, 0x3030303, v108
	v_dot4c_i32_i8 v120, v107, v3
	v_dot4c_i32_i8 v117, v100, v4
	v_mad_u64_u32 v[77:78], null, v81, v111, v[73:74]
	v_dot4c_i32_i8 v110, v143, v3
	v_dot4c_i32_i8 v113, v82, v3
	;; [unrolled: 1-line block ×4, first 2 shown]
	v_mad_u64_u32 v[73:74], null, v127, v114, v[74:75]
	v_and_b32_e32 v121, 15, v121
	v_dot4c_i32_i8 v120, v108, v4
	v_mad_u64_u32 v[74:75], null, v128, v117, v[75:76]
	v_dot4c_i32_i8 v110, v143, v4
	v_dot4c_i32_i8 v113, v82, v4
	;; [unrolled: 1-line block ×4, first 2 shown]
	v_mad_u64_u32 v[1:2], null, v121, v120, v[76:77]
	v_cvt_f32_f16_sdwa v129, v125 dst_sel:DWORD dst_unused:UNUSED_PAD src0_sel:WORD_1
	v_cvt_f32_f16_sdwa v130, v122 dst_sel:DWORD dst_unused:UNUSED_PAD src0_sel:WORD_1
	;; [unrolled: 1-line block ×4, first 2 shown]
	v_cvt_f32_i32_e32 v3, v73
	v_cvt_f32_i32_e32 v4, v74
	;; [unrolled: 1-line block ×8, first 2 shown]
	v_mul_f32_e32 v73, v129, v73
	v_mul_f32_e32 v74, v130, v74
	;; [unrolled: 1-line block ×4, first 2 shown]
	v_add_nc_u32_e32 v71, 4, v71
	v_fma_mix_f32 v2, v125, v2, -v73 op_sel_hi:[1,0,0]
	v_fma_mix_f32 v3, v122, v3, -v74 op_sel_hi:[1,0,0]
	;; [unrolled: 1-line block ×4, first 2 shown]
	v_add_nc_u32_e32 v70, 32, v70
	v_fmac_f32_e32 v9, v72, v2
	v_fmac_f32_e32 v44, v72, v3
	v_fmac_f32_e32 v39, v72, v4
	v_fmac_f32_e32 v5, v72, v1
	s_add_i32 s19, s1, 2
	s_cmp_lt_u32 s1, 22
	s_mov_b32 s1, s19
	s_cbranch_scc1 .LBB207_27
; %bb.28:                               ;   in Loop: Header=BB207_5 Depth=1
	s_or_b32 s1, s4, 0x180
	s_cmp_ge_i32 s1, s15
	s_barrier
	buffer_gl0_inv
	s_cbranch_scc1 .LBB207_4
; %bb.29:                               ;   in Loop: Header=BB207_5 Depth=1
	v_add_nc_u32_e32 v1, s5, v47
	v_cmp_gt_i32_e64 s1, s9, v1
	s_and_b32 s4, s0, s1
	s_and_saveexec_b32 s1, s4
	s_cbranch_execz .LBB207_31
; %bb.30:                               ;   in Loop: Header=BB207_5 Depth=1
	v_add_nc_u32_e32 v1, v48, v1
	v_mad_i64_i32 v[1:2], null, v1, 36, v[6:7]
	global_load_dword v1, v[1:2], off offset:4
	s_waitcnt vmcnt(0)
	ds_write_b32 v41, v1
.LBB207_31:                             ;   in Loop: Header=BB207_5 Depth=1
	s_or_b32 exec_lo, exec_lo, s1
	s_and_saveexec_b32 s4, vcc_lo
	s_cbranch_execz .LBB207_34
; %bb.32:                               ;   in Loop: Header=BB207_5 Depth=1
	v_or_b32_e32 v1, 12, v69
	v_cmp_gt_i32_e64 s1, s9, v1
	s_and_b32 s1, s0, s1
	s_and_b32 exec_lo, exec_lo, s1
	s_cbranch_execz .LBB207_34
; %bb.33:                               ;   in Loop: Header=BB207_5 Depth=1
	v_ashrrev_i32_e32 v1, 31, v69
	v_add_co_u32 v2, s1, v48, v69
	v_add_co_ci_u32_e64 v3, null, v51, v1, s1
	v_mad_u64_u32 v[1:2], null, v2, 36, s[2:3]
	v_mad_i32_i24 v2, v3, 36, v2
	global_load_dword v1, v[1:2], off offset:432
	s_waitcnt vmcnt(0)
	v_cvt_f32_f16_e32 v1, v1
	ds_write_b32 v43, v1
.LBB207_34:                             ;   in Loop: Header=BB207_5 Depth=1
	s_or_b32 exec_lo, exec_lo, s4
	v_mov_b32_e32 v69, v15
	v_mov_b32_e32 v70, v42
	s_mov_b32 s1, 24
	s_waitcnt lgkmcnt(0)
	s_barrier
	buffer_gl0_inv
.LBB207_35:                             ;   Parent Loop BB207_5 Depth=1
                                        ; =>  This Inner Loop Header: Depth=2
	s_and_b32 s19, s1, 0x3ffffff8
	s_lshr_b32 s20, s1, 2
	v_lshl_add_u32 v84, s19, 2, v49
	s_and_b32 s19, s20, 0x3ffffffc
	s_and_b32 s5, s1, -16
	s_addk_i32 s19, 0x5280
	ds_read_b32 v71, v70
	ds_read_b128 v[72:75], v69
	ds_read_b128 v[1:4], v69 offset:16
	v_add3_u32 v86, s19, v62, v63
	v_add3_u32 v87, s19, v64, v65
	ds_read2_b32 v[76:77], v84 offset1:1
	ds_read2_b32 v[78:79], v84 offset0:2 offset1:3
	ds_read2_b32 v[80:81], v84 offset0:4 offset1:5
	;; [unrolled: 1-line block ×3, first 2 shown]
	s_add_i32 s5, s1, s5
	v_add3_u32 v89, s19, v66, v67
	v_add3_u32 v85, s19, v60, v61
	v_add_nc_u32_e32 v88, s5, v50
	v_add_nc_u32_e32 v92, s5, v54
	;; [unrolled: 1-line block ×16, first 2 shown]
	ds_read_b32 v121, v86
	ds_read_b32 v122, v87
	;; [unrolled: 1-line block ×4, first 2 shown]
	ds_read2_b32 v[84:85], v90 offset1:1
	ds_read2_b32 v[86:87], v91 offset1:1
	ds_read_u16 v125, v88 offset:16880
	ds_read2_b32 v[88:89], v93 offset1:1
	ds_read2_b32 v[90:91], v94 offset1:1
	ds_read_u16 v126, v92 offset:17904
	ds_read2_b32 v[92:93], v95 offset1:1
	ds_read2_b32 v[94:95], v96 offset1:1
	;; [unrolled: 1-line block ×6, first 2 shown]
	ds_read_u16 v127, v104 offset:18928
	ds_read2_b32 v[104:105], v105 offset1:1
	ds_read2_b32 v[106:107], v106 offset1:1
	ds_read_u16 v120, v120 offset:19952
	s_sub_i32 s4, s1, 24
	v_mov_b32_e32 v108, 0
	s_waitcnt lgkmcnt(23)
	v_ashrrev_i32_e32 v76, s4, v76
	s_waitcnt lgkmcnt(21)
	v_ashrrev_i32_e32 v80, s4, v80
	v_mov_b32_e32 v110, 0
	s_waitcnt lgkmcnt(15)
	v_ashrrev_i32_e32 v84, s4, v84
	s_waitcnt lgkmcnt(13)
	v_bfe_u32 v132, v125, 4, 4
	v_and_b32_e32 v76, 0x3030303, v76
	v_and_b32_e32 v80, 0x3030303, v80
	;; [unrolled: 1-line block ×3, first 2 shown]
	v_and_b32_sdwa v125, v68, v125 dst_sel:DWORD dst_unused:UNUSED_PAD src0_sel:DWORD src1_sel:BYTE_1
	s_waitcnt lgkmcnt(10)
	v_bfe_u32 v134, v126, 4, 4
	v_mul_lo_u32 v132, 0x1010101, v132
	v_dot4c_i32_i8 v108, v76, v72
	v_dot4c_i32_i8 v110, v80, v1
	v_lshrrev_b32_e32 v76, 4, v125
	s_waitcnt lgkmcnt(3)
	v_bfe_u32 v136, v127, 4, 4
	v_and_b32_e32 v80, 15, v125
	v_mul_lo_u32 v125, 0x1010101, v134
	s_waitcnt lgkmcnt(0)
	v_bfe_u32 v138, v120, 4, 4
	v_ashrrev_i32_e32 v92, s4, v92
	v_mul_lo_u32 v136, 0x1010101, v136
	v_ashrrev_i32_e32 v100, s4, v100
	v_mov_b32_e32 v109, 0
	v_mul_lo_u32 v138, 0x1010101, v138
	v_mov_b32_e32 v112, 0
	v_mov_b32_e32 v115, 0
	;; [unrolled: 1-line block ×4, first 2 shown]
	v_ashrrev_i32_e32 v77, s4, v77
	v_ashrrev_i32_e32 v85, s4, v85
	v_and_b32_e32 v84, 0x3030303, v84
	v_mov_b32_e32 v114, 0
	v_ashrrev_i32_e32 v93, s4, v93
	v_and_b32_e32 v92, 0x3030303, v92
	v_mov_b32_e32 v117, 0
	v_ashrrev_i32_e32 v101, s4, v101
	v_and_b32_e32 v100, 0x3030303, v100
	v_dot4c_i32_i8 v109, v132, v72
	v_dot4c_i32_i8 v112, v125, v72
	;; [unrolled: 1-line block ×4, first 2 shown]
	v_ashrrev_i32_e32 v78, s4, v78
	v_and_b32_e32 v77, 0x3030303, v77
	v_ashrrev_i32_e32 v86, s4, v86
	v_ashrrev_i32_e32 v88, s4, v88
	v_and_b32_e32 v85, 0x3030303, v85
	v_dot4c_i32_i8 v111, v84, v72
	v_ashrrev_i32_e32 v81, s4, v81
	v_and_b32_e32 v135, 15, v126
	v_and_b32_sdwa v126, v68, v126 dst_sel:DWORD dst_unused:UNUSED_PAD src0_sel:DWORD src1_sel:BYTE_1
	v_ashrrev_i32_e32 v96, s4, v96
	v_and_b32_e32 v137, 15, v127
	v_and_b32_sdwa v127, v68, v127 dst_sel:DWORD dst_unused:UNUSED_PAD src0_sel:DWORD src1_sel:BYTE_1
	v_and_b32_e32 v139, 15, v120
	v_and_b32_sdwa v120, v68, v120 dst_sel:DWORD dst_unused:UNUSED_PAD src0_sel:DWORD src1_sel:BYTE_1
	v_ashrrev_i32_e32 v94, s4, v94
	v_and_b32_e32 v93, 0x3030303, v93
	v_dot4c_i32_i8 v114, v92, v72
	v_ashrrev_i32_e32 v102, s4, v102
	v_and_b32_e32 v101, 0x3030303, v101
	v_dot4c_i32_i8 v117, v100, v72
	v_dot4c_i32_i8 v109, v132, v73
	;; [unrolled: 1-line block ×5, first 2 shown]
	v_mov_b32_e32 v113, 0
	v_ashrrev_i32_e32 v79, s4, v79
	v_and_b32_e32 v78, 0x3030303, v78
	v_ashrrev_i32_e32 v87, s4, v87
	v_ashrrev_i32_e32 v89, s4, v89
	v_and_b32_e32 v86, 0x3030303, v86
	v_and_b32_e32 v88, 0x3030303, v88
	v_dot4c_i32_i8 v108, v77, v73
	v_dot4c_i32_i8 v111, v85, v73
	v_mov_b32_e32 v116, 0
	v_and_b32_e32 v81, 0x3030303, v81
	v_ashrrev_i32_e32 v97, s4, v97
	v_ashrrev_i32_e32 v104, s4, v104
	v_lshrrev_b32_e32 v134, 4, v126
	v_and_b32_e32 v96, 0x3030303, v96
	v_lshrrev_b32_e32 v140, 4, v127
	v_lshrrev_b32_e32 v141, 4, v120
	v_ashrrev_i32_e32 v95, s4, v95
	v_and_b32_e32 v94, 0x3030303, v94
	v_dot4c_i32_i8 v114, v93, v73
	v_ashrrev_i32_e32 v82, s4, v82
	v_ashrrev_i32_e32 v103, s4, v103
	v_and_b32_e32 v102, 0x3030303, v102
	v_dot4c_i32_i8 v117, v101, v73
	v_dot4c_i32_i8 v109, v132, v74
	v_dot4c_i32_i8 v112, v125, v74
	v_dot4c_i32_i8 v115, v136, v74
	v_dot4c_i32_i8 v118, v138, v74
	v_and_b32_e32 v79, 0x3030303, v79
	v_ashrrev_i32_e32 v90, s4, v90
	v_and_b32_e32 v87, 0x3030303, v87
	v_and_b32_e32 v89, 0x3030303, v89
	v_dot4c_i32_i8 v113, v88, v1
	v_dot4c_i32_i8 v108, v78, v74
	;; [unrolled: 1-line block ×3, first 2 shown]
	v_mov_b32_e32 v119, 0
	v_ashrrev_i32_e32 v98, s4, v98
	v_ashrrev_i32_e32 v105, s4, v105
	v_and_b32_e32 v97, 0x3030303, v97
	v_and_b32_e32 v104, 0x3030303, v104
	v_mul_lo_u32 v142, 0x1010101, v76
	v_dot4c_i32_i8 v110, v81, v2
	v_mul_lo_u32 v81, 0x1010101, v134
	v_mul_lo_u32 v84, 0x1010101, v140
	v_dot4c_i32_i8 v116, v96, v1
	v_mul_lo_u32 v88, 0x1010101, v141
	v_and_b32_e32 v95, 0x3030303, v95
	v_dot4c_i32_i8 v114, v94, v74
	v_ashrrev_i32_e32 v83, s4, v83
	v_and_b32_e32 v82, 0x3030303, v82
	v_and_b32_e32 v103, 0x3030303, v103
	v_dot4c_i32_i8 v117, v102, v74
	v_dot4c_i32_i8 v109, v132, v75
	;; [unrolled: 1-line block ×5, first 2 shown]
	v_ashrrev_i32_e32 v91, s4, v91
	v_and_b32_e32 v90, 0x3030303, v90
	v_dot4c_i32_i8 v113, v89, v2
	v_dot4c_i32_i8 v108, v79, v75
	;; [unrolled: 1-line block ×3, first 2 shown]
	v_ashrrev_i32_e32 v99, s4, v99
	v_ashrrev_i32_e32 v106, s4, v106
	v_and_b32_e32 v98, 0x3030303, v98
	v_and_b32_e32 v105, 0x3030303, v105
	v_dot4c_i32_i8 v119, v104, v1
	v_dot4c_i32_i8 v116, v97, v2
	;; [unrolled: 1-line block ×3, first 2 shown]
	v_and_b32_e32 v83, 0x3030303, v83
	v_dot4c_i32_i8 v110, v82, v3
	v_dot4c_i32_i8 v117, v103, v75
	;; [unrolled: 1-line block ×6, first 2 shown]
	v_and_b32_e32 v91, 0x3030303, v91
	v_dot4c_i32_i8 v113, v90, v3
	v_mul_lo_u32 v72, v133, v108
	v_mul_lo_u32 v73, v135, v111
	v_ashrrev_i32_e32 v107, s4, v107
	v_and_b32_e32 v99, 0x3030303, v99
	v_and_b32_e32 v106, 0x3030303, v106
	v_dot4c_i32_i8 v119, v105, v2
	v_dot4c_i32_i8 v116, v98, v3
	v_mul_lo_u32 v74, v137, v114
	v_dot4c_i32_i8 v110, v83, v4
	v_mul_lo_u32 v75, v139, v117
	v_dot4c_i32_i8 v109, v142, v2
	v_dot4c_i32_i8 v112, v81, v2
	;; [unrolled: 1-line block ×4, first 2 shown]
	v_and_b32_e32 v126, 15, v126
	v_dot4c_i32_i8 v113, v91, v4
	v_and_b32_e32 v127, 15, v127
	v_and_b32_e32 v107, 0x3030303, v107
	v_dot4c_i32_i8 v119, v106, v3
	v_dot4c_i32_i8 v116, v99, v4
	v_mad_u64_u32 v[76:77], null, v80, v110, v[72:73]
	v_dot4c_i32_i8 v109, v142, v3
	v_dot4c_i32_i8 v112, v81, v3
	v_dot4c_i32_i8 v115, v84, v3
	v_dot4c_i32_i8 v118, v88, v3
	v_mad_u64_u32 v[72:73], null, v126, v113, v[73:74]
	v_and_b32_e32 v120, 15, v120
	v_dot4c_i32_i8 v119, v107, v4
	v_mad_u64_u32 v[73:74], null, v127, v116, v[74:75]
	v_dot4c_i32_i8 v109, v142, v4
	v_dot4c_i32_i8 v112, v81, v4
	;; [unrolled: 1-line block ×4, first 2 shown]
	v_mad_u64_u32 v[1:2], null, v120, v119, v[75:76]
	v_cvt_f32_f16_sdwa v128, v124 dst_sel:DWORD dst_unused:UNUSED_PAD src0_sel:WORD_1
	v_cvt_f32_f16_sdwa v129, v121 dst_sel:DWORD dst_unused:UNUSED_PAD src0_sel:WORD_1
	v_cvt_f32_f16_sdwa v130, v122 dst_sel:DWORD dst_unused:UNUSED_PAD src0_sel:WORD_1
	v_cvt_f32_f16_sdwa v131, v123 dst_sel:DWORD dst_unused:UNUSED_PAD src0_sel:WORD_1
	v_cvt_f32_i32_e32 v3, v72
	v_cvt_f32_i32_e32 v4, v73
	;; [unrolled: 1-line block ×8, first 2 shown]
	v_mul_f32_e32 v72, v128, v72
	v_mul_f32_e32 v73, v129, v73
	;; [unrolled: 1-line block ×4, first 2 shown]
	v_add_nc_u32_e32 v70, 4, v70
	v_fma_mix_f32 v2, v124, v2, -v72 op_sel_hi:[1,0,0]
	v_fma_mix_f32 v3, v121, v3, -v73 op_sel_hi:[1,0,0]
	v_fma_mix_f32 v4, v122, v4, -v74 op_sel_hi:[1,0,0]
	v_fma_mix_f32 v1, v123, v1, -v75 op_sel_hi:[1,0,0]
	v_add_nc_u32_e32 v69, 32, v69
	v_fmac_f32_e32 v9, v71, v2
	v_fmac_f32_e32 v44, v71, v3
	;; [unrolled: 1-line block ×4, first 2 shown]
	s_add_i32 s4, s1, 2
	s_cmp_lt_u32 s1, 30
	s_mov_b32 s1, s4
	s_cbranch_scc1 .LBB207_35
; %bb.36:                               ;   in Loop: Header=BB207_5 Depth=1
	s_barrier
	buffer_gl0_inv
	s_branch .LBB207_4
.LBB207_37:
	s_mul_i32 s0, s11, s8
	s_waitcnt vmcnt(0)
	v_cmp_gt_i32_e32 vcc_lo, s0, v8
	s_and_saveexec_b32 s0, vcc_lo
	s_cbranch_execz .LBB207_46
; %bb.38:
	v_add_nc_u32_e32 v1, s6, v0
	v_mul_lo_u32 v0, v8, s10
	s_mov_b32 s0, exec_lo
	v_cmpx_gt_u32_e64 s10, v1
	s_cbranch_execz .LBB207_40
; %bb.39:
	v_add_nc_u32_e32 v2, v0, v1
	v_mov_b32_e32 v3, 0
	v_cvt_f16_f32_e32 v4, v9
	v_lshlrev_b64 v[2:3], 1, v[2:3]
	v_add_co_u32 v2, vcc_lo, s12, v2
	v_add_co_ci_u32_e64 v3, null, s13, v3, vcc_lo
	global_store_short v[2:3], v4, off
.LBB207_40:
	s_or_b32 exec_lo, exec_lo, s0
	v_add_nc_u32_e32 v2, 32, v1
	s_mov_b32 s0, exec_lo
	v_cmpx_gt_u32_e64 s10, v2
	s_cbranch_execz .LBB207_42
; %bb.41:
	v_add_nc_u32_e32 v2, v0, v2
	v_mov_b32_e32 v3, 0
	v_cvt_f16_f32_e32 v4, v44
	v_lshlrev_b64 v[2:3], 1, v[2:3]
	v_add_co_u32 v2, vcc_lo, s12, v2
	v_add_co_ci_u32_e64 v3, null, s13, v3, vcc_lo
	global_store_short v[2:3], v4, off
.LBB207_42:
	s_or_b32 exec_lo, exec_lo, s0
	v_add_nc_u32_e32 v2, 64, v1
	;; [unrolled: 14-line block ×3, first 2 shown]
	v_cmp_gt_u32_e32 vcc_lo, s10, v1
	s_and_b32 exec_lo, exec_lo, vcc_lo
	s_cbranch_execz .LBB207_46
; %bb.45:
	v_add_nc_u32_e32 v0, v0, v1
	v_mov_b32_e32 v1, 0
	v_cvt_f16_f32_e32 v2, v5
	v_lshlrev_b64 v[0:1], 1, v[0:1]
	v_add_co_u32 v0, vcc_lo, s12, v0
	v_add_co_ci_u32_e64 v1, null, s13, v1, vcc_lo
	global_store_short v[0:1], v2, off
.LBB207_46:
	s_endpgm
	.section	.rodata,"a",@progbits
	.p2align	6, 0x0
	.amdhsa_kernel _ZL8moe_q2_KIN3c104HalfELb0EEvPKvS3_PT_PKiS7_S7_iiiiiii
		.amdhsa_group_segment_fixed_size 23328
		.amdhsa_private_segment_fixed_size 0
		.amdhsa_kernarg_size 76
		.amdhsa_user_sgpr_count 6
		.amdhsa_user_sgpr_private_segment_buffer 1
		.amdhsa_user_sgpr_dispatch_ptr 0
		.amdhsa_user_sgpr_queue_ptr 0
		.amdhsa_user_sgpr_kernarg_segment_ptr 1
		.amdhsa_user_sgpr_dispatch_id 0
		.amdhsa_user_sgpr_flat_scratch_init 0
		.amdhsa_user_sgpr_private_segment_size 0
		.amdhsa_wavefront_size32 1
		.amdhsa_uses_dynamic_stack 0
		.amdhsa_system_sgpr_private_segment_wavefront_offset 0
		.amdhsa_system_sgpr_workgroup_id_x 1
		.amdhsa_system_sgpr_workgroup_id_y 1
		.amdhsa_system_sgpr_workgroup_id_z 0
		.amdhsa_system_sgpr_workgroup_info 0
		.amdhsa_system_vgpr_workitem_id 1
		.amdhsa_next_free_vgpr 144
		.amdhsa_next_free_sgpr 23
		.amdhsa_reserve_vcc 1
		.amdhsa_reserve_flat_scratch 0
		.amdhsa_float_round_mode_32 0
		.amdhsa_float_round_mode_16_64 0
		.amdhsa_float_denorm_mode_32 3
		.amdhsa_float_denorm_mode_16_64 3
		.amdhsa_dx10_clamp 1
		.amdhsa_ieee_mode 1
		.amdhsa_fp16_overflow 0
		.amdhsa_workgroup_processor_mode 1
		.amdhsa_memory_ordered 1
		.amdhsa_forward_progress 1
		.amdhsa_shared_vgpr_count 0
		.amdhsa_exception_fp_ieee_invalid_op 0
		.amdhsa_exception_fp_denorm_src 0
		.amdhsa_exception_fp_ieee_div_zero 0
		.amdhsa_exception_fp_ieee_overflow 0
		.amdhsa_exception_fp_ieee_underflow 0
		.amdhsa_exception_fp_ieee_inexact 0
		.amdhsa_exception_int_div_zero 0
	.end_amdhsa_kernel
	.section	.text._ZL8moe_q2_KIN3c104HalfELb0EEvPKvS3_PT_PKiS7_S7_iiiiiii,"axG",@progbits,_ZL8moe_q2_KIN3c104HalfELb0EEvPKvS3_PT_PKiS7_S7_iiiiiii,comdat
.Lfunc_end207:
	.size	_ZL8moe_q2_KIN3c104HalfELb0EEvPKvS3_PT_PKiS7_S7_iiiiiii, .Lfunc_end207-_ZL8moe_q2_KIN3c104HalfELb0EEvPKvS3_PT_PKiS7_S7_iiiiiii
                                        ; -- End function
	.set _ZL8moe_q2_KIN3c104HalfELb0EEvPKvS3_PT_PKiS7_S7_iiiiiii.num_vgpr, 144
	.set _ZL8moe_q2_KIN3c104HalfELb0EEvPKvS3_PT_PKiS7_S7_iiiiiii.num_agpr, 0
	.set _ZL8moe_q2_KIN3c104HalfELb0EEvPKvS3_PT_PKiS7_S7_iiiiiii.numbered_sgpr, 23
	.set _ZL8moe_q2_KIN3c104HalfELb0EEvPKvS3_PT_PKiS7_S7_iiiiiii.num_named_barrier, 0
	.set _ZL8moe_q2_KIN3c104HalfELb0EEvPKvS3_PT_PKiS7_S7_iiiiiii.private_seg_size, 0
	.set _ZL8moe_q2_KIN3c104HalfELb0EEvPKvS3_PT_PKiS7_S7_iiiiiii.uses_vcc, 1
	.set _ZL8moe_q2_KIN3c104HalfELb0EEvPKvS3_PT_PKiS7_S7_iiiiiii.uses_flat_scratch, 0
	.set _ZL8moe_q2_KIN3c104HalfELb0EEvPKvS3_PT_PKiS7_S7_iiiiiii.has_dyn_sized_stack, 0
	.set _ZL8moe_q2_KIN3c104HalfELb0EEvPKvS3_PT_PKiS7_S7_iiiiiii.has_recursion, 0
	.set _ZL8moe_q2_KIN3c104HalfELb0EEvPKvS3_PT_PKiS7_S7_iiiiiii.has_indirect_call, 0
	.section	.AMDGPU.csdata,"",@progbits
; Kernel info:
; codeLenInByte = 9468
; TotalNumSgprs: 25
; NumVgprs: 144
; ScratchSize: 0
; MemoryBound: 0
; FloatMode: 240
; IeeeMode: 1
; LDSByteSize: 23328 bytes/workgroup (compile time only)
; SGPRBlocks: 0
; VGPRBlocks: 17
; NumSGPRsForWavesPerEU: 25
; NumVGPRsForWavesPerEU: 144
; Occupancy: 7
; WaveLimiterHint : 1
; COMPUTE_PGM_RSRC2:SCRATCH_EN: 0
; COMPUTE_PGM_RSRC2:USER_SGPR: 6
; COMPUTE_PGM_RSRC2:TRAP_HANDLER: 0
; COMPUTE_PGM_RSRC2:TGID_X_EN: 1
; COMPUTE_PGM_RSRC2:TGID_Y_EN: 1
; COMPUTE_PGM_RSRC2:TGID_Z_EN: 0
; COMPUTE_PGM_RSRC2:TIDIG_COMP_CNT: 1
	.section	.text._ZL8moe_q2_KIN3c104HalfELb1EEvPKvS3_PT_PKiS7_S7_iiiiiii,"axG",@progbits,_ZL8moe_q2_KIN3c104HalfELb1EEvPKvS3_PT_PKiS7_S7_iiiiiii,comdat
	.globl	_ZL8moe_q2_KIN3c104HalfELb1EEvPKvS3_PT_PKiS7_S7_iiiiiii ; -- Begin function _ZL8moe_q2_KIN3c104HalfELb1EEvPKvS3_PT_PKiS7_S7_iiiiiii
	.p2align	8
	.type	_ZL8moe_q2_KIN3c104HalfELb1EEvPKvS3_PT_PKiS7_S7_iiiiiii,@function
_ZL8moe_q2_KIN3c104HalfELb1EEvPKvS3_PT_PKiS7_S7_iiiiiii: ; @_ZL8moe_q2_KIN3c104HalfELb1EEvPKvS3_PT_PKiS7_S7_iiiiiii
; %bb.0:
	s_load_dwordx4 s[0:3], s[4:5], 0x18
	s_mov_b32 s8, s7
	s_mov_b32 s9, 0
	s_lshl_b64 s[10:11], s[8:9], 2
	s_waitcnt lgkmcnt(0)
	s_add_u32 s2, s2, s10
	s_addc_u32 s3, s3, s11
	s_load_dword s7, s[2:3], 0x0
	s_waitcnt lgkmcnt(0)
	s_cmpk_gt_u32 s7, 0xff
	s_cbranch_scc1 .LBB208_46
; %bb.1:
	s_load_dwordx2 s[2:3], s[4:5], 0x28
	s_waitcnt lgkmcnt(0)
	s_load_dword s3, s[2:3], 0x0
	s_lshl_b32 s2, s8, 3
	s_waitcnt lgkmcnt(0)
	s_cmp_gt_u32 s2, s3
	s_cbranch_scc1 .LBB208_46
; %bb.2:
	v_add_nc_u32_e32 v24, s2, v1
	v_mov_b32_e32 v25, 0
	s_lshl_b32 s6, s6, 7
	v_lshlrev_b64 v[2:3], 2, v[24:25]
	v_mov_b32_e32 v58, v25
	v_mov_b32_e32 v62, v25
	;; [unrolled: 1-line block ×3, first 2 shown]
	v_add_co_u32 v2, vcc_lo, s0, v2
	v_add_co_ci_u32_e64 v3, null, s1, v3, vcc_lo
	global_load_dword v28, v[2:3], off
	s_clause 0x1
	s_load_dwordx8 s[8:15], s[4:5], 0x30
	s_load_dwordx2 s[16:17], s[4:5], 0x10
	s_waitcnt lgkmcnt(0)
	s_cmpk_lt_i32 s9, 0x100
	s_cbranch_scc1 .LBB208_37
; %bb.3:
	s_load_dwordx4 s[0:3], s[4:5], 0x0
	s_ashr_i32 s4, s9, 31
	s_ashr_i32 s5, s12, 31
	s_lshr_b32 s4, s4, 24
	s_lshr_b32 s5, s5, 27
	s_add_i32 s4, s9, s4
	s_mul_i32 s15, s7, s8
	s_ashr_i32 s7, s4, 8
	s_add_i32 s4, s12, s5
	s_mul_i32 s5, s7, s6
	s_ashr_i32 s18, s15, 31
	s_ashr_i32 s8, s4, 5
	s_mul_hi_i32 s4, s5, 0x54
	s_mulk_i32 s5, 0x54
	v_add_nc_u32_e32 v3, 8, v1
	v_lshlrev_b32_e32 v2, 2, v0
	v_add_nc_u32_e32 v4, 16, v1
	v_lshlrev_b32_e32 v6, 4, v1
	v_lshrrev_b32_e32 v7, 1, v0
	v_add_nc_u32_e32 v8, 0x70, v1
	s_waitcnt lgkmcnt(0)
	s_add_u32 s0, s0, s15
	s_addc_u32 s1, s1, s18
	s_add_u32 s12, s0, s5
	s_addc_u32 s15, s1, s4
	s_not_b32 s0, s6
	v_add_nc_u32_e32 v7, v7, v6
	s_add_i32 s0, s10, s0
	s_abs_i32 s1, s14
	v_min_i32_e32 v5, s0, v1
	v_min_i32_e32 v3, s0, v3
	;; [unrolled: 1-line block ×3, first 2 shown]
	v_and_b32_e32 v7, 0x7f, v7
	s_sub_i32 s4, 0, s1
	v_mul_lo_u32 v32, v5, s7
	v_mad_u64_u32 v[9:10], null, 0x84, v5, v[2:3]
	v_add_nc_u32_e32 v5, 24, v1
	v_mul_lo_u32 v33, v3, s7
	v_mad_u64_u32 v[10:11], null, 0x84, v3, v[2:3]
	v_mul_lo_u32 v34, v4, s7
	v_min_i32_e32 v3, s0, v5
	v_add_nc_u32_e32 v5, 32, v1
	v_min_i32_e32 v7, s0, v7
	v_lshrrev_b32_e32 v47, 3, v0
	s_waitcnt vmcnt(0)
	v_sub_nc_u32_e32 v57, 0, v28
	v_mad_u64_u32 v[11:12], null, 0x84, v4, v[2:3]
	v_add_nc_u32_e32 v4, 40, v1
	v_mul_lo_u32 v35, v3, s7
	v_min_i32_e32 v5, s0, v5
	v_mad_u64_u32 v[12:13], null, 0x84, v3, v[2:3]
	v_min_i32_e32 v3, s0, v4
	v_add_nc_u32_e32 v4, 48, v1
	v_mul_lo_u32 v36, v5, s7
	v_max_i32_e32 v57, v28, v57
	v_and_b32_e32 v48, 1, v0
	v_mad_u64_u32 v[13:14], null, 0x84, v5, v[2:3]
	v_mul_lo_u32 v37, v3, s7
	v_min_i32_e32 v4, s0, v4
	v_add_nc_u32_e32 v5, 56, v1
	v_mad_u64_u32 v[14:15], null, 0x84, v3, v[2:3]
	v_add_nc_u32_e32 v3, 64, v1
	v_mul_lo_u32 v38, v4, s7
	v_min_i32_e32 v5, s0, v5
	v_lshlrev_b32_e32 v26, 2, v48
	v_add_nc_u32_e32 v60, 0x5aa0, v6
	v_mad_u64_u32 v[15:16], null, 0x84, v4, v[2:3]
	v_min_i32_e32 v3, s0, v3
	v_add_nc_u32_e32 v4, 0x48, v1
	v_mul_lo_u32 v39, v5, s7
	v_xor_b32_e32 v6, s14, v28
	v_and_b32_e32 v31, 60, v2
	v_mad_u64_u32 v[16:17], null, 0x84, v5, v[2:3]
	v_add_nc_u32_e32 v5, 0x50, v1
	v_mul_lo_u32 v40, v3, s7
	v_min_i32_e32 v4, s0, v4
	v_mad_u64_u32 v[17:18], null, 0x84, v3, v[2:3]
	v_min_i32_e32 v3, s0, v5
	v_add_nc_u32_e32 v5, 0x58, v1
	v_mul_lo_u32 v41, v4, s7
	v_and_b32_e32 v52, 12, v2
	v_add_nc_u32_e32 v70, 0x60, v0
	v_mad_u64_u32 v[18:19], null, 0x84, v4, v[2:3]
	v_min_i32_e32 v4, s0, v5
	v_add_nc_u32_e32 v5, 0x60, v1
	v_mul_lo_u32 v42, v3, s7
	v_mad_u64_u32 v[19:20], null, 0x84, v3, v[2:3]
	v_mul_lo_u32 v43, v4, s7
	v_min_i32_e32 v3, s0, v5
	v_add_nc_u32_e32 v5, 0x68, v1
	v_mul_lo_u32 v50, v7, s7
	v_and_b32_e32 v63, 0x1fc, v70
	v_and_b32_e32 v64, 0xfc, v0
	v_mad_u64_u32 v[20:21], null, 0x84, v4, v[2:3]
	v_min_i32_e32 v4, s0, v5
	v_ashrrev_i32_e32 v5, 31, v7
	v_mul_lo_u32 v44, v3, s7
	v_mad_u64_u32 v[21:22], null, 0x84, v3, v[2:3]
	v_mul_lo_u32 v45, v4, s7
	v_lshrrev_b32_e32 v3, 28, v5
	v_min_i32_e32 v5, s0, v8
	v_lshl_add_u32 v8, v1, 2, v47
	v_lshrrev_b32_e32 v30, 4, v0
	v_lshlrev_b32_e32 v79, 1, v0
	v_mad_u64_u32 v[22:23], null, 0x84, v4, v[2:3]
	v_add_nc_u32_e32 v3, v7, v3
	v_mul_lo_u32 v46, v5, s7
	v_add_nc_u32_e32 v4, 0x78, v1
	v_add_nc_u32_e32 v27, 32, v8
	;; [unrolled: 1-line block ×3, first 2 shown]
	v_mad_u64_u32 v[23:24], null, 0x84, v5, v[2:3]
	v_cvt_f32_u32_e32 v5, s1
	v_ashrrev_i32_e32 v3, 4, v3
	v_min_i32_e32 v4, s0, v4
	v_min_i32_e32 v27, s0, v27
	;; [unrolled: 1-line block ×3, first 2 shown]
	v_rcp_iflag_f32_e32 v5, v5
	v_lshlrev_b32_e32 v3, 2, v3
	v_mul_lo_u32 v49, v4, s7
	v_ashrrev_i32_e32 v55, 31, v27
	v_ashrrev_i32_e32 v58, 31, v56
	v_lshlrev_b32_e32 v74, 5, v27
	v_mad_u64_u32 v[24:25], null, 0x84, v4, v[2:3]
	v_min_i32_e32 v4, s0, v8
	v_add_nc_u32_e32 v8, 0x60, v8
	v_mul_f32_e32 v5, 0x4f7ffffe, v5
	v_lshrrev_b32_e32 v55, 30, v55
	v_add3_u32 v3, v3, v26, 0x5280
	v_ashrrev_i32_e32 v26, 31, v4
	v_min_i32_e32 v8, s0, v8
	v_cvt_u32_f32_e32 v5, v5
	v_add_nc_u32_e32 v55, v27, v55
	v_and_b32_e32 v25, 7, v0
	v_lshrrev_b32_e32 v26, 30, v26
	v_ashrrev_i32_e32 v59, 31, v8
	v_mul_lo_u32 v54, s4, v5
	v_and_b32_e32 v55, -4, v55
	v_cmp_lt_u32_e32 vcc_lo, 3, v25
	v_add_nc_u32_e32 v26, v4, v26
	v_lshlrev_b32_e32 v25, 2, v25
	v_lshlrev_b32_e32 v7, 3, v7
	v_mul_lo_u32 v53, v4, s7
	v_cndmask_b32_e64 v51, 0, 1, vcc_lo
	v_mul_hi_u32 v54, v5, v54
	v_and_b32_e32 v26, -4, v26
	v_add3_u32 v62, v55, v25, 0x4200
	v_lshlrev_b32_e32 v4, 5, v4
	v_mul_lo_u32 v55, v56, s7
	v_lshlrev_b32_e32 v77, 5, v56
	v_add3_u32 v26, v26, v25, 0x4200
	v_add_nc_u32_e32 v67, v3, v7
	v_add_nc_u32_e32 v5, v5, v54
	v_lshrrev_b32_e32 v54, 30, v58
	v_lshrrev_b32_e32 v58, 30, v59
	;; [unrolled: 1-line block ×3, first 2 shown]
	v_add_nc_u32_e32 v72, v26, v4
	v_mul_hi_u32 v5, v57, v5
	v_add_nc_u32_e32 v59, v56, v54
	v_mul_lo_u32 v54, v27, s7
	v_add_nc_u32_e32 v58, v8, v58
	v_mul_lo_u32 v56, v8, s7
	v_lshlrev_b32_e32 v8, 5, v8
	v_and_b32_e32 v59, -4, v59
	v_mov_b32_e32 v29, 0
	v_mul_lo_u32 v27, v5, s1
	v_and_b32_e32 v58, -4, v58
	v_add_nc_u32_e32 v74, v62, v74
	v_add3_u32 v76, v59, v25, 0x4200
	v_add_nc_u32_e32 v59, 1, v5
	v_lshlrev_b32_e32 v78, 2, v30
	v_add3_u32 v25, v58, v25, 0x4200
	v_and_b32_e32 v58, 31, v0
	v_sub_nc_u32_e32 v27, v57, v27
	v_lshl_add_u32 v57, v1, 7, 0x56a0
	v_and_b32_e32 v1, 28, v2
	v_add_nc_u32_e32 v76, v76, v77
	v_add_nc_u32_e32 v77, v25, v8
	v_subrev_nc_u32_e32 v61, s1, v27
	v_cmp_le_u32_e32 vcc_lo, s1, v27
	v_lshlrev_b32_e32 v79, 2, v79
	v_lshlrev_b32_e32 v84, 2, v3
	v_mov_b32_e32 v86, 0xffff
	v_mov_b32_e32 v62, 0
	v_cndmask_b32_e32 v5, v5, v59, vcc_lo
	v_cndmask_b32_e32 v27, v27, v61, vcc_lo
	v_lshl_add_u32 v59, v58, 2, v57
	v_add_nc_u32_e32 v61, v60, v2
	v_ashrrev_i32_e32 v2, 31, v6
	v_add_nc_u32_e32 v58, 1, v5
	v_cmp_le_u32_e64 s0, s1, v27
	v_add_nc_u32_e32 v6, 32, v0
	v_add_nc_u32_e32 v27, 64, v0
	v_cmp_gt_u32_e32 vcc_lo, 4, v0
	v_add_co_u32 v26, s1, s2, v1
	v_cndmask_b32_e64 v5, v5, v58, s0
	v_and_b32_e32 v65, 0x1fc, v6
	v_and_b32_e32 v66, 0x1fc, v27
	v_mul_u32_u24_e32 v58, 33, v0
	v_lshlrev_b32_e32 v81, 1, v6
	v_xor_b32_e32 v5, v5, v2
	v_lshrrev_b32_e32 v80, 4, v6
	v_lshlrev_b32_e32 v83, 1, v27
	v_lshrrev_b32_e32 v82, 4, v27
	v_lshrrev_b32_e32 v68, 3, v6
	v_sub_nc_u32_e32 v2, v5, v2
	v_lshlrev_b32_e32 v5, 5, v0
	v_lshrrev_b32_e32 v69, 3, v27
	v_add_co_ci_u32_e64 v27, null, s3, 0, s1
	v_mul_lo_u32 v71, v2, s8
	v_add_nc_u32_e32 v63, v5, v63
	v_add_nc_u32_e32 v64, v5, v64
	;; [unrolled: 1-line block ×4, first 2 shown]
	v_lshlrev_b32_e32 v5, 1, v70
	v_cmp_gt_i32_e64 s0, s11, v2
	v_lshrrev_b32_e32 v70, 3, v70
	v_lshlrev_b32_e32 v73, 2, v58
	v_ashrrev_i32_e32 v75, 31, v71
	v_lshlrev_b32_e32 v80, 2, v80
	v_lshlrev_b32_e32 v81, 2, v81
	;; [unrolled: 1-line block ×5, first 2 shown]
	v_mov_b32_e32 v58, 0
	v_mov_b32_e32 v25, 0
	s_mov_b32 s10, 0
	s_and_b32 s18, vcc_lo, s0
	s_branch .LBB208_5
.LBB208_4:                              ;   in Loop: Header=BB208_5 Depth=1
	s_add_i32 s10, s10, 2
	s_cmp_ge_i32 s10, s7
	s_cbranch_scc1 .LBB208_37
.LBB208_5:                              ; =>This Loop Header: Depth=1
                                        ;     Child Loop BB208_11 Depth 2
                                        ;     Child Loop BB208_19 Depth 2
	;; [unrolled: 1-line block ×4, first 2 shown]
	s_mul_i32 s1, s10, 0x54
	s_mul_hi_u32 s5, s10, 0x54
	s_add_u32 s4, s12, s1
	s_addc_u32 s5, s15, s5
	v_mad_u64_u32 v[1:2], null, 0x54, v30, s[4:5]
	v_mad_i64_i32 v[3:4], null, 0x54, v32, v[1:2]
	v_mad_i64_i32 v[5:6], null, 0x54, v33, v[1:2]
	;; [unrolled: 1-line block ×4, first 2 shown]
	v_add_co_u32 v3, s1, v3, v31
	v_mad_i64_i32 v[89:90], null, 0x54, v36, v[1:2]
	v_add_co_ci_u32_e64 v4, null, 0, v4, s1
	v_add_co_u32 v5, s1, v5, v31
	v_mad_i64_i32 v[91:92], null, 0x54, v37, v[1:2]
	v_add_co_ci_u32_e64 v6, null, 0, v6, s1
	;; [unrolled: 3-line block ×4, first 2 shown]
	v_add_co_u32 v89, s1, v89, v31
	v_add_co_ci_u32_e64 v90, null, 0, v90, s1
	v_add_co_u32 v91, s1, v91, v31
	v_add_co_ci_u32_e64 v92, null, 0, v92, s1
	;; [unrolled: 2-line block ×3, first 2 shown]
	v_add_co_u32 v95, s1, v95, v31
	v_mad_i64_i32 v[97:98], null, 0x54, v40, v[1:2]
	v_add_co_ci_u32_e64 v96, null, 0, v96, s1
	s_clause 0x7
	global_load_dword v105, v[3:4], off offset:16
	global_load_dword v106, v[5:6], off offset:16
	;; [unrolled: 1-line block ×8, first 2 shown]
	v_mad_i64_i32 v[3:4], null, 0x54, v41, v[1:2]
	v_mad_i64_i32 v[7:8], null, 0x54, v42, v[1:2]
	;; [unrolled: 1-line block ×3, first 2 shown]
	v_add_co_u32 v5, s1, v97, v31
	v_mad_i64_i32 v[89:90], null, 0x54, v44, v[1:2]
	v_add_co_ci_u32_e64 v6, null, 0, v98, s1
	v_add_co_u32 v3, s1, v3, v31
	v_mad_i64_i32 v[91:92], null, 0x54, v45, v[1:2]
	v_add_co_ci_u32_e64 v4, null, 0, v4, s1
	;; [unrolled: 3-line block ×3, first 2 shown]
	v_add_co_u32 v87, s1, v87, v31
	v_mad_u64_u32 v[95:96], null, 0x54, v51, s[4:5]
	v_add_co_ci_u32_e64 v88, null, 0, v88, s1
	v_add_co_u32 v89, s1, v89, v31
	v_add_co_ci_u32_e64 v90, null, 0, v90, s1
	v_add_co_u32 v91, s1, v91, v31
	v_mad_i64_i32 v[1:2], null, 0x54, v49, v[1:2]
	v_add_co_ci_u32_e64 v92, null, 0, v92, s1
	v_add_co_u32 v93, s1, v93, v31
	v_mad_i64_i32 v[97:98], null, 0x54, v50, s[4:5]
	v_add_co_ci_u32_e64 v94, null, 0, v94, s1
	v_add_co_u32 v95, s1, v95, v52
	v_add_co_ci_u32_e64 v96, null, 0, v96, s1
	v_add_co_u32 v1, s1, v1, v31
	v_add_co_ci_u32_e64 v2, null, 0, v2, s1
	v_mad_u64_u32 v[97:98], null, 0x54, v48, v[97:98]
	v_mad_i64_i32 v[99:100], null, 0x54, v53, v[95:96]
	v_mad_i64_i32 v[101:102], null, 0x54, v54, v[95:96]
	;; [unrolled: 1-line block ×4, first 2 shown]
	s_clause 0xc
	global_load_dword v5, v[5:6], off offset:16
	global_load_dword v3, v[3:4], off offset:16
	;; [unrolled: 1-line block ×9, first 2 shown]
	global_load_dword v88, v[99:100], off
	global_load_dword v89, v[101:102], off
	;; [unrolled: 1-line block ×4, first 2 shown]
	s_lshl_b32 s4, s10, 8
	s_waitcnt vmcnt(20)
	ds_write_b32 v9, v105
	s_waitcnt vmcnt(19)
	ds_write_b32 v10, v106
	;; [unrolled: 2-line block ×21, first 2 shown]
	s_cmp_lt_i32 s4, s9
	s_cbranch_scc0 .LBB208_4
; %bb.6:                                ;   in Loop: Header=BB208_5 Depth=1
	s_lshl_b32 s5, s10, 3
	v_add_nc_u32_e32 v1, s5, v47
	v_cmp_gt_i32_e64 s1, s8, v1
	s_and_b32 s19, s0, s1
	s_and_saveexec_b32 s1, s19
	s_cbranch_execz .LBB208_8
; %bb.7:                                ;   in Loop: Header=BB208_5 Depth=1
	v_add_nc_u32_e32 v1, v71, v1
	v_mad_i64_i32 v[1:2], null, v1, 36, v[26:27]
	global_load_dword v1, v[1:2], off offset:4
	s_waitcnt vmcnt(0)
	ds_write_b32 v59, v1
.LBB208_8:                              ;   in Loop: Header=BB208_5 Depth=1
	s_or_b32 exec_lo, exec_lo, s1
	v_add_nc_u32_e32 v87, s5, v0
	v_cmp_gt_i32_e64 s1, s8, v87
	s_and_b32 s19, s18, s1
	s_and_saveexec_b32 s1, s19
	s_cbranch_execz .LBB208_10
; %bb.9:                                ;   in Loop: Header=BB208_5 Depth=1
	v_add_nc_u32_e32 v1, v71, v87
	v_mad_i64_i32 v[1:2], null, v1, 36, s[2:3]
	global_load_dword v1, v[1:2], off
	s_waitcnt vmcnt(0)
	v_cvt_f32_f16_e32 v1, v1
	ds_write_b32 v61, v1
.LBB208_10:                             ;   in Loop: Header=BB208_5 Depth=1
	s_or_b32 exec_lo, exec_lo, s1
	v_mov_b32_e32 v88, v60
	v_mov_b32_e32 v89, v57
	s_mov_b32 s1, 0
	s_waitcnt lgkmcnt(0)
	s_barrier
	buffer_gl0_inv
.LBB208_11:                             ;   Parent Loop BB208_5 Depth=1
                                        ; =>  This Inner Loop Header: Depth=2
	s_and_b32 s20, s1, 0x3ffffff8
	v_add_nc_u32_e32 v95, 0x4200, v64
	v_lshl_add_u32 v103, s20, 2, v73
	s_and_b32 s19, s1, -16
	s_lshr_b32 s21, s1, 2
	s_add_i32 s19, s1, s19
	ds_read_b32 v90, v88
	ds_read_b128 v[5:8], v89
	ds_read_b128 v[1:4], v89 offset:16
	s_and_b32 s20, s21, 0x3ffffffc
	v_add_nc_u32_e32 v104, s19, v65
	v_add_nc_u32_e32 v107, s19, v95
	ds_read2_b32 v[95:96], v103 offset1:1
	ds_read2_b32 v[97:98], v103 offset0:2 offset1:3
	ds_read2_b32 v[99:100], v103 offset0:4 offset1:5
	ds_read2_b32 v[101:102], v103 offset0:6 offset1:7
	v_add_nc_u32_e32 v105, s19, v66
	s_addk_i32 s20, 0x5280
	v_add_nc_u32_e32 v106, s19, v63
	v_add3_u32 v108, s20, v78, v79
	v_add3_u32 v109, s20, v80, v81
	;; [unrolled: 1-line block ×4, first 2 shown]
	v_add_nc_u32_e32 v112, 0x1080, v103
	v_add_nc_u32_e32 v113, 0x1088, v103
	;; [unrolled: 1-line block ×12, first 2 shown]
	ds_read_u16 v135, v104 offset:17920
	ds_read_u16 v136, v105 offset:18944
	ds_read_u16 v137, v106 offset:19968
	ds_read_u16 v138, v107
	ds_read_b32 v139, v109
	ds_read_b32 v140, v110
	;; [unrolled: 1-line block ×4, first 2 shown]
	ds_read2_b32 v[103:104], v112 offset1:1
	ds_read2_b32 v[105:106], v113 offset1:1
	;; [unrolled: 1-line block ×12, first 2 shown]
	s_waitcnt lgkmcnt(19)
	v_bfe_u32 v143, v135, 4, 4
	s_waitcnt lgkmcnt(18)
	v_bfe_u32 v145, v136, 4, 4
	;; [unrolled: 2-line block ×4, first 2 shown]
	v_ashrrev_i32_e32 v95, s1, v95
	v_mul_lo_u32 v143, 0x1010101, v143
	v_mul_lo_u32 v145, 0x1010101, v145
	;; [unrolled: 1-line block ×4, first 2 shown]
	v_mov_b32_e32 v92, 0
	v_ashrrev_i32_e32 v99, s1, v99
	v_and_b32_e32 v95, 0x3030303, v95
	s_waitcnt lgkmcnt(11)
	v_ashrrev_i32_e32 v103, s1, v103
	s_waitcnt lgkmcnt(10)
	v_ashrrev_i32_e32 v105, s1, v105
	;; [unrolled: 2-line block ×9, first 2 shown]
	v_mov_b32_e32 v91, 0
	v_mov_b32_e32 v94, 0
	v_mov_b32_e32 v130, 0
	v_mov_b32_e32 v133, 0
	v_mov_b32_e32 v93, 0
	v_mov_b32_e32 v127, 0
	v_mov_b32_e32 v129, 0
	v_mov_b32_e32 v132, 0
	v_ashrrev_i32_e32 v96, s1, v96
	v_and_b32_e32 v99, 0x3030303, v99
	v_ashrrev_i32_e32 v104, s1, v104
	v_ashrrev_i32_e32 v106, s1, v106
	;; [unrolled: 1-line block ×9, first 2 shown]
	v_dot4c_i32_i8 v92, v95, v5
	v_and_b32_e32 v95, 0x3030303, v103
	v_and_b32_e32 v103, 0x3030303, v105
	;; [unrolled: 1-line block ×9, first 2 shown]
	v_dot4c_i32_i8 v94, v143, v5
	v_dot4c_i32_i8 v130, v145, v5
	;; [unrolled: 1-line block ×4, first 2 shown]
	v_and_b32_e32 v144, 15, v135
	v_and_b32_sdwa v135, v86, v135 dst_sel:DWORD dst_unused:UNUSED_PAD src0_sel:DWORD src1_sel:BYTE_1
	v_and_b32_e32 v146, 15, v136
	v_and_b32_sdwa v136, v86, v136 dst_sel:DWORD dst_unused:UNUSED_PAD src0_sel:DWORD src1_sel:BYTE_1
	;; [unrolled: 2-line block ×4, first 2 shown]
	v_ashrrev_i32_e32 v97, s1, v97
	v_and_b32_e32 v96, 0x3030303, v96
	s_waitcnt lgkmcnt(2)
	v_ashrrev_i32_e32 v121, s1, v121
	v_dot4c_i32_i8 v93, v99, v1
	v_and_b32_e32 v99, 0x3030303, v104
	v_and_b32_e32 v104, 0x3030303, v106
	;; [unrolled: 1-line block ×9, first 2 shown]
	v_dot4c_i32_i8 v127, v95, v5
	v_dot4c_i32_i8 v129, v109, v5
	;; [unrolled: 1-line block ×7, first 2 shown]
	v_mov_b32_e32 v128, 0
	v_mov_b32_e32 v131, 0
	v_ashrrev_i32_e32 v100, s1, v100
	v_ashrrev_i32_e32 v122, s1, v122
	s_waitcnt lgkmcnt(1)
	v_ashrrev_i32_e32 v123, s1, v123
	v_ashrrev_i32_e32 v124, s1, v124
	s_waitcnt lgkmcnt(0)
	v_ashrrev_i32_e32 v125, s1, v125
	v_ashrrev_i32_e32 v126, s1, v126
	v_lshrrev_b32_e32 v155, 4, v135
	v_lshrrev_b32_e32 v156, 4, v136
	;; [unrolled: 1-line block ×4, first 2 shown]
	v_ashrrev_i32_e32 v98, s1, v98
	v_and_b32_e32 v97, 0x3030303, v97
	v_and_b32_e32 v119, 0x3030303, v121
	v_dot4c_i32_i8 v92, v96, v6
	v_dot4c_i32_i8 v127, v99, v6
	;; [unrolled: 1-line block ×8, first 2 shown]
	v_mov_b32_e32 v134, 0
	v_ashrrev_i32_e32 v101, s1, v101
	v_and_b32_e32 v100, 0x3030303, v100
	v_and_b32_e32 v120, 0x3030303, v122
	;; [unrolled: 1-line block ×6, first 2 shown]
	v_mul_lo_u32 v125, 0x1010101, v155
	v_mul_lo_u32 v126, 0x1010101, v156
	;; [unrolled: 1-line block ×4, first 2 shown]
	v_dot4c_i32_i8 v128, v105, v1
	v_dot4c_i32_i8 v131, v113, v1
	v_and_b32_e32 v98, 0x3030303, v98
	v_dot4c_i32_i8 v92, v97, v7
	v_dot4c_i32_i8 v127, v103, v7
	;; [unrolled: 1-line block ×8, first 2 shown]
	v_ashrrev_i32_e32 v102, s1, v102
	v_and_b32_e32 v101, 0x3030303, v101
	v_dot4c_i32_i8 v93, v100, v2
	v_dot4c_i32_i8 v134, v121, v1
	;; [unrolled: 1-line block ×12, first 2 shown]
	v_and_b32_e32 v102, 0x3030303, v102
	v_dot4c_i32_i8 v93, v101, v3
	v_dot4c_i32_i8 v134, v122, v2
	;; [unrolled: 1-line block ×4, first 2 shown]
	v_mul_lo_u32 v5, v150, v92
	v_mul_lo_u32 v6, v144, v127
	;; [unrolled: 1-line block ×4, first 2 shown]
	v_dot4c_i32_i8 v94, v125, v2
	v_dot4c_i32_i8 v130, v126, v2
	;; [unrolled: 1-line block ×4, first 2 shown]
	v_and_b32_e32 v135, 15, v135
	v_and_b32_e32 v136, 15, v136
	;; [unrolled: 1-line block ×3, first 2 shown]
	v_dot4c_i32_i8 v93, v102, v4
	v_dot4c_i32_i8 v134, v123, v3
	;; [unrolled: 1-line block ×8, first 2 shown]
	v_and_b32_e32 v137, 15, v137
	v_dot4c_i32_i8 v134, v124, v4
	v_mad_u64_u32 v[92:93], null, v138, v93, v[5:6]
	v_mad_u64_u32 v[1:2], null, v135, v128, v[6:7]
	;; [unrolled: 1-line block ×3, first 2 shown]
	v_dot4c_i32_i8 v94, v125, v4
	v_dot4c_i32_i8 v130, v126, v4
	;; [unrolled: 1-line block ×4, first 2 shown]
	v_mad_u64_u32 v[6:7], null, v137, v134, v[8:9]
	v_cvt_f32_f16_sdwa v151, v142 dst_sel:DWORD dst_unused:UNUSED_PAD src0_sel:WORD_1
	v_cvt_f32_f16_sdwa v152, v139 dst_sel:DWORD dst_unused:UNUSED_PAD src0_sel:WORD_1
	;; [unrolled: 1-line block ×4, first 2 shown]
	v_cvt_f32_i32_e32 v3, v5
	v_cvt_f32_i32_e32 v4, v94
	;; [unrolled: 1-line block ×8, first 2 shown]
	v_mul_f32_e32 v4, v152, v4
	v_mul_f32_e32 v5, v153, v5
	;; [unrolled: 1-line block ×4, first 2 shown]
	v_add_nc_u32_e32 v89, 32, v89
	v_fma_mix_f32 v1, v139, v1, -v4 op_sel_hi:[1,0,0]
	v_fma_mix_f32 v3, v140, v3, -v5 op_sel_hi:[1,0,0]
	;; [unrolled: 1-line block ×4, first 2 shown]
	v_add_nc_u32_e32 v88, 4, v88
	v_fmac_f32_e32 v62, v90, v1
	v_fmac_f32_e32 v58, v90, v3
	;; [unrolled: 1-line block ×4, first 2 shown]
	s_add_i32 s19, s1, 2
	s_cmp_lt_u32 s1, 6
	s_mov_b32 s1, s19
	s_cbranch_scc1 .LBB208_11
; %bb.12:                               ;   in Loop: Header=BB208_5 Depth=1
	s_or_b32 s1, s4, 0x80
	s_cmp_ge_i32 s1, s9
	s_barrier
	buffer_gl0_inv
	s_cbranch_scc1 .LBB208_4
; %bb.13:                               ;   in Loop: Header=BB208_5 Depth=1
	v_add_nc_u32_e32 v1, s5, v68
	v_cmp_gt_i32_e64 s1, s8, v1
	s_and_b32 s19, s0, s1
	s_and_saveexec_b32 s1, s19
	s_cbranch_execz .LBB208_15
; %bb.14:                               ;   in Loop: Header=BB208_5 Depth=1
	v_add_nc_u32_e32 v1, v71, v1
	v_mad_i64_i32 v[1:2], null, v1, 36, v[26:27]
	global_load_dword v1, v[1:2], off offset:4
	s_waitcnt vmcnt(0)
	ds_write_b32 v59, v1
.LBB208_15:                             ;   in Loop: Header=BB208_5 Depth=1
	s_or_b32 exec_lo, exec_lo, s1
	s_and_saveexec_b32 s19, vcc_lo
	s_cbranch_execz .LBB208_18
; %bb.16:                               ;   in Loop: Header=BB208_5 Depth=1
	v_or_b32_e32 v1, 4, v87
	v_cmp_gt_i32_e64 s1, s8, v1
	s_and_b32 s1, s0, s1
	s_and_b32 exec_lo, exec_lo, s1
	s_cbranch_execz .LBB208_18
; %bb.17:                               ;   in Loop: Header=BB208_5 Depth=1
	v_ashrrev_i32_e32 v1, 31, v87
	v_add_co_u32 v2, s1, v71, v87
	v_add_co_ci_u32_e64 v3, null, v75, v1, s1
	v_mad_u64_u32 v[1:2], null, v2, 36, s[2:3]
	v_mad_i32_i24 v2, v3, 36, v2
	global_load_dword v1, v[1:2], off offset:144
	s_waitcnt vmcnt(0)
	v_cvt_f32_f16_e32 v1, v1
	ds_write_b32 v61, v1
.LBB208_18:                             ;   in Loop: Header=BB208_5 Depth=1
	s_or_b32 exec_lo, exec_lo, s19
	v_mov_b32_e32 v5, v57
	v_mov_b32_e32 v6, v60
	s_mov_b32 s1, 8
	s_waitcnt lgkmcnt(0)
	s_barrier
	buffer_gl0_inv
.LBB208_19:                             ;   Parent Loop BB208_5 Depth=1
                                        ; =>  This Inner Loop Header: Depth=2
	s_and_b32 s21, s1, 0x3ffffff8
	s_lshr_b32 s22, s1, 2
	v_lshl_add_u32 v100, s21, 2, v73
	s_and_b32 s21, s22, 0x3ffffffc
	s_and_b32 s20, s1, -16
	s_addk_i32 s21, 0x5280
	ds_read_b32 v7, v6
	ds_read_b128 v[88:91], v5
	ds_read_b128 v[1:4], v5 offset:16
	v_add3_u32 v102, s21, v80, v81
	v_add3_u32 v103, s21, v82, v83
	ds_read2_b32 v[92:93], v100 offset1:1
	ds_read2_b32 v[94:95], v100 offset0:2 offset1:3
	ds_read2_b32 v[96:97], v100 offset0:4 offset1:5
	;; [unrolled: 1-line block ×3, first 2 shown]
	s_add_i32 s20, s1, s20
	v_add3_u32 v105, s21, v84, v85
	v_add3_u32 v101, s21, v78, v79
	v_add_nc_u32_e32 v104, s20, v64
	v_add_nc_u32_e32 v108, s20, v65
	;; [unrolled: 1-line block ×16, first 2 shown]
	ds_read_b32 v136, v102
	ds_read_b32 v137, v103
	;; [unrolled: 1-line block ×4, first 2 shown]
	ds_read2_b32 v[100:101], v106 offset1:1
	ds_read2_b32 v[102:103], v107 offset1:1
	ds_read_u16 v140, v104 offset:16896
	ds_read2_b32 v[104:105], v109 offset1:1
	ds_read2_b32 v[106:107], v110 offset1:1
	ds_read_u16 v141, v108 offset:17920
	ds_read2_b32 v[108:109], v111 offset1:1
	ds_read2_b32 v[110:111], v112 offset1:1
	;; [unrolled: 1-line block ×6, first 2 shown]
	ds_read_u16 v142, v120 offset:18944
	ds_read2_b32 v[120:121], v121 offset1:1
	ds_read2_b32 v[122:123], v122 offset1:1
	ds_read_u16 v135, v135 offset:19968
	s_add_i32 s19, s1, -8
	v_mov_b32_e32 v8, 0
	s_waitcnt lgkmcnt(23)
	v_ashrrev_i32_e32 v92, s19, v92
	s_waitcnt lgkmcnt(21)
	v_ashrrev_i32_e32 v96, s19, v96
	v_mov_b32_e32 v125, 0
	s_waitcnt lgkmcnt(15)
	v_ashrrev_i32_e32 v100, s19, v100
	s_waitcnt lgkmcnt(13)
	v_bfe_u32 v147, v140, 4, 4
	v_and_b32_e32 v92, 0x3030303, v92
	v_and_b32_e32 v96, 0x3030303, v96
	;; [unrolled: 1-line block ×3, first 2 shown]
	v_and_b32_sdwa v140, v86, v140 dst_sel:DWORD dst_unused:UNUSED_PAD src0_sel:DWORD src1_sel:BYTE_1
	s_waitcnt lgkmcnt(10)
	v_bfe_u32 v149, v141, 4, 4
	v_mul_lo_u32 v147, 0x1010101, v147
	v_dot4c_i32_i8 v8, v92, v88
	v_dot4c_i32_i8 v125, v96, v1
	v_lshrrev_b32_e32 v92, 4, v140
	s_waitcnt lgkmcnt(3)
	v_bfe_u32 v151, v142, 4, 4
	v_and_b32_e32 v96, 15, v140
	v_mul_lo_u32 v140, 0x1010101, v149
	s_waitcnt lgkmcnt(0)
	v_bfe_u32 v153, v135, 4, 4
	v_ashrrev_i32_e32 v108, s19, v108
	v_mul_lo_u32 v151, 0x1010101, v151
	v_ashrrev_i32_e32 v116, s19, v116
	v_mov_b32_e32 v124, 0
	v_mul_lo_u32 v153, 0x1010101, v153
	v_mov_b32_e32 v127, 0
	v_mov_b32_e32 v130, 0
	;; [unrolled: 1-line block ×3, first 2 shown]
	v_ashrrev_i32_e32 v93, s19, v93
	v_mov_b32_e32 v126, 0
	v_mov_b32_e32 v129, 0
	;; [unrolled: 1-line block ×3, first 2 shown]
	v_ashrrev_i32_e32 v101, s19, v101
	v_ashrrev_i32_e32 v109, s19, v109
	v_ashrrev_i32_e32 v117, s19, v117
	v_and_b32_e32 v100, 0x3030303, v100
	v_and_b32_e32 v108, 0x3030303, v108
	;; [unrolled: 1-line block ×3, first 2 shown]
	v_dot4c_i32_i8 v124, v147, v88
	v_dot4c_i32_i8 v127, v140, v88
	;; [unrolled: 1-line block ×4, first 2 shown]
	v_ashrrev_i32_e32 v94, s19, v94
	v_and_b32_e32 v93, 0x3030303, v93
	v_ashrrev_i32_e32 v97, s19, v97
	v_ashrrev_i32_e32 v104, s19, v104
	v_and_b32_e32 v150, 15, v141
	v_and_b32_sdwa v141, v86, v141 dst_sel:DWORD dst_unused:UNUSED_PAD src0_sel:DWORD src1_sel:BYTE_1
	v_ashrrev_i32_e32 v112, s19, v112
	v_and_b32_e32 v152, 15, v142
	v_and_b32_sdwa v142, v86, v142 dst_sel:DWORD dst_unused:UNUSED_PAD src0_sel:DWORD src1_sel:BYTE_1
	v_and_b32_e32 v154, 15, v135
	v_and_b32_sdwa v135, v86, v135 dst_sel:DWORD dst_unused:UNUSED_PAD src0_sel:DWORD src1_sel:BYTE_1
	v_ashrrev_i32_e32 v102, s19, v102
	v_ashrrev_i32_e32 v110, s19, v110
	;; [unrolled: 1-line block ×3, first 2 shown]
	v_and_b32_e32 v101, 0x3030303, v101
	v_and_b32_e32 v109, 0x3030303, v109
	;; [unrolled: 1-line block ×3, first 2 shown]
	v_dot4c_i32_i8 v126, v100, v88
	v_dot4c_i32_i8 v129, v108, v88
	;; [unrolled: 1-line block ×7, first 2 shown]
	v_ashrrev_i32_e32 v95, s19, v95
	v_and_b32_e32 v94, 0x3030303, v94
	v_dot4c_i32_i8 v8, v93, v89
	v_mov_b32_e32 v128, 0
	v_mov_b32_e32 v131, 0
	v_and_b32_e32 v97, 0x3030303, v97
	v_ashrrev_i32_e32 v105, s19, v105
	v_ashrrev_i32_e32 v113, s19, v113
	;; [unrolled: 1-line block ×3, first 2 shown]
	v_and_b32_e32 v104, 0x3030303, v104
	v_lshrrev_b32_e32 v149, 4, v141
	v_and_b32_e32 v112, 0x3030303, v112
	v_lshrrev_b32_e32 v155, 4, v142
	v_lshrrev_b32_e32 v156, 4, v135
	v_ashrrev_i32_e32 v98, s19, v98
	v_ashrrev_i32_e32 v103, s19, v103
	;; [unrolled: 1-line block ×4, first 2 shown]
	v_and_b32_e32 v102, 0x3030303, v102
	v_and_b32_e32 v110, 0x3030303, v110
	;; [unrolled: 1-line block ×3, first 2 shown]
	v_dot4c_i32_i8 v126, v101, v89
	v_dot4c_i32_i8 v129, v109, v89
	;; [unrolled: 1-line block ×7, first 2 shown]
	v_and_b32_e32 v95, 0x3030303, v95
	v_dot4c_i32_i8 v8, v94, v90
	v_mov_b32_e32 v134, 0
	v_ashrrev_i32_e32 v106, s19, v106
	v_ashrrev_i32_e32 v114, s19, v114
	;; [unrolled: 1-line block ×3, first 2 shown]
	v_and_b32_e32 v105, 0x3030303, v105
	v_and_b32_e32 v113, 0x3030303, v113
	;; [unrolled: 1-line block ×3, first 2 shown]
	v_mul_lo_u32 v157, 0x1010101, v92
	v_dot4c_i32_i8 v125, v97, v2
	v_mul_lo_u32 v97, 0x1010101, v149
	v_dot4c_i32_i8 v128, v104, v1
	;; [unrolled: 2-line block ×3, first 2 shown]
	v_mul_lo_u32 v104, 0x1010101, v156
	v_ashrrev_i32_e32 v99, s19, v99
	v_and_b32_e32 v98, 0x3030303, v98
	v_and_b32_e32 v103, 0x3030303, v103
	;; [unrolled: 1-line block ×4, first 2 shown]
	v_dot4c_i32_i8 v126, v102, v90
	v_dot4c_i32_i8 v129, v110, v90
	;; [unrolled: 1-line block ×8, first 2 shown]
	v_ashrrev_i32_e32 v107, s19, v107
	v_ashrrev_i32_e32 v115, s19, v115
	v_ashrrev_i32_e32 v122, s19, v122
	v_and_b32_e32 v106, 0x3030303, v106
	v_and_b32_e32 v114, 0x3030303, v114
	;; [unrolled: 1-line block ×3, first 2 shown]
	v_dot4c_i32_i8 v134, v120, v1
	v_dot4c_i32_i8 v128, v105, v2
	;; [unrolled: 1-line block ×3, first 2 shown]
	v_and_b32_e32 v99, 0x3030303, v99
	v_dot4c_i32_i8 v125, v98, v3
	v_dot4c_i32_i8 v126, v103, v91
	;; [unrolled: 1-line block ×8, first 2 shown]
	v_mul_lo_u32 v8, v148, v8
	v_ashrrev_i32_e32 v123, s19, v123
	v_and_b32_e32 v107, 0x3030303, v107
	v_and_b32_e32 v115, 0x3030303, v115
	;; [unrolled: 1-line block ×3, first 2 shown]
	v_dot4c_i32_i8 v134, v121, v2
	v_dot4c_i32_i8 v128, v106, v3
	;; [unrolled: 1-line block ×4, first 2 shown]
	v_mul_lo_u32 v88, v150, v126
	v_mul_lo_u32 v89, v152, v129
	;; [unrolled: 1-line block ×3, first 2 shown]
	v_dot4c_i32_i8 v124, v157, v2
	v_dot4c_i32_i8 v127, v97, v2
	;; [unrolled: 1-line block ×4, first 2 shown]
	v_and_b32_e32 v141, 15, v141
	v_and_b32_e32 v142, 15, v142
	;; [unrolled: 1-line block ×3, first 2 shown]
	v_dot4c_i32_i8 v134, v122, v3
	v_dot4c_i32_i8 v128, v107, v4
	;; [unrolled: 1-line block ×3, first 2 shown]
	v_mad_u64_u32 v[91:92], null, v96, v125, v[8:9]
	v_dot4c_i32_i8 v124, v157, v3
	v_dot4c_i32_i8 v127, v97, v3
	;; [unrolled: 1-line block ×4, first 2 shown]
	v_and_b32_e32 v135, 15, v135
	v_dot4c_i32_i8 v134, v123, v4
	v_mad_u64_u32 v[92:93], null, v141, v128, v[88:89]
	v_mad_u64_u32 v[88:89], null, v142, v131, v[89:90]
	v_dot4c_i32_i8 v124, v157, v4
	v_dot4c_i32_i8 v127, v97, v4
	;; [unrolled: 1-line block ×4, first 2 shown]
	v_mad_u64_u32 v[1:2], null, v135, v134, v[90:91]
	v_cvt_f32_f16_sdwa v143, v139 dst_sel:DWORD dst_unused:UNUSED_PAD src0_sel:WORD_1
	v_cvt_f32_f16_sdwa v144, v136 dst_sel:DWORD dst_unused:UNUSED_PAD src0_sel:WORD_1
	v_cvt_f32_f16_sdwa v145, v137 dst_sel:DWORD dst_unused:UNUSED_PAD src0_sel:WORD_1
	v_cvt_f32_f16_sdwa v146, v138 dst_sel:DWORD dst_unused:UNUSED_PAD src0_sel:WORD_1
	v_cvt_f32_i32_e32 v4, v88
	v_cvt_f32_i32_e32 v8, v124
	;; [unrolled: 1-line block ×8, first 2 shown]
	v_mul_f32_e32 v8, v143, v8
	v_mul_f32_e32 v88, v144, v88
	;; [unrolled: 1-line block ×4, first 2 shown]
	v_add_nc_u32_e32 v6, 4, v6
	v_fma_mix_f32 v2, v139, v2, -v8 op_sel_hi:[1,0,0]
	v_fma_mix_f32 v3, v136, v3, -v88 op_sel_hi:[1,0,0]
	;; [unrolled: 1-line block ×4, first 2 shown]
	v_add_nc_u32_e32 v5, 32, v5
	v_fmac_f32_e32 v29, v7, v2
	v_fmac_f32_e32 v62, v7, v3
	;; [unrolled: 1-line block ×4, first 2 shown]
	s_add_i32 s19, s1, 2
	s_cmp_lt_u32 s1, 14
	s_mov_b32 s1, s19
	s_cbranch_scc1 .LBB208_19
; %bb.20:                               ;   in Loop: Header=BB208_5 Depth=1
	s_or_b32 s1, s4, 0x100
	s_cmp_ge_i32 s1, s9
	s_barrier
	buffer_gl0_inv
	s_cbranch_scc1 .LBB208_4
; %bb.21:                               ;   in Loop: Header=BB208_5 Depth=1
	v_add_nc_u32_e32 v1, s5, v69
	v_cmp_gt_i32_e64 s1, s8, v1
	s_and_b32 s19, s0, s1
	s_and_saveexec_b32 s1, s19
	s_cbranch_execz .LBB208_23
; %bb.22:                               ;   in Loop: Header=BB208_5 Depth=1
	v_add_nc_u32_e32 v1, v71, v1
	v_mad_i64_i32 v[1:2], null, v1, 36, v[26:27]
	global_load_dword v1, v[1:2], off offset:4
	s_waitcnt vmcnt(0)
	ds_write_b32 v59, v1
.LBB208_23:                             ;   in Loop: Header=BB208_5 Depth=1
	s_or_b32 exec_lo, exec_lo, s1
	s_and_saveexec_b32 s19, vcc_lo
	s_cbranch_execz .LBB208_26
; %bb.24:                               ;   in Loop: Header=BB208_5 Depth=1
	v_or_b32_e32 v1, 8, v87
	v_cmp_gt_i32_e64 s1, s8, v1
	s_and_b32 s1, s0, s1
	s_and_b32 exec_lo, exec_lo, s1
	s_cbranch_execz .LBB208_26
; %bb.25:                               ;   in Loop: Header=BB208_5 Depth=1
	v_ashrrev_i32_e32 v1, 31, v87
	v_add_co_u32 v2, s1, v71, v87
	v_add_co_ci_u32_e64 v3, null, v75, v1, s1
	v_mad_u64_u32 v[1:2], null, v2, 36, s[2:3]
	v_mad_i32_i24 v2, v3, 36, v2
	global_load_dword v1, v[1:2], off offset:288
	s_waitcnt vmcnt(0)
	v_cvt_f32_f16_e32 v1, v1
	ds_write_b32 v61, v1
.LBB208_26:                             ;   in Loop: Header=BB208_5 Depth=1
	s_or_b32 exec_lo, exec_lo, s19
	v_mov_b32_e32 v5, v57
	v_mov_b32_e32 v6, v60
	s_mov_b32 s1, 16
	s_waitcnt lgkmcnt(0)
	s_barrier
	buffer_gl0_inv
.LBB208_27:                             ;   Parent Loop BB208_5 Depth=1
                                        ; =>  This Inner Loop Header: Depth=2
	s_and_b32 s21, s1, 0x3ffffff8
	s_lshr_b32 s22, s1, 2
	v_lshl_add_u32 v100, s21, 2, v73
	s_and_b32 s21, s22, 0x3ffffffc
	s_and_b32 s20, s1, -16
	s_addk_i32 s21, 0x5280
	ds_read_b32 v7, v6
	ds_read_b128 v[88:91], v5
	ds_read_b128 v[1:4], v5 offset:16
	v_add3_u32 v102, s21, v80, v81
	v_add3_u32 v103, s21, v82, v83
	ds_read2_b32 v[92:93], v100 offset1:1
	ds_read2_b32 v[94:95], v100 offset0:2 offset1:3
	ds_read2_b32 v[96:97], v100 offset0:4 offset1:5
	;; [unrolled: 1-line block ×3, first 2 shown]
	s_add_i32 s20, s1, s20
	v_add3_u32 v105, s21, v84, v85
	v_add3_u32 v101, s21, v78, v79
	v_add_nc_u32_e32 v104, s20, v64
	v_add_nc_u32_e32 v108, s20, v65
	;; [unrolled: 1-line block ×16, first 2 shown]
	ds_read_b32 v136, v102
	ds_read_b32 v137, v103
	;; [unrolled: 1-line block ×4, first 2 shown]
	ds_read2_b32 v[100:101], v106 offset1:1
	ds_read2_b32 v[102:103], v107 offset1:1
	ds_read_u16 v140, v104 offset:16880
	ds_read2_b32 v[104:105], v109 offset1:1
	ds_read2_b32 v[106:107], v110 offset1:1
	ds_read_u16 v141, v108 offset:17904
	ds_read2_b32 v[108:109], v111 offset1:1
	ds_read2_b32 v[110:111], v112 offset1:1
	;; [unrolled: 1-line block ×6, first 2 shown]
	ds_read_u16 v142, v120 offset:18928
	ds_read2_b32 v[120:121], v121 offset1:1
	ds_read2_b32 v[122:123], v122 offset1:1
	ds_read_u16 v135, v135 offset:19952
	s_add_i32 s19, s1, -16
	v_mov_b32_e32 v8, 0
	s_waitcnt lgkmcnt(23)
	v_ashrrev_i32_e32 v92, s19, v92
	s_waitcnt lgkmcnt(21)
	v_ashrrev_i32_e32 v96, s19, v96
	v_mov_b32_e32 v125, 0
	s_waitcnt lgkmcnt(15)
	v_ashrrev_i32_e32 v100, s19, v100
	s_waitcnt lgkmcnt(13)
	v_bfe_u32 v147, v140, 4, 4
	v_and_b32_e32 v92, 0x3030303, v92
	v_and_b32_e32 v96, 0x3030303, v96
	;; [unrolled: 1-line block ×3, first 2 shown]
	v_and_b32_sdwa v140, v86, v140 dst_sel:DWORD dst_unused:UNUSED_PAD src0_sel:DWORD src1_sel:BYTE_1
	s_waitcnt lgkmcnt(10)
	v_bfe_u32 v149, v141, 4, 4
	v_mul_lo_u32 v147, 0x1010101, v147
	v_dot4c_i32_i8 v8, v92, v88
	v_dot4c_i32_i8 v125, v96, v1
	v_lshrrev_b32_e32 v92, 4, v140
	s_waitcnt lgkmcnt(3)
	v_bfe_u32 v151, v142, 4, 4
	v_and_b32_e32 v96, 15, v140
	v_mul_lo_u32 v140, 0x1010101, v149
	s_waitcnt lgkmcnt(0)
	v_bfe_u32 v153, v135, 4, 4
	v_ashrrev_i32_e32 v108, s19, v108
	v_mul_lo_u32 v151, 0x1010101, v151
	v_ashrrev_i32_e32 v116, s19, v116
	v_mov_b32_e32 v124, 0
	v_mul_lo_u32 v153, 0x1010101, v153
	v_mov_b32_e32 v127, 0
	v_mov_b32_e32 v130, 0
	;; [unrolled: 1-line block ×3, first 2 shown]
	v_ashrrev_i32_e32 v93, s19, v93
	v_mov_b32_e32 v126, 0
	v_mov_b32_e32 v129, 0
	;; [unrolled: 1-line block ×3, first 2 shown]
	v_ashrrev_i32_e32 v101, s19, v101
	v_ashrrev_i32_e32 v109, s19, v109
	;; [unrolled: 1-line block ×3, first 2 shown]
	v_and_b32_e32 v100, 0x3030303, v100
	v_and_b32_e32 v108, 0x3030303, v108
	;; [unrolled: 1-line block ×3, first 2 shown]
	v_dot4c_i32_i8 v124, v147, v88
	v_dot4c_i32_i8 v127, v140, v88
	v_dot4c_i32_i8 v130, v151, v88
	v_dot4c_i32_i8 v133, v153, v88
	v_ashrrev_i32_e32 v94, s19, v94
	v_and_b32_e32 v93, 0x3030303, v93
	v_ashrrev_i32_e32 v97, s19, v97
	v_ashrrev_i32_e32 v104, s19, v104
	v_and_b32_e32 v150, 15, v141
	v_and_b32_sdwa v141, v86, v141 dst_sel:DWORD dst_unused:UNUSED_PAD src0_sel:DWORD src1_sel:BYTE_1
	v_ashrrev_i32_e32 v112, s19, v112
	v_and_b32_e32 v152, 15, v142
	v_and_b32_sdwa v142, v86, v142 dst_sel:DWORD dst_unused:UNUSED_PAD src0_sel:DWORD src1_sel:BYTE_1
	v_and_b32_e32 v154, 15, v135
	v_and_b32_sdwa v135, v86, v135 dst_sel:DWORD dst_unused:UNUSED_PAD src0_sel:DWORD src1_sel:BYTE_1
	v_ashrrev_i32_e32 v102, s19, v102
	v_ashrrev_i32_e32 v110, s19, v110
	;; [unrolled: 1-line block ×3, first 2 shown]
	v_and_b32_e32 v101, 0x3030303, v101
	v_and_b32_e32 v109, 0x3030303, v109
	;; [unrolled: 1-line block ×3, first 2 shown]
	v_dot4c_i32_i8 v126, v100, v88
	v_dot4c_i32_i8 v129, v108, v88
	;; [unrolled: 1-line block ×7, first 2 shown]
	v_ashrrev_i32_e32 v95, s19, v95
	v_and_b32_e32 v94, 0x3030303, v94
	v_dot4c_i32_i8 v8, v93, v89
	v_mov_b32_e32 v128, 0
	v_mov_b32_e32 v131, 0
	v_and_b32_e32 v97, 0x3030303, v97
	v_ashrrev_i32_e32 v105, s19, v105
	v_ashrrev_i32_e32 v113, s19, v113
	v_ashrrev_i32_e32 v120, s19, v120
	v_and_b32_e32 v104, 0x3030303, v104
	v_lshrrev_b32_e32 v149, 4, v141
	v_and_b32_e32 v112, 0x3030303, v112
	v_lshrrev_b32_e32 v155, 4, v142
	v_lshrrev_b32_e32 v156, 4, v135
	v_ashrrev_i32_e32 v98, s19, v98
	v_ashrrev_i32_e32 v103, s19, v103
	;; [unrolled: 1-line block ×4, first 2 shown]
	v_and_b32_e32 v102, 0x3030303, v102
	v_and_b32_e32 v110, 0x3030303, v110
	;; [unrolled: 1-line block ×3, first 2 shown]
	v_dot4c_i32_i8 v126, v101, v89
	v_dot4c_i32_i8 v129, v109, v89
	;; [unrolled: 1-line block ×7, first 2 shown]
	v_and_b32_e32 v95, 0x3030303, v95
	v_dot4c_i32_i8 v8, v94, v90
	v_mov_b32_e32 v134, 0
	v_ashrrev_i32_e32 v106, s19, v106
	v_ashrrev_i32_e32 v114, s19, v114
	;; [unrolled: 1-line block ×3, first 2 shown]
	v_and_b32_e32 v105, 0x3030303, v105
	v_and_b32_e32 v113, 0x3030303, v113
	;; [unrolled: 1-line block ×3, first 2 shown]
	v_mul_lo_u32 v157, 0x1010101, v92
	v_dot4c_i32_i8 v125, v97, v2
	v_mul_lo_u32 v97, 0x1010101, v149
	v_dot4c_i32_i8 v128, v104, v1
	;; [unrolled: 2-line block ×3, first 2 shown]
	v_mul_lo_u32 v104, 0x1010101, v156
	v_ashrrev_i32_e32 v99, s19, v99
	v_and_b32_e32 v98, 0x3030303, v98
	v_and_b32_e32 v103, 0x3030303, v103
	;; [unrolled: 1-line block ×4, first 2 shown]
	v_dot4c_i32_i8 v126, v102, v90
	v_dot4c_i32_i8 v129, v110, v90
	;; [unrolled: 1-line block ×8, first 2 shown]
	v_ashrrev_i32_e32 v107, s19, v107
	v_ashrrev_i32_e32 v115, s19, v115
	;; [unrolled: 1-line block ×3, first 2 shown]
	v_and_b32_e32 v106, 0x3030303, v106
	v_and_b32_e32 v114, 0x3030303, v114
	v_and_b32_e32 v121, 0x3030303, v121
	v_dot4c_i32_i8 v134, v120, v1
	v_dot4c_i32_i8 v128, v105, v2
	;; [unrolled: 1-line block ×3, first 2 shown]
	v_and_b32_e32 v99, 0x3030303, v99
	v_dot4c_i32_i8 v125, v98, v3
	v_dot4c_i32_i8 v126, v103, v91
	;; [unrolled: 1-line block ×8, first 2 shown]
	v_mul_lo_u32 v8, v148, v8
	v_ashrrev_i32_e32 v123, s19, v123
	v_and_b32_e32 v107, 0x3030303, v107
	v_and_b32_e32 v115, 0x3030303, v115
	;; [unrolled: 1-line block ×3, first 2 shown]
	v_dot4c_i32_i8 v134, v121, v2
	v_dot4c_i32_i8 v128, v106, v3
	;; [unrolled: 1-line block ×4, first 2 shown]
	v_mul_lo_u32 v88, v150, v126
	v_mul_lo_u32 v89, v152, v129
	;; [unrolled: 1-line block ×3, first 2 shown]
	v_dot4c_i32_i8 v124, v157, v2
	v_dot4c_i32_i8 v127, v97, v2
	;; [unrolled: 1-line block ×4, first 2 shown]
	v_and_b32_e32 v141, 15, v141
	v_and_b32_e32 v142, 15, v142
	;; [unrolled: 1-line block ×3, first 2 shown]
	v_dot4c_i32_i8 v134, v122, v3
	v_dot4c_i32_i8 v128, v107, v4
	;; [unrolled: 1-line block ×3, first 2 shown]
	v_mad_u64_u32 v[91:92], null, v96, v125, v[8:9]
	v_dot4c_i32_i8 v124, v157, v3
	v_dot4c_i32_i8 v127, v97, v3
	;; [unrolled: 1-line block ×4, first 2 shown]
	v_and_b32_e32 v135, 15, v135
	v_dot4c_i32_i8 v134, v123, v4
	v_mad_u64_u32 v[92:93], null, v141, v128, v[88:89]
	v_mad_u64_u32 v[88:89], null, v142, v131, v[89:90]
	v_dot4c_i32_i8 v124, v157, v4
	v_dot4c_i32_i8 v127, v97, v4
	;; [unrolled: 1-line block ×4, first 2 shown]
	v_mad_u64_u32 v[1:2], null, v135, v134, v[90:91]
	v_cvt_f32_f16_sdwa v143, v139 dst_sel:DWORD dst_unused:UNUSED_PAD src0_sel:WORD_1
	v_cvt_f32_f16_sdwa v144, v136 dst_sel:DWORD dst_unused:UNUSED_PAD src0_sel:WORD_1
	;; [unrolled: 1-line block ×4, first 2 shown]
	v_cvt_f32_i32_e32 v4, v88
	v_cvt_f32_i32_e32 v8, v124
	;; [unrolled: 1-line block ×8, first 2 shown]
	v_mul_f32_e32 v8, v143, v8
	v_mul_f32_e32 v88, v144, v88
	;; [unrolled: 1-line block ×4, first 2 shown]
	v_add_nc_u32_e32 v6, 4, v6
	v_fma_mix_f32 v2, v139, v2, -v8 op_sel_hi:[1,0,0]
	v_fma_mix_f32 v3, v136, v3, -v88 op_sel_hi:[1,0,0]
	;; [unrolled: 1-line block ×4, first 2 shown]
	v_add_nc_u32_e32 v5, 32, v5
	v_fmac_f32_e32 v29, v7, v2
	v_fmac_f32_e32 v62, v7, v3
	;; [unrolled: 1-line block ×4, first 2 shown]
	s_add_i32 s19, s1, 2
	s_cmp_lt_u32 s1, 22
	s_mov_b32 s1, s19
	s_cbranch_scc1 .LBB208_27
; %bb.28:                               ;   in Loop: Header=BB208_5 Depth=1
	s_or_b32 s1, s4, 0x180
	s_cmp_ge_i32 s1, s9
	s_barrier
	buffer_gl0_inv
	s_cbranch_scc1 .LBB208_4
; %bb.29:                               ;   in Loop: Header=BB208_5 Depth=1
	v_add_nc_u32_e32 v1, s5, v70
	v_cmp_gt_i32_e64 s1, s8, v1
	s_and_b32 s4, s0, s1
	s_and_saveexec_b32 s1, s4
	s_cbranch_execz .LBB208_31
; %bb.30:                               ;   in Loop: Header=BB208_5 Depth=1
	v_add_nc_u32_e32 v1, v71, v1
	v_mad_i64_i32 v[1:2], null, v1, 36, v[26:27]
	global_load_dword v1, v[1:2], off offset:4
	s_waitcnt vmcnt(0)
	ds_write_b32 v59, v1
.LBB208_31:                             ;   in Loop: Header=BB208_5 Depth=1
	s_or_b32 exec_lo, exec_lo, s1
	s_and_saveexec_b32 s4, vcc_lo
	s_cbranch_execz .LBB208_34
; %bb.32:                               ;   in Loop: Header=BB208_5 Depth=1
	v_or_b32_e32 v1, 12, v87
	v_cmp_gt_i32_e64 s1, s8, v1
	s_and_b32 s1, s0, s1
	s_and_b32 exec_lo, exec_lo, s1
	s_cbranch_execz .LBB208_34
; %bb.33:                               ;   in Loop: Header=BB208_5 Depth=1
	v_ashrrev_i32_e32 v1, 31, v87
	v_add_co_u32 v2, s1, v71, v87
	v_add_co_ci_u32_e64 v3, null, v75, v1, s1
	v_mad_u64_u32 v[1:2], null, v2, 36, s[2:3]
	v_mad_i32_i24 v2, v3, 36, v2
	global_load_dword v1, v[1:2], off offset:432
	s_waitcnt vmcnt(0)
	v_cvt_f32_f16_e32 v1, v1
	ds_write_b32 v61, v1
.LBB208_34:                             ;   in Loop: Header=BB208_5 Depth=1
	s_or_b32 exec_lo, exec_lo, s4
	v_mov_b32_e32 v5, v57
	v_mov_b32_e32 v6, v60
	s_mov_b32 s1, 24
	s_waitcnt lgkmcnt(0)
	s_barrier
	buffer_gl0_inv
.LBB208_35:                             ;   Parent Loop BB208_5 Depth=1
                                        ; =>  This Inner Loop Header: Depth=2
	s_and_b32 s19, s1, 0x3ffffff8
	s_lshr_b32 s20, s1, 2
	v_lshl_add_u32 v99, s19, 2, v73
	s_and_b32 s19, s20, 0x3ffffffc
	s_and_b32 s5, s1, -16
	s_addk_i32 s19, 0x5280
	ds_read_b32 v7, v6
	ds_read_b128 v[87:90], v5
	ds_read_b128 v[1:4], v5 offset:16
	v_add3_u32 v101, s19, v80, v81
	v_add3_u32 v102, s19, v82, v83
	ds_read2_b32 v[91:92], v99 offset1:1
	ds_read2_b32 v[93:94], v99 offset0:2 offset1:3
	ds_read2_b32 v[95:96], v99 offset0:4 offset1:5
	;; [unrolled: 1-line block ×3, first 2 shown]
	s_add_i32 s5, s1, s5
	v_add3_u32 v104, s19, v84, v85
	v_add3_u32 v100, s19, v78, v79
	v_add_nc_u32_e32 v103, s5, v64
	v_add_nc_u32_e32 v107, s5, v65
	;; [unrolled: 1-line block ×16, first 2 shown]
	ds_read_b32 v135, v101
	ds_read_b32 v136, v102
	;; [unrolled: 1-line block ×4, first 2 shown]
	ds_read2_b32 v[99:100], v105 offset1:1
	ds_read2_b32 v[101:102], v106 offset1:1
	ds_read_u16 v139, v103 offset:16880
	ds_read2_b32 v[103:104], v108 offset1:1
	ds_read2_b32 v[105:106], v109 offset1:1
	ds_read_u16 v140, v107 offset:17904
	ds_read2_b32 v[107:108], v110 offset1:1
	ds_read2_b32 v[109:110], v111 offset1:1
	;; [unrolled: 1-line block ×6, first 2 shown]
	ds_read_u16 v141, v119 offset:18928
	ds_read2_b32 v[119:120], v120 offset1:1
	ds_read2_b32 v[121:122], v121 offset1:1
	ds_read_u16 v134, v134 offset:19952
	s_sub_i32 s4, s1, 24
	v_mov_b32_e32 v8, 0
	s_waitcnt lgkmcnt(23)
	v_ashrrev_i32_e32 v91, s4, v91
	s_waitcnt lgkmcnt(21)
	v_ashrrev_i32_e32 v95, s4, v95
	v_mov_b32_e32 v124, 0
	s_waitcnt lgkmcnt(15)
	v_ashrrev_i32_e32 v99, s4, v99
	s_waitcnt lgkmcnt(13)
	v_bfe_u32 v146, v139, 4, 4
	v_and_b32_e32 v91, 0x3030303, v91
	v_and_b32_e32 v95, 0x3030303, v95
	;; [unrolled: 1-line block ×3, first 2 shown]
	v_and_b32_sdwa v139, v86, v139 dst_sel:DWORD dst_unused:UNUSED_PAD src0_sel:DWORD src1_sel:BYTE_1
	s_waitcnt lgkmcnt(10)
	v_bfe_u32 v148, v140, 4, 4
	v_mul_lo_u32 v146, 0x1010101, v146
	v_dot4c_i32_i8 v8, v91, v87
	v_dot4c_i32_i8 v124, v95, v1
	v_lshrrev_b32_e32 v91, 4, v139
	s_waitcnt lgkmcnt(3)
	v_bfe_u32 v150, v141, 4, 4
	v_and_b32_e32 v95, 15, v139
	v_mul_lo_u32 v139, 0x1010101, v148
	s_waitcnt lgkmcnt(0)
	v_bfe_u32 v152, v134, 4, 4
	v_ashrrev_i32_e32 v107, s4, v107
	v_mul_lo_u32 v150, 0x1010101, v150
	v_ashrrev_i32_e32 v115, s4, v115
	v_mov_b32_e32 v123, 0
	v_mul_lo_u32 v152, 0x1010101, v152
	v_mov_b32_e32 v126, 0
	v_mov_b32_e32 v129, 0
	v_mov_b32_e32 v132, 0
	v_ashrrev_i32_e32 v92, s4, v92
	v_mov_b32_e32 v125, 0
	v_mov_b32_e32 v128, 0
	;; [unrolled: 1-line block ×3, first 2 shown]
	v_ashrrev_i32_e32 v100, s4, v100
	v_ashrrev_i32_e32 v108, s4, v108
	;; [unrolled: 1-line block ×3, first 2 shown]
	v_and_b32_e32 v99, 0x3030303, v99
	v_and_b32_e32 v107, 0x3030303, v107
	;; [unrolled: 1-line block ×3, first 2 shown]
	v_dot4c_i32_i8 v123, v146, v87
	v_dot4c_i32_i8 v126, v139, v87
	v_dot4c_i32_i8 v129, v150, v87
	v_dot4c_i32_i8 v132, v152, v87
	v_ashrrev_i32_e32 v93, s4, v93
	v_and_b32_e32 v92, 0x3030303, v92
	v_ashrrev_i32_e32 v96, s4, v96
	v_ashrrev_i32_e32 v103, s4, v103
	v_and_b32_e32 v149, 15, v140
	v_and_b32_sdwa v140, v86, v140 dst_sel:DWORD dst_unused:UNUSED_PAD src0_sel:DWORD src1_sel:BYTE_1
	v_ashrrev_i32_e32 v111, s4, v111
	v_and_b32_e32 v151, 15, v141
	v_and_b32_sdwa v141, v86, v141 dst_sel:DWORD dst_unused:UNUSED_PAD src0_sel:DWORD src1_sel:BYTE_1
	v_and_b32_e32 v153, 15, v134
	v_and_b32_sdwa v134, v86, v134 dst_sel:DWORD dst_unused:UNUSED_PAD src0_sel:DWORD src1_sel:BYTE_1
	v_ashrrev_i32_e32 v101, s4, v101
	v_ashrrev_i32_e32 v109, s4, v109
	;; [unrolled: 1-line block ×3, first 2 shown]
	v_and_b32_e32 v100, 0x3030303, v100
	v_and_b32_e32 v108, 0x3030303, v108
	;; [unrolled: 1-line block ×3, first 2 shown]
	v_dot4c_i32_i8 v125, v99, v87
	v_dot4c_i32_i8 v128, v107, v87
	;; [unrolled: 1-line block ×7, first 2 shown]
	v_ashrrev_i32_e32 v94, s4, v94
	v_and_b32_e32 v93, 0x3030303, v93
	v_dot4c_i32_i8 v8, v92, v88
	v_mov_b32_e32 v127, 0
	v_mov_b32_e32 v130, 0
	v_and_b32_e32 v96, 0x3030303, v96
	v_ashrrev_i32_e32 v104, s4, v104
	v_ashrrev_i32_e32 v112, s4, v112
	;; [unrolled: 1-line block ×3, first 2 shown]
	v_and_b32_e32 v103, 0x3030303, v103
	v_lshrrev_b32_e32 v148, 4, v140
	v_and_b32_e32 v111, 0x3030303, v111
	v_lshrrev_b32_e32 v154, 4, v141
	v_lshrrev_b32_e32 v155, 4, v134
	v_ashrrev_i32_e32 v97, s4, v97
	v_ashrrev_i32_e32 v102, s4, v102
	;; [unrolled: 1-line block ×4, first 2 shown]
	v_and_b32_e32 v101, 0x3030303, v101
	v_and_b32_e32 v109, 0x3030303, v109
	;; [unrolled: 1-line block ×3, first 2 shown]
	v_dot4c_i32_i8 v125, v100, v88
	v_dot4c_i32_i8 v128, v108, v88
	v_dot4c_i32_i8 v131, v116, v88
	v_dot4c_i32_i8 v123, v146, v89
	v_dot4c_i32_i8 v126, v139, v89
	v_dot4c_i32_i8 v129, v150, v89
	v_dot4c_i32_i8 v132, v152, v89
	v_and_b32_e32 v94, 0x3030303, v94
	v_dot4c_i32_i8 v8, v93, v89
	v_mov_b32_e32 v133, 0
	v_ashrrev_i32_e32 v105, s4, v105
	v_ashrrev_i32_e32 v113, s4, v113
	;; [unrolled: 1-line block ×3, first 2 shown]
	v_and_b32_e32 v104, 0x3030303, v104
	v_and_b32_e32 v112, 0x3030303, v112
	v_and_b32_e32 v119, 0x3030303, v119
	v_mul_lo_u32 v156, 0x1010101, v91
	v_dot4c_i32_i8 v124, v96, v2
	v_mul_lo_u32 v96, 0x1010101, v148
	v_dot4c_i32_i8 v127, v103, v1
	;; [unrolled: 2-line block ×3, first 2 shown]
	v_mul_lo_u32 v103, 0x1010101, v155
	v_ashrrev_i32_e32 v98, s4, v98
	v_and_b32_e32 v97, 0x3030303, v97
	v_and_b32_e32 v102, 0x3030303, v102
	;; [unrolled: 1-line block ×4, first 2 shown]
	v_dot4c_i32_i8 v125, v101, v89
	v_dot4c_i32_i8 v128, v109, v89
	;; [unrolled: 1-line block ×8, first 2 shown]
	v_ashrrev_i32_e32 v106, s4, v106
	v_ashrrev_i32_e32 v114, s4, v114
	;; [unrolled: 1-line block ×3, first 2 shown]
	v_and_b32_e32 v105, 0x3030303, v105
	v_and_b32_e32 v113, 0x3030303, v113
	;; [unrolled: 1-line block ×3, first 2 shown]
	v_dot4c_i32_i8 v133, v119, v1
	v_dot4c_i32_i8 v127, v104, v2
	v_dot4c_i32_i8 v130, v112, v2
	v_and_b32_e32 v98, 0x3030303, v98
	v_dot4c_i32_i8 v124, v97, v3
	v_dot4c_i32_i8 v125, v102, v90
	;; [unrolled: 1-line block ×8, first 2 shown]
	v_mul_lo_u32 v8, v147, v8
	v_ashrrev_i32_e32 v122, s4, v122
	v_and_b32_e32 v106, 0x3030303, v106
	v_and_b32_e32 v114, 0x3030303, v114
	;; [unrolled: 1-line block ×3, first 2 shown]
	v_dot4c_i32_i8 v133, v120, v2
	v_dot4c_i32_i8 v127, v105, v3
	;; [unrolled: 1-line block ×4, first 2 shown]
	v_mul_lo_u32 v87, v149, v125
	v_mul_lo_u32 v88, v151, v128
	;; [unrolled: 1-line block ×3, first 2 shown]
	v_dot4c_i32_i8 v123, v156, v2
	v_dot4c_i32_i8 v126, v96, v2
	;; [unrolled: 1-line block ×4, first 2 shown]
	v_and_b32_e32 v140, 15, v140
	v_and_b32_e32 v141, 15, v141
	;; [unrolled: 1-line block ×3, first 2 shown]
	v_dot4c_i32_i8 v133, v121, v3
	v_dot4c_i32_i8 v127, v106, v4
	;; [unrolled: 1-line block ×3, first 2 shown]
	v_mad_u64_u32 v[90:91], null, v95, v124, v[8:9]
	v_dot4c_i32_i8 v123, v156, v3
	v_dot4c_i32_i8 v126, v96, v3
	;; [unrolled: 1-line block ×4, first 2 shown]
	v_and_b32_e32 v134, 15, v134
	v_dot4c_i32_i8 v133, v122, v4
	v_mad_u64_u32 v[91:92], null, v140, v127, v[87:88]
	v_mad_u64_u32 v[87:88], null, v141, v130, v[88:89]
	v_dot4c_i32_i8 v123, v156, v4
	v_dot4c_i32_i8 v126, v96, v4
	;; [unrolled: 1-line block ×4, first 2 shown]
	v_mad_u64_u32 v[1:2], null, v134, v133, v[89:90]
	v_cvt_f32_f16_sdwa v142, v138 dst_sel:DWORD dst_unused:UNUSED_PAD src0_sel:WORD_1
	v_cvt_f32_f16_sdwa v143, v135 dst_sel:DWORD dst_unused:UNUSED_PAD src0_sel:WORD_1
	;; [unrolled: 1-line block ×4, first 2 shown]
	v_cvt_f32_i32_e32 v4, v87
	v_cvt_f32_i32_e32 v8, v123
	;; [unrolled: 1-line block ×8, first 2 shown]
	v_mul_f32_e32 v8, v142, v8
	v_mul_f32_e32 v87, v143, v87
	;; [unrolled: 1-line block ×4, first 2 shown]
	v_add_nc_u32_e32 v6, 4, v6
	v_fma_mix_f32 v2, v138, v2, -v8 op_sel_hi:[1,0,0]
	v_fma_mix_f32 v3, v135, v3, -v87 op_sel_hi:[1,0,0]
	;; [unrolled: 1-line block ×4, first 2 shown]
	v_add_nc_u32_e32 v5, 32, v5
	v_fmac_f32_e32 v29, v7, v2
	v_fmac_f32_e32 v62, v7, v3
	;; [unrolled: 1-line block ×4, first 2 shown]
	s_add_i32 s4, s1, 2
	s_cmp_lt_u32 s1, 30
	s_mov_b32 s1, s4
	s_cbranch_scc1 .LBB208_35
; %bb.36:                               ;   in Loop: Header=BB208_5 Depth=1
	s_barrier
	buffer_gl0_inv
	s_branch .LBB208_4
.LBB208_37:
	s_mul_i32 s0, s14, s11
	s_waitcnt vmcnt(0)
	v_cmp_gt_i32_e32 vcc_lo, s0, v28
	s_and_saveexec_b32 s0, vcc_lo
	s_cbranch_execz .LBB208_46
; %bb.38:
	v_add_nc_u32_e32 v1, s6, v0
	v_mul_lo_u32 v0, v28, s13
	s_mov_b32 s0, exec_lo
	v_cmpx_gt_u32_e64 s13, v1
	s_cbranch_execz .LBB208_40
; %bb.39:
	v_add_nc_u32_e32 v2, v0, v1
	v_mov_b32_e32 v3, 0
	v_cvt_f16_f32_e32 v4, v29
	v_lshlrev_b64 v[2:3], 1, v[2:3]
	v_add_co_u32 v2, vcc_lo, s16, v2
	v_add_co_ci_u32_e64 v3, null, s17, v3, vcc_lo
	global_store_short v[2:3], v4, off
.LBB208_40:
	s_or_b32 exec_lo, exec_lo, s0
	v_add_nc_u32_e32 v2, 32, v1
	s_mov_b32 s0, exec_lo
	v_cmpx_gt_u32_e64 s13, v2
	s_cbranch_execz .LBB208_42
; %bb.41:
	v_add_nc_u32_e32 v2, v0, v2
	v_mov_b32_e32 v3, 0
	v_cvt_f16_f32_e32 v4, v62
	v_lshlrev_b64 v[2:3], 1, v[2:3]
	v_add_co_u32 v2, vcc_lo, s16, v2
	v_add_co_ci_u32_e64 v3, null, s17, v3, vcc_lo
	global_store_short v[2:3], v4, off
.LBB208_42:
	s_or_b32 exec_lo, exec_lo, s0
	v_add_nc_u32_e32 v2, 64, v1
	s_mov_b32 s0, exec_lo
	v_cmpx_gt_u32_e64 s13, v2
	s_cbranch_execz .LBB208_44
; %bb.43:
	v_add_nc_u32_e32 v2, v0, v2
	v_mov_b32_e32 v3, 0
	v_cvt_f16_f32_e32 v4, v58
	v_lshlrev_b64 v[2:3], 1, v[2:3]
	v_add_co_u32 v2, vcc_lo, s16, v2
	v_add_co_ci_u32_e64 v3, null, s17, v3, vcc_lo
	global_store_short v[2:3], v4, off
.LBB208_44:
	s_or_b32 exec_lo, exec_lo, s0
	v_add_nc_u32_e32 v1, 0x60, v1
	v_cmp_gt_u32_e32 vcc_lo, s13, v1
	s_and_b32 exec_lo, exec_lo, vcc_lo
	s_cbranch_execz .LBB208_46
; %bb.45:
	v_add_nc_u32_e32 v0, v0, v1
	v_mov_b32_e32 v1, 0
	v_cvt_f16_f32_e32 v2, v25
	v_lshlrev_b64 v[0:1], 1, v[0:1]
	v_add_co_u32 v0, vcc_lo, s16, v0
	v_add_co_ci_u32_e64 v1, null, s17, v1, vcc_lo
	global_store_short v[0:1], v2, off
.LBB208_46:
	s_endpgm
	.section	.rodata,"a",@progbits
	.p2align	6, 0x0
	.amdhsa_kernel _ZL8moe_q2_KIN3c104HalfELb1EEvPKvS3_PT_PKiS7_S7_iiiiiii
		.amdhsa_group_segment_fixed_size 23328
		.amdhsa_private_segment_fixed_size 0
		.amdhsa_kernarg_size 76
		.amdhsa_user_sgpr_count 6
		.amdhsa_user_sgpr_private_segment_buffer 1
		.amdhsa_user_sgpr_dispatch_ptr 0
		.amdhsa_user_sgpr_queue_ptr 0
		.amdhsa_user_sgpr_kernarg_segment_ptr 1
		.amdhsa_user_sgpr_dispatch_id 0
		.amdhsa_user_sgpr_flat_scratch_init 0
		.amdhsa_user_sgpr_private_segment_size 0
		.amdhsa_wavefront_size32 1
		.amdhsa_uses_dynamic_stack 0
		.amdhsa_system_sgpr_private_segment_wavefront_offset 0
		.amdhsa_system_sgpr_workgroup_id_x 1
		.amdhsa_system_sgpr_workgroup_id_y 1
		.amdhsa_system_sgpr_workgroup_id_z 0
		.amdhsa_system_sgpr_workgroup_info 0
		.amdhsa_system_vgpr_workitem_id 1
		.amdhsa_next_free_vgpr 159
		.amdhsa_next_free_sgpr 23
		.amdhsa_reserve_vcc 1
		.amdhsa_reserve_flat_scratch 0
		.amdhsa_float_round_mode_32 0
		.amdhsa_float_round_mode_16_64 0
		.amdhsa_float_denorm_mode_32 3
		.amdhsa_float_denorm_mode_16_64 3
		.amdhsa_dx10_clamp 1
		.amdhsa_ieee_mode 1
		.amdhsa_fp16_overflow 0
		.amdhsa_workgroup_processor_mode 1
		.amdhsa_memory_ordered 1
		.amdhsa_forward_progress 1
		.amdhsa_shared_vgpr_count 0
		.amdhsa_exception_fp_ieee_invalid_op 0
		.amdhsa_exception_fp_denorm_src 0
		.amdhsa_exception_fp_ieee_div_zero 0
		.amdhsa_exception_fp_ieee_overflow 0
		.amdhsa_exception_fp_ieee_underflow 0
		.amdhsa_exception_fp_ieee_inexact 0
		.amdhsa_exception_int_div_zero 0
	.end_amdhsa_kernel
	.section	.text._ZL8moe_q2_KIN3c104HalfELb1EEvPKvS3_PT_PKiS7_S7_iiiiiii,"axG",@progbits,_ZL8moe_q2_KIN3c104HalfELb1EEvPKvS3_PT_PKiS7_S7_iiiiiii,comdat
.Lfunc_end208:
	.size	_ZL8moe_q2_KIN3c104HalfELb1EEvPKvS3_PT_PKiS7_S7_iiiiiii, .Lfunc_end208-_ZL8moe_q2_KIN3c104HalfELb1EEvPKvS3_PT_PKiS7_S7_iiiiiii
                                        ; -- End function
	.set _ZL8moe_q2_KIN3c104HalfELb1EEvPKvS3_PT_PKiS7_S7_iiiiiii.num_vgpr, 159
	.set _ZL8moe_q2_KIN3c104HalfELb1EEvPKvS3_PT_PKiS7_S7_iiiiiii.num_agpr, 0
	.set _ZL8moe_q2_KIN3c104HalfELb1EEvPKvS3_PT_PKiS7_S7_iiiiiii.numbered_sgpr, 23
	.set _ZL8moe_q2_KIN3c104HalfELb1EEvPKvS3_PT_PKiS7_S7_iiiiiii.num_named_barrier, 0
	.set _ZL8moe_q2_KIN3c104HalfELb1EEvPKvS3_PT_PKiS7_S7_iiiiiii.private_seg_size, 0
	.set _ZL8moe_q2_KIN3c104HalfELb1EEvPKvS3_PT_PKiS7_S7_iiiiiii.uses_vcc, 1
	.set _ZL8moe_q2_KIN3c104HalfELb1EEvPKvS3_PT_PKiS7_S7_iiiiiii.uses_flat_scratch, 0
	.set _ZL8moe_q2_KIN3c104HalfELb1EEvPKvS3_PT_PKiS7_S7_iiiiiii.has_dyn_sized_stack, 0
	.set _ZL8moe_q2_KIN3c104HalfELb1EEvPKvS3_PT_PKiS7_S7_iiiiiii.has_recursion, 0
	.set _ZL8moe_q2_KIN3c104HalfELb1EEvPKvS3_PT_PKiS7_S7_iiiiiii.has_indirect_call, 0
	.section	.AMDGPU.csdata,"",@progbits
; Kernel info:
; codeLenInByte = 9836
; TotalNumSgprs: 25
; NumVgprs: 159
; ScratchSize: 0
; MemoryBound: 0
; FloatMode: 240
; IeeeMode: 1
; LDSByteSize: 23328 bytes/workgroup (compile time only)
; SGPRBlocks: 0
; VGPRBlocks: 19
; NumSGPRsForWavesPerEU: 25
; NumVGPRsForWavesPerEU: 159
; Occupancy: 6
; WaveLimiterHint : 1
; COMPUTE_PGM_RSRC2:SCRATCH_EN: 0
; COMPUTE_PGM_RSRC2:USER_SGPR: 6
; COMPUTE_PGM_RSRC2:TRAP_HANDLER: 0
; COMPUTE_PGM_RSRC2:TGID_X_EN: 1
; COMPUTE_PGM_RSRC2:TGID_Y_EN: 1
; COMPUTE_PGM_RSRC2:TGID_Z_EN: 0
; COMPUTE_PGM_RSRC2:TIDIG_COMP_CNT: 1
	.section	.text._ZL8moe_q3_KIN3c104HalfELb0EEvPKvS3_PT_PKiS7_S7_iiiiiii,"axG",@progbits,_ZL8moe_q3_KIN3c104HalfELb0EEvPKvS3_PT_PKiS7_S7_iiiiiii,comdat
	.globl	_ZL8moe_q3_KIN3c104HalfELb0EEvPKvS3_PT_PKiS7_S7_iiiiiii ; -- Begin function _ZL8moe_q3_KIN3c104HalfELb0EEvPKvS3_PT_PKiS7_S7_iiiiiii
	.p2align	8
	.type	_ZL8moe_q3_KIN3c104HalfELb0EEvPKvS3_PT_PKiS7_S7_iiiiiii,@function
_ZL8moe_q3_KIN3c104HalfELb0EEvPKvS3_PT_PKiS7_S7_iiiiiii: ; @_ZL8moe_q3_KIN3c104HalfELb0EEvPKvS3_PT_PKiS7_S7_iiiiiii
; %bb.0:
	s_load_dwordx4 s[0:3], s[4:5], 0x18
	s_mov_b32 s8, s7
	s_mov_b32 s9, 0
	s_lshl_b64 s[10:11], s[8:9], 2
	s_waitcnt lgkmcnt(0)
	s_add_u32 s2, s2, s10
	s_addc_u32 s3, s3, s11
	s_load_dword s7, s[2:3], 0x0
	s_waitcnt lgkmcnt(0)
	s_cmpk_gt_u32 s7, 0xff
	s_cbranch_scc1 .LBB209_46
; %bb.1:
	s_load_dwordx2 s[2:3], s[4:5], 0x28
	s_waitcnt lgkmcnt(0)
	s_load_dword s3, s[2:3], 0x0
	s_lshl_b32 s2, s8, 3
	s_waitcnt lgkmcnt(0)
	s_cmp_gt_u32 s2, s3
	s_cbranch_scc1 .LBB209_46
; %bb.2:
	v_add_nc_u32_e32 v2, s2, v1
	v_mov_b32_e32 v3, 0
	s_lshl_b32 s6, s6, 7
	v_lshlrev_b64 v[4:5], 2, v[2:3]
	v_mov_b32_e32 v84, v3
	v_mov_b32_e32 v87, v3
	;; [unrolled: 1-line block ×3, first 2 shown]
	v_add_co_u32 v4, vcc_lo, s0, v4
	v_add_co_ci_u32_e64 v5, null, s1, v5, vcc_lo
	global_load_dword v22, v[4:5], off
	s_clause 0x2
	s_load_dwordx2 s[14:15], s[4:5], 0x30
	s_load_dwordx2 s[12:13], s[4:5], 0x10
	s_load_dwordx4 s[8:11], s[4:5], 0x3c
	s_waitcnt lgkmcnt(0)
	s_cmpk_lt_i32 s15, 0x100
	s_cbranch_scc1 .LBB209_37
; %bb.3:
	s_load_dwordx4 s[0:3], s[4:5], 0x0
	s_ashr_i32 s4, s15, 31
	s_ashr_i32 s5, s9, 31
	s_lshr_b32 s4, s4, 24
	s_lshr_b32 s5, s5, 27
	s_add_i32 s4, s15, s4
	s_mul_i32 s14, s7, s14
	s_ashr_i32 s7, s4, 8
	s_add_i32 s4, s9, s5
	s_mul_i32 s5, s7, s6
	s_ashr_i32 s16, s14, 31
	s_ashr_i32 s9, s4, 5
	s_mul_hi_i32 s4, s5, 0x6e
	s_mulk_i32 s5, 0x6e
	v_lshrrev_b32_e32 v24, 4, v0
	v_and_b32_e32 v2, 15, v0
	v_lshlrev_b32_e32 v4, 4, v1
	v_lshrrev_b32_e32 v5, 1, v0
	v_lshlrev_b32_e32 v6, 1, v1
	v_and_b32_e32 v25, 1, v0
	s_waitcnt lgkmcnt(0)
	s_add_u32 s0, s0, s14
	s_addc_u32 s1, s1, s16
	s_add_u32 s14, s0, s5
	s_addc_u32 s16, s1, s4
	s_lshl_b32 s0, s7, 3
	v_lshlrev_b32_e32 v28, 2, v2
	v_mad_i32_i24 v26, s7, v1, s0
	v_add_nc_u32_e32 v9, v5, v4
	v_add_nc_u32_e32 v11, v24, v6
	v_cmp_lt_u32_e32 vcc_lo, 7, v2
	v_add_nc_u16 v2, v24, v6
	v_add_nc_u32_e32 v27, s0, v26
	v_mov_b32_e32 v8, 2
	v_lshlrev_b32_e32 v10, 2, v25
	v_and_b32_e32 v6, 0x7f, v9
	v_lshrrev_b32_e32 v9, 2, v9
	v_add_nc_u32_e32 v30, s0, v27
	v_lshrrev_b16 v2, 1, v2
	v_add_nc_u32_e32 v13, 16, v11
	v_add_nc_u32_e32 v14, 32, v11
	;; [unrolled: 1-line block ×4, first 2 shown]
	v_mul_i32_i24_e32 v57, s7, v6
	v_lshl_or_b32 v6, v6, 3, v10
	v_and_b32_e32 v9, 28, v9
	v_lshlrev_b32_sdwa v2, v8, v2 dst_sel:DWORD dst_unused:UNUSED_PAD src0_sel:DWORD src1_sel:WORD_0
	v_add_nc_u32_e32 v37, s0, v33
	v_lshlrev_b32_e32 v10, 1, v13
	v_add_nc_u32_e32 v16, 64, v11
	v_lshlrev_b32_e32 v17, 1, v14
	v_lshlrev_b32_e32 v18, 1, v15
	v_add_nc_u32_e32 v42, s0, v37
	v_add3_u32 v60, v6, v9, 0x7380
	v_add3_u32 v6, v2, v28, 0x4200
	v_and_b32_e32 v2, 0xffc, v10
	v_and_b32_e32 v9, 0xffc, v17
	v_add_nc_u32_e32 v47, s0, v42
	v_and_b32_e32 v10, 0xffc, v18
	v_add_nc_u32_e32 v18, 0x50, v11
	v_add3_u32 v17, v2, v28, 0x4200
	v_lshlrev_b32_e32 v2, 1, v16
	v_add_nc_u32_e32 v52, s0, v47
	s_abs_i32 s4, s11
	v_lshlrev_b32_e32 v19, 1, v18
	s_lshl_b32 s1, s7, 4
	v_and_b32_e32 v2, 0xffc, v2
	v_add_nc_u32_e32 v55, s0, v52
	v_mul_i32_i24_e32 v54, s7, v11
	v_lshlrev_b32_e32 v12, 6, v11
	v_mad_i32_i24 v62, s7, v11, s1
	v_add3_u32 v21, v2, v28, 0x4200
	v_and_b32_e32 v2, 0xffc, v19
	v_add_nc_u32_e32 v56, s0, v55
	v_add_nc_u32_e32 v20, 0x60, v11
	;; [unrolled: 1-line block ×3, first 2 shown]
	v_and_b32_e32 v7, 7, v0
	v_add3_u32 v84, v2, v28, 0x4200
	v_cvt_f32_u32_e32 v2, s4
	v_add_nc_u32_e32 v58, s0, v56
	v_lshlrev_b32_e32 v70, 1, v11
	v_cndmask_b32_e64 v31, 0, 1, vcc_lo
	v_and_b32_e32 v75, 3, v0
	v_rcp_iflag_f32_e32 v2, v2
	v_add_nc_u32_e32 v59, s0, v58
	v_and_b32_e32 v72, 0xffc, v70
	v_cmp_lt_u32_e32 vcc_lo, 3, v7
	v_lshrrev_b32_e32 v70, 3, v0
	v_add_nc_u16 v73, v75, -2
	v_add_nc_u32_e32 v61, s0, v59
	v_add3_u32 v87, v72, v28, 0x4200
	v_cndmask_b32_e64 v72, 0, 1, vcc_lo
	v_cmp_gt_u32_e32 vcc_lo, 2, v75
	v_mul_f32_e32 v2, 0x4f7ffffe, v2
	v_add_nc_u32_e32 v63, s0, v61
	v_lshlrev_b32_e32 v32, 2, v7
	v_lshl_add_u32 v78, v1, 2, v70
	v_cndmask_b32_e32 v7, v73, v75, vcc_lo
	v_cvt_u32_f32_e32 v2, v2
	v_add_nc_u32_e32 v65, s0, v63
	s_sub_i32 s0, 0, s4
	s_waitcnt vmcnt(0)
	v_sub_nc_u32_e32 v81, 0, v22
	v_lshlrev_b32_sdwa v74, v8, v7 dst_sel:DWORD dst_unused:UNUSED_PAD src0_sel:DWORD src1_sel:BYTE_0
	v_mul_lo_u32 v79, s0, v2
	v_add_nc_u32_e32 v7, 32, v78
	v_add_nc_u32_e32 v83, 0x60, v78
	v_max_i32_e32 v85, v22, v81
	v_lshlrev_b32_e32 v3, 2, v0
	v_and_b32_e32 v77, 0x7fc, v78
	v_and_b32_e32 v80, 0xffc, v7
	v_mul_i32_i24_e32 v34, s7, v1
	v_mul_hi_u32 v79, v2, v79
	v_mad_u32_u24 v29, 0x84, v1, v3
	s_lshl_b32 s0, s7, 5
	v_add3_u32 v109, v80, v32, 0x6300
	v_and_b32_e32 v80, 0xffc, v83
	v_add3_u32 v8, v77, v32, 0x6300
	v_mad_i32_i24 v77, s7, v78, s0
	v_add_nc_u32_e32 v82, 64, v78
	v_add_nc_u32_e32 v2, v2, v79
	v_add3_u32 v112, v80, v32, 0x6300
	v_lshl_add_u32 v80, v1, 7, 0x77a0
	v_mul_i32_i24_e32 v76, s7, v78
	v_lshlrev_b32_e32 v108, 5, v78
	v_mul_hi_u32 v2, v85, v2
	v_and_b32_e32 v79, 0xffc, v82
	v_add_nc_u32_e32 v78, s0, v77
	v_add_nc_u32_e32 v64, s1, v62
	v_lshlrev_b32_e32 v19, 1, v20
	v_add_nc_u32_e32 v91, 32, v0
	v_add3_u32 v110, v79, v32, 0x6300
	v_add_nc_u32_e32 v79, s0, v78
	v_mul_lo_u32 v1, v2, s4
	v_add_nc_u32_e32 v66, s1, v64
	v_add_nc_u32_e32 v92, 64, v0
	;; [unrolled: 1-line block ×3, first 2 shown]
	v_and_b32_e32 v19, 0xffc, v19
	v_add_nc_u32_e32 v81, 0x7ba0, v4
	v_add_nc_u32_e32 v67, s1, v66
	v_lshlrev_b32_e32 v94, 5, v0
	v_sub_nc_u32_e32 v1, v85, v1
	v_add_nc_u32_e32 v85, 1, v2
	v_lshlrev_b32_e32 v120, 4, v92
	v_add_nc_u32_e32 v68, s1, v67
	v_lshrrev_b32_e32 v119, 1, v92
	v_subrev_nc_u32_e32 v86, s4, v1
	v_cmp_le_u32_e64 s0, s4, v1
	v_lshlrev_b32_e32 v122, 1, v92
	v_lshrrev_b32_e32 v121, 4, v92
	v_lshlrev_b32_e32 v124, 4, v93
	v_lshrrev_b32_e32 v123, 1, v93
	v_cndmask_b32_e64 v2, v2, v85, s0
	v_cndmask_b32_e64 v1, v1, v86, s0
	v_xor_b32_e32 v85, s11, v22
	v_lshlrev_b32_e32 v127, 1, v93
	v_lshrrev_b32_e32 v126, 4, v93
	v_add_nc_u32_e32 v86, 1, v2
	v_cmp_le_u32_e64 s0, s4, v1
	v_ashrrev_i32_e32 v85, 31, v85
	v_lshrrev_b32_e32 v88, 3, v93
	v_and_b32_e32 v93, 0x1fc, v93
	v_and_b32_e32 v95, 0x1fc, v91
	v_cndmask_b32_e64 v1, v2, v86, s0
	v_lshrrev_b32_e32 v86, 3, v92
	v_and_b32_e32 v92, 0x1fc, v92
	v_and_b32_e32 v96, 0xfc, v0
	v_add_nc_u32_e32 v69, s1, v68
	v_xor_b32_e32 v1, v1, v85
	v_and_b32_e32 v90, 28, v3
	v_lshlrev_b32_e32 v13, 6, v13
	v_add3_u32 v9, v9, v28, 0x4200
	v_lshlrev_b32_e32 v14, 6, v14
	v_sub_nc_u32_e32 v1, v1, v85
	v_add3_u32 v10, v10, v28, 0x4200
	v_lshlrev_b32_e32 v15, 6, v15
	v_lshlrev_b32_e32 v16, 6, v16
	;; [unrolled: 1-line block ×3, first 2 shown]
	v_mul_lo_u32 v89, v1, s9
	v_add3_u32 v19, v19, v28, 0x4200
	v_lshlrev_b32_e32 v20, 6, v20
	v_lshlrev_b32_e32 v11, 6, v11
	;; [unrolled: 1-line block ×5, first 2 shown]
	v_and_b32_e32 v82, 31, v0
	v_lshlrev_b32_e32 v4, 5, v83
	v_add_nc_u32_e32 v83, v81, v3
	v_mul_u32_u24_e32 v3, 33, v0
	v_lshlrev_b32_e32 v113, 4, v0
	v_lshlrev_b32_e32 v116, 4, v91
	v_lshrrev_b32_e32 v115, 1, v91
	v_lshlrev_b32_e32 v118, 1, v91
	v_lshrrev_b32_e32 v117, 4, v91
	v_lshrrev_b32_e32 v85, 3, v91
	v_add_nc_u32_e32 v91, v94, v93
	v_add_nc_u32_e32 v92, v94, v92
	;; [unrolled: 1-line block ×5, first 2 shown]
	v_cmp_gt_u32_e32 vcc_lo, 4, v0
	v_cmp_gt_i32_e64 s0, s8, v1
	v_add_co_u32 v1, s1, s2, v90
	v_mov_b32_e32 v23, 0
	v_add_nc_u32_e32 v35, 0x420, v29
	v_add_nc_u32_e32 v36, 0x840, v29
	;; [unrolled: 1-line block ×15, first 2 shown]
	v_and_b32_e32 v73, 4, v114
	v_lshlrev_b32_e32 v75, 1, v75
	v_lshl_add_u32 v82, v82, 2, v80
	v_add_co_ci_u32_e64 v2, null, s3, 0, s1
	v_lshlrev_b32_e32 v90, 2, v3
	v_ashrrev_i32_e32 v95, 31, v89
	v_add_nc_u32_e32 v96, 0x6f00, v91
	v_add_nc_u32_e32 v97, 0x6b00, v92
	;; [unrolled: 1-line block ×16, first 2 shown]
	v_lshlrev_b32_e32 v112, 2, v5
	v_lshlrev_b32_e32 v113, 2, v113
	;; [unrolled: 1-line block ×16, first 2 shown]
	v_mov_b32_e32 v87, 0
	v_mov_b32_e32 v84, 0
	v_mov_b32_e32 v3, 0
	s_mov_b32 s17, 0
	s_and_b32 s18, vcc_lo, s0
	s_branch .LBB209_5
.LBB209_4:                              ;   in Loop: Header=BB209_5 Depth=1
	s_add_i32 s17, s17, 2
	s_cmp_ge_i32 s17, s7
	s_cbranch_scc1 .LBB209_37
.LBB209_5:                              ; =>This Loop Header: Depth=1
                                        ;     Child Loop BB209_11 Depth 2
                                        ;     Child Loop BB209_19 Depth 2
	;; [unrolled: 1-line block ×4, first 2 shown]
	s_mul_i32 s1, s17, 0x6e
	s_mul_hi_u32 s5, s17, 0x6e
	s_add_u32 s4, s14, s1
	s_addc_u32 s5, s16, s5
	v_mad_u64_u32 v[4:5], null, 0x6e, v24, s[4:5]
	v_mad_u64_u32 v[6:7], null, 0x6e, v34, v[4:5]
	;; [unrolled: 1-line block ×5, first 2 shown]
	v_add_co_u32 v6, s1, v6, v28
	v_mad_u64_u32 v[14:15], null, 0x6e, v33, v[4:5]
	v_add_co_ci_u32_e64 v7, null, 0, v7, s1
	v_add_co_u32 v8, s1, v8, v28
	v_mad_u64_u32 v[16:17], null, 0x6e, v37, v[4:5]
	v_add_co_ci_u32_e64 v9, null, 0, v9, s1
	;; [unrolled: 3-line block ×4, first 2 shown]
	v_add_co_u32 v14, s1, v14, v28
	v_add_co_ci_u32_e64 v15, null, 0, v15, s1
	v_add_co_u32 v16, s1, v16, v28
	v_add_co_ci_u32_e64 v17, null, 0, v17, s1
	;; [unrolled: 2-line block ×3, first 2 shown]
	v_add_co_u32 v20, s1, v20, v28
	v_mad_u64_u32 v[128:129], null, 0x6e, v52, v[4:5]
	v_add_co_ci_u32_e64 v21, null, 0, v21, s1
	s_clause 0x7
	global_load_dword v132, v[6:7], off offset:32
	global_load_dword v133, v[8:9], off offset:32
	;; [unrolled: 1-line block ×8, first 2 shown]
	v_mad_u64_u32 v[6:7], null, 0x6e, v55, v[4:5]
	v_mad_u64_u32 v[10:11], null, 0x6e, v56, v[4:5]
	;; [unrolled: 1-line block ×3, first 2 shown]
	v_add_co_u32 v8, s1, v128, v28
	v_mad_u64_u32 v[14:15], null, 0x6e, v59, v[4:5]
	v_add_co_ci_u32_e64 v9, null, 0, v129, s1
	v_add_co_u32 v6, s1, v6, v28
	v_mad_u64_u32 v[16:17], null, 0x6e, v61, v[4:5]
	v_add_co_ci_u32_e64 v7, null, 0, v7, s1
	;; [unrolled: 3-line block ×5, first 2 shown]
	v_add_co_u32 v16, s1, v16, v28
	v_add_co_ci_u32_e64 v17, null, 0, v17, s1
	v_add_co_u32 v18, s1, v18, v28
	v_add_co_ci_u32_e64 v19, null, 0, v19, s1
	v_add_co_u32 v4, s1, v4, v28
	v_mad_u64_u32 v[128:129], null, 0x6e, v57, s[4:5]
	v_add_co_ci_u32_e64 v5, null, 0, v5, s1
	v_add_co_u32 v20, s1, v20, v32
	v_add_co_ci_u32_e64 v21, null, 0, v21, s1
	s_clause 0x7
	global_load_dword v140, v[8:9], off offset:32
	global_load_dword v141, v[6:7], off offset:32
	;; [unrolled: 1-line block ×8, first 2 shown]
	v_mad_u64_u32 v[14:15], null, 0x6e, v72, s[4:5]
	v_mad_u64_u32 v[4:5], null, 0x6e, v25, v[128:129]
	;; [unrolled: 1-line block ×10, first 2 shown]
	s_clause 0x7
	global_load_ushort v148, v[4:5], off offset:108
	global_load_dword v149, v[6:7], off
	global_load_dword v150, v[8:9], off
	;; [unrolled: 1-line block ×7, first 2 shown]
	v_mad_u64_u32 v[6:7], null, 0x6e, v77, v[14:15]
	v_mad_u64_u32 v[10:11], null, 0x6e, v78, v[14:15]
	;; [unrolled: 1-line block ×4, first 2 shown]
	v_add_co_u32 v8, s1, v130, v74
	v_add_co_ci_u32_e64 v9, null, 0, v131, s1
	v_add_co_u32 v14, s1, v6, v74
	v_add_co_ci_u32_e64 v15, null, 0, v7, s1
	;; [unrolled: 2-line block ×4, first 2 shown]
	s_clause 0x8
	global_load_dword v4, v[4:5], off
	global_load_dword v5, v[8:9], off offset:96
	global_load_dword v8, v[12:13], off offset:104
	;; [unrolled: 1-line block ×8, first 2 shown]
	s_lshl_b32 s4, s17, 8
	s_cmp_lt_i32 s4, s15
	s_waitcnt vmcnt(16)
	v_cvt_f32_f16_e32 v13, v148
	ds_write_b32 v29, v132
	ds_write_b32 v35, v133
	;; [unrolled: 1-line block ×17, first 2 shown]
	s_waitcnt vmcnt(15)
	v_not_b32_e32 v13, v149
	s_waitcnt vmcnt(14)
	v_not_b32_e32 v14, v150
	;; [unrolled: 2-line block ×6, first 2 shown]
	ds_write_b32 v100, v13
	ds_write_b32 v101, v14
	;; [unrolled: 1-line block ×5, first 2 shown]
	s_waitcnt vmcnt(9)
	v_not_b32_e32 v19, v128
	ds_write_b32 v105, v18
	ds_write_b32 v106, v19
	s_waitcnt vmcnt(8)
	v_not_b32_e32 v4, v4
	s_waitcnt vmcnt(7)
	v_ashrrev_i32_e32 v5, v73, v5
	s_waitcnt vmcnt(6)
	v_ashrrev_i32_e32 v8, v75, v8
	;; [unrolled: 2-line block ×8, first 2 shown]
	v_and_b32_e32 v5, 0xf0f0f0f, v5
	v_lshlrev_b32_e32 v7, 4, v7
	v_and_b32_e32 v10, 0xf0f0f0f, v10
	v_lshlrev_b32_e32 v6, 4, v6
	;; [unrolled: 2-line block ×4, first 2 shown]
	v_and_or_b32 v5, 0x30303030, v7, v5
	v_and_or_b32 v6, 0x30303030, v6, v10
	;; [unrolled: 1-line block ×4, first 2 shown]
	v_lshrrev_b32_e32 v9, 16, v5
	v_and_b32_e32 v10, 0x3f00, v5
	v_lshlrev_b16 v5, 8, v5
	v_lshrrev_b32_e32 v11, 16, v6
	v_lshrrev_b32_e32 v13, 16, v7
	v_and_b32_e32 v12, 0x3f00, v6
	v_lshlrev_b16 v6, 8, v6
	v_lshrrev_b32_e32 v15, 16, v8
	v_and_b32_e32 v17, 0x3f00, v9
	v_lshlrev_b16 v9, 8, v9
	v_add_nc_u16 v5, 0xe000, v5
	v_and_b32_e32 v18, 0x3f00, v11
	v_lshlrev_b16 v11, 8, v11
	v_and_b32_e32 v20, 0x3f00, v13
	v_lshlrev_b16 v13, 8, v13
	v_add_nc_u16 v6, 0xe000, v6
	v_and_b32_e32 v21, 0x3f00, v15
	v_lshlrev_b16 v15, 8, v15
	v_add_nc_u16 v9, 0xe000, v9
	v_or_b32_sdwa v5, v10, v5 dst_sel:DWORD dst_unused:UNUSED_PAD src0_sel:DWORD src1_sel:BYTE_1
	v_add_nc_u16 v10, 0xe000, v11
	v_and_b32_e32 v14, 0x3f00, v7
	v_lshlrev_b16 v7, 8, v7
	v_add_nc_u16 v11, 0xe000, v13
	v_and_b32_e32 v16, 0x3f00, v8
	v_lshlrev_b16 v8, 8, v8
	v_or_b32_sdwa v6, v12, v6 dst_sel:DWORD dst_unused:UNUSED_PAD src0_sel:DWORD src1_sel:BYTE_1
	v_add_nc_u16 v12, 0xe000, v15
	v_or_b32_sdwa v9, v17, v9 dst_sel:DWORD dst_unused:UNUSED_PAD src0_sel:DWORD src1_sel:BYTE_1
	v_or_b32_sdwa v10, v18, v10 dst_sel:DWORD dst_unused:UNUSED_PAD src0_sel:DWORD src1_sel:BYTE_1
	v_add_nc_u16 v7, 0xe000, v7
	v_or_b32_sdwa v11, v20, v11 dst_sel:DWORD dst_unused:UNUSED_PAD src0_sel:DWORD src1_sel:BYTE_1
	v_add_nc_u16 v8, 0xe000, v8
	;; [unrolled: 2-line block ×3, first 2 shown]
	v_add_nc_u16 v10, 0xe000, v10
	v_or_b32_sdwa v7, v14, v7 dst_sel:DWORD dst_unused:UNUSED_PAD src0_sel:DWORD src1_sel:BYTE_1
	v_add_nc_u16 v11, 0xe000, v11
	v_or_b32_sdwa v8, v16, v8 dst_sel:DWORD dst_unused:UNUSED_PAD src0_sel:DWORD src1_sel:BYTE_1
	v_add_nc_u16 v12, 0xe000, v12
	v_add_nc_u16 v5, 0xe000, v5
	v_lshlrev_b32_e32 v9, 16, v9
	v_add_nc_u16 v6, 0xe000, v6
	v_lshlrev_b32_e32 v10, 16, v10
	;; [unrolled: 2-line block ×4, first 2 shown]
	v_or_b32_sdwa v5, v5, v9 dst_sel:DWORD dst_unused:UNUSED_PAD src0_sel:WORD_0 src1_sel:DWORD
	v_or_b32_sdwa v6, v6, v10 dst_sel:DWORD dst_unused:UNUSED_PAD src0_sel:WORD_0 src1_sel:DWORD
	;; [unrolled: 1-line block ×4, first 2 shown]
	ds_write_b32 v107, v4
	ds_write_b32 v108, v5
	;; [unrolled: 1-line block ×5, first 2 shown]
	s_cbranch_scc0 .LBB209_4
; %bb.6:                                ;   in Loop: Header=BB209_5 Depth=1
	s_lshl_b32 s5, s17, 3
	v_add_nc_u32_e32 v4, s5, v70
	v_cmp_gt_i32_e64 s1, s9, v4
	s_and_b32 s19, s0, s1
	s_and_saveexec_b32 s1, s19
	s_cbranch_execz .LBB209_8
; %bb.7:                                ;   in Loop: Header=BB209_5 Depth=1
	v_add_nc_u32_e32 v4, v89, v4
	v_mad_i64_i32 v[4:5], null, v4, 36, v[1:2]
	global_load_dword v4, v[4:5], off offset:4
	s_waitcnt vmcnt(0)
	ds_write_b32 v82, v4
.LBB209_8:                              ;   in Loop: Header=BB209_5 Depth=1
	s_or_b32 exec_lo, exec_lo, s1
	v_add_nc_u32_e32 v128, s5, v0
	v_cmp_gt_i32_e64 s1, s9, v128
	s_and_b32 s19, s18, s1
	s_and_saveexec_b32 s1, s19
	s_cbranch_execz .LBB209_10
; %bb.9:                                ;   in Loop: Header=BB209_5 Depth=1
	v_add_nc_u32_e32 v4, v89, v128
	v_mad_i64_i32 v[4:5], null, v4, 36, s[2:3]
	global_load_dword v4, v[4:5], off
	s_waitcnt vmcnt(0)
	v_cvt_f32_f16_e32 v4, v4
	ds_write_b32 v83, v4
.LBB209_10:                             ;   in Loop: Header=BB209_5 Depth=1
	s_or_b32 exec_lo, exec_lo, s1
	v_mov_b32_e32 v8, v81
	v_mov_b32_e32 v9, v80
	s_mov_b32 s21, -2
	s_mov_b32 s1, 0
	s_mov_b32 s19, 0
	s_waitcnt lgkmcnt(0)
	s_barrier
	buffer_gl0_inv
.LBB209_11:                             ;   Parent Loop BB209_5 Depth=1
                                        ; =>  This Inner Loop Header: Depth=2
	s_add_i32 s20, s21, 2
	s_and_b32 s24, s19, -16
	s_and_b32 s23, s20, 0x3ffffff8
	s_lshr_b32 s22, s20, 4
	v_lshl_add_u32 v10, s23, 2, v90
	s_lshl_b32 s23, s22, 5
	s_lshl_b32 s22, s22, 2
	s_addk_i32 s23, 0x4200
	s_addk_i32 s22, 0x7380
	v_add3_u32 v4, s23, v112, v113
	v_add3_u32 v11, s23, v115, v116
	;; [unrolled: 1-line block ×3, first 2 shown]
	ds_read2_b32 v[12:13], v10 offset1:1
	ds_read2_b32 v[14:15], v10 offset0:2 offset1:3
	ds_read2_b32 v[16:17], v10 offset0:4 offset1:5
	;; [unrolled: 1-line block ×3, first 2 shown]
	ds_read2_b32 v[146:147], v4 offset1:1
	ds_read2_b32 v[148:149], v4 offset0:2 offset1:3
	ds_read2_b32 v[150:151], v4 offset0:4 offset1:5
	;; [unrolled: 1-line block ×9, first 2 shown]
	s_add_i32 s21, s21, s24
	s_add_i32 s19, s19, 2
	s_waitcnt lgkmcnt(13)
	v_ashrrev_i32_e32 v142, s20, v12
	v_ashrrev_i32_e32 v140, s20, v13
	s_waitcnt lgkmcnt(12)
	v_ashrrev_i32_e32 v138, s20, v14
	v_ashrrev_i32_e32 v136, s20, v15
	s_waitcnt lgkmcnt(9)
	v_ashrrev_i32_e32 v144, s1, v146
	v_and_b32_e32 v183, 0x3030303, v142
	v_ashrrev_i32_e32 v143, s1, v147
	v_bfe_u32 v142, v142, 24, 2
	s_waitcnt lgkmcnt(8)
	v_ashrrev_i32_e32 v141, s1, v148
	v_lshlrev_b32_e32 v144, 2, v144
	v_lshrrev_b16 v184, 8, v183
	v_lshlrev_b32_e32 v143, 2, v143
	v_ashrrev_i32_e32 v139, s1, v149
	v_lshlrev_b32_e32 v141, 2, v141
	v_and_b32_e32 v144, 0x4040404, v144
	s_waitcnt lgkmcnt(7)
	v_ashrrev_i32_e32 v137, s1, v150
	v_and_b32_e32 v143, 0x4040404, v143
	v_lshlrev_b32_e32 v139, 2, v139
	v_and_b32_e32 v141, 0x4040404, v141
	v_lshrrev_b16 v185, 8, v144
	v_ashrrev_i32_e32 v134, s20, v16
	v_lshrrev_b16 v187, 8, v143
	v_and_b32_e32 v139, 0x4040404, v139
	v_lshrrev_b16 v189, 8, v141
	v_sub_nc_u16 v184, v184, v185
	v_lshrrev_b32_e32 v185, 24, v144
	v_lshlrev_b32_e32 v137, 2, v137
	v_lshrrev_b16 v191, 8, v139
	v_add3_u32 v12, s22, v125, v114
	ds_read2_b32 v[146:147], v11 offset1:1
	ds_read_b32 v11, v12
	v_sub_nc_u16 v142, v142, v185
	v_lshrrev_b32_e32 v185, 16, v183
	v_sub_nc_u16 v183, v183, v144
	v_lshrrev_b32_e32 v144, 16, v144
	v_and_b32_e32 v137, 0x4040404, v137
	v_ashrrev_i32_e32 v135, s1, v151
	v_ashrrev_i32_e32 v132, s20, v17
	v_add_nc_u32_e32 v12, 0x1080, v10
	v_sub_nc_u16 v144, v185, v144
	v_and_b32_e32 v185, 0x3030303, v140
	v_bfe_u32 v140, v140, 24, 2
	v_lshrrev_b16 v193, 8, v137
	v_lshlrev_b32_e32 v135, 2, v135
	ds_read2_b32 v[148:149], v12 offset1:1
	v_lshrrev_b16 v186, 8, v185
	v_add_nc_u32_e32 v12, 0x1088, v10
	s_waitcnt lgkmcnt(6)
	v_ashrrev_i32_e32 v129, s1, v158
	v_and_b32_e32 v135, 0x4040404, v135
	v_ashrrev_i32_e32 v20, s1, v159
	v_sub_nc_u16 v186, v186, v187
	v_lshrrev_b32_e32 v187, 24, v143
	s_waitcnt lgkmcnt(2)
	v_ashrrev_i32_e32 v158, s1, v146
	v_lshrrev_b16 v195, 8, v135
	v_ashrrev_i32_e32 v159, s1, v147
	ds_read2_b32 v[146:147], v12 offset1:1
	v_sub_nc_u16 v140, v140, v187
	v_lshrrev_b32_e32 v187, 16, v185
	v_sub_nc_u16 v185, v185, v143
	v_lshrrev_b32_e32 v143, 16, v143
	v_ashrrev_i32_e32 v133, s1, v152
	v_ashrrev_i32_e32 v130, s20, v18
	v_add_nc_u32_e32 v12, s21, v98
	v_ashrrev_i32_e32 v21, s20, v19
	v_sub_nc_u16 v143, v187, v143
	v_and_b32_e32 v187, 0x3030303, v138
	v_bfe_u32 v138, v138, 24, 2
	v_lshlrev_b32_e32 v133, 2, v133
	v_ashrrev_i32_e32 v19, s1, v160
	ds_read_u16 v15, v12 offset:2
	v_lshrrev_b16 v188, 8, v187
	v_add3_u32 v12, s22, v117, v118
	v_and_b32_e32 v133, 0x4040404, v133
	v_ashrrev_i32_e32 v14, s1, v156
	s_waitcnt lgkmcnt(2)
	v_ashrrev_i32_e32 v156, s20, v148
	v_sub_nc_u16 v188, v188, v189
	v_lshrrev_b32_e32 v189, 24, v141
	v_lshrrev_b16 v197, 8, v133
	s_waitcnt lgkmcnt(1)
	v_ashrrev_i32_e32 v160, s20, v146
	v_add_nc_u32_e32 v146, 0x1090, v10
	v_add_nc_u32_e32 v148, 0x1098, v10
	v_sub_nc_u16 v138, v138, v189
	v_lshrrev_b32_e32 v189, 16, v187
	v_sub_nc_u16 v187, v187, v141
	v_lshrrev_b32_e32 v141, 16, v141
	v_ashrrev_i32_e32 v131, s1, v153
	v_ashrrev_i32_e32 v18, s1, v161
	;; [unrolled: 1-line block ×4, first 2 shown]
	v_sub_nc_u16 v141, v189, v141
	v_and_b32_e32 v189, 0x3030303, v136
	v_bfe_u32 v136, v136, 24, 2
	v_ashrrev_i32_e32 v161, s20, v147
	ds_read_b32 v12, v12
	ds_read2_b32 v[146:147], v146 offset1:1
	ds_read2_b32 v[148:149], v148 offset1:1
	v_lshrrev_b16 v190, 8, v189
	v_lshlrev_b32_e32 v131, 2, v131
	v_ashrrev_i32_e32 v166, s1, v6
	v_add_nc_u32_e32 v6, 0x2100, v10
	v_ashrrev_i32_e32 v17, s1, v154
	v_sub_nc_u16 v190, v190, v191
	v_lshrrev_b32_e32 v191, 24, v139
	v_and_b32_e32 v131, 0x4040404, v131
	v_add3_u32 v154, s23, v119, v120
	v_ashrrev_i32_e32 v167, s1, v7
	v_lshlrev_b32_e32 v129, 2, v129
	v_sub_nc_u16 v136, v136, v191
	v_lshrrev_b32_e32 v191, 16, v189
	v_sub_nc_u16 v189, v189, v139
	v_lshrrev_b32_e32 v139, 16, v139
	v_lshrrev_b16 v199, 8, v131
	v_and_b32_e32 v129, 0x4040404, v129
	v_add_nc_u32_e32 v152, 0x2118, v10
	s_waitcnt lgkmcnt(1)
	v_ashrrev_i32_e32 v162, s20, v146
	v_sub_nc_u16 v139, v191, v139
	v_and_b32_e32 v191, 0x3030303, v134
	v_bfe_u32 v134, v134, 24, 2
	v_ashrrev_i32_e32 v163, s20, v147
	s_waitcnt lgkmcnt(0)
	v_ashrrev_i32_e32 v164, s20, v148
	v_ashrrev_i32_e32 v165, s20, v149
	v_lshrrev_b16 v192, 8, v191
	ds_read2_b32 v[6:7], v6 offset1:1
	ds_read2_b32 v[146:147], v154 offset1:1
	ds_read2_b32 v[148:149], v154 offset0:2 offset1:3
	ds_read2_b32 v[150:151], v154 offset0:4 offset1:5
	v_lshrrev_b16 v201, 8, v129
	v_ashrrev_i32_e32 v16, s1, v155
	v_lshlrev_b32_e32 v20, 2, v20
	v_sub_nc_u16 v192, v192, v193
	v_lshrrev_b32_e32 v193, 24, v137
	v_lshlrev_b32_e32 v19, 2, v19
	v_lshlrev_b32_e32 v18, 2, v18
	v_and_b32_e32 v20, 0x4040404, v20
	v_lshlrev_b32_e32 v17, 2, v17
	v_sub_nc_u16 v134, v134, v193
	v_lshrrev_b32_e32 v193, 16, v191
	v_sub_nc_u16 v191, v191, v137
	v_lshrrev_b32_e32 v137, 16, v137
	v_lshrrev_b16 v203, 8, v20
	v_and_b32_e32 v19, 0x4040404, v19
	v_and_b32_e32 v18, 0x4040404, v18
	s_waitcnt lgkmcnt(3)
	v_ashrrev_i32_e32 v168, s20, v6
	v_sub_nc_u16 v137, v193, v137
	v_and_b32_e32 v193, 0x3030303, v132
	v_bfe_u32 v132, v132, 24, 2
	v_add_nc_u32_e32 v6, 0x2108, v10
	s_waitcnt lgkmcnt(2)
	v_ashrrev_i32_e32 v170, s1, v146
	v_add_nc_u32_e32 v146, 0x2110, v10
	v_lshrrev_b16 v194, 8, v193
	v_ashrrev_i32_e32 v169, s20, v7
	v_ashrrev_i32_e32 v171, s1, v147
	ds_read2_b32 v[6:7], v6 offset1:1
	ds_read2_b32 v[146:147], v146 offset1:1
	;; [unrolled: 1-line block ×3, first 2 shown]
	ds_read2_b32 v[154:155], v154 offset0:6 offset1:7
	v_lshrrev_b16 v205, 8, v19
	v_sub_nc_u16 v194, v194, v195
	v_lshrrev_b32_e32 v195, 24, v135
	s_waitcnt lgkmcnt(5)
	v_ashrrev_i32_e32 v174, s1, v148
	v_lshrrev_b16 v207, 8, v18
	v_and_b32_e32 v17, 0x4040404, v17
	v_lshlrev_b32_e32 v16, 2, v16
	v_sub_nc_u16 v132, v132, v195
	v_lshrrev_b32_e32 v195, 16, v193
	v_sub_nc_u16 v193, v193, v135
	v_lshrrev_b32_e32 v135, 16, v135
	v_lshrrev_b16 v209, 8, v17
	v_and_b32_e32 v16, 0x4040404, v16
	v_lshlrev_b32_e32 v14, 2, v14
	v_lshlrev_b32_e32 v13, 2, v13
	v_sub_nc_u16 v135, v195, v135
	v_and_b32_e32 v195, 0x3030303, v130
	v_bfe_u32 v130, v130, 24, 2
	s_waitcnt lgkmcnt(3)
	v_ashrrev_i32_e32 v172, s20, v6
	v_add3_u32 v6, s22, v121, v122
	s_waitcnt lgkmcnt(2)
	v_ashrrev_i32_e32 v175, s20, v146
	v_lshrrev_b16 v196, 8, v195
	ds_read2_b32 v[145:146], v145 offset1:1
	ds_read_b32 v6, v6
	v_ashrrev_i32_e32 v173, s20, v7
	v_add_nc_u32_e32 v7, 0x3180, v10
	v_sub_nc_u16 v196, v196, v197
	v_lshrrev_b32_e32 v197, 24, v133
	v_ashrrev_i32_e32 v176, s20, v147
	v_lshrrev_b16 v211, 8, v16
	ds_read2_b32 v[147:148], v7 offset1:1
	v_add_nc_u32_e32 v7, 0x3188, v10
	v_sub_nc_u16 v130, v130, v197
	v_lshrrev_b32_e32 v197, 16, v195
	v_sub_nc_u16 v195, v195, v133
	v_lshrrev_b32_e32 v133, 16, v133
	v_and_b32_e32 v14, 0x4040404, v14
	v_and_b32_e32 v13, 0x4040404, v13
	v_lshlrev_b32_e32 v158, 2, v158
	v_lshlrev_b32_e32 v159, 2, v159
	v_sub_nc_u16 v133, v197, v133
	v_and_b32_e32 v197, 0x3030303, v21
	v_bfe_u32 v21, v21, 24, 2
	s_waitcnt lgkmcnt(2)
	v_ashrrev_i32_e32 v179, s1, v145
	v_ashrrev_i32_e32 v180, s1, v146
	ds_read2_b32 v[145:146], v7 offset1:1
	v_lshrrev_b16 v198, 8, v197
	v_add_nc_u32_e32 v7, s21, v96
	v_lshrrev_b16 v213, 8, v14
	v_lshrrev_b16 v215, 8, v13
	s_waitcnt lgkmcnt(1)
	v_ashrrev_i32_e32 v177, s20, v147
	v_sub_nc_u16 v198, v198, v199
	v_lshrrev_b32_e32 v199, 24, v131
	v_add_nc_u32_e32 v147, 0x3198, v10
	v_ashrrev_i32_e32 v178, s20, v148
	v_and_b32_e32 v158, 0x4040404, v158
	v_and_b32_e32 v159, 0x4040404, v159
	v_sub_nc_u16 v21, v21, v199
	v_lshrrev_b32_e32 v199, 16, v197
	v_sub_nc_u16 v197, v197, v131
	v_lshrrev_b32_e32 v131, 16, v131
	v_lshrrev_b16 v217, 8, v158
	v_lshrrev_b16 v219, 8, v159
	v_lshlrev_b32_e32 v166, 2, v166
	v_lshlrev_b32_e32 v167, 2, v167
	v_sub_nc_u16 v131, v199, v131
	v_and_b32_e32 v199, 0x3030303, v160
	v_bfe_u32 v160, v160, 24, 2
	s_waitcnt lgkmcnt(0)
	v_ashrrev_i32_e32 v181, s20, v145
	v_add_nc_u32_e32 v145, 0x3190, v10
	ds_read_u16 v10, v7 offset:2
	v_lshrrev_b16 v200, 8, v199
	v_add3_u32 v7, s22, v126, v127
	v_ashrrev_i32_e32 v182, s20, v146
	ds_read_b32 v7, v7
	ds_read2_b32 v[145:146], v145 offset1:1
	ds_read2_b32 v[147:148], v147 offset1:1
	v_sub_nc_u16 v200, v200, v201
	v_lshrrev_b32_e32 v201, 24, v129
	v_and_b32_e32 v166, 0x4040404, v166
	v_and_b32_e32 v167, 0x4040404, v167
	v_lshlrev_b32_e32 v170, 2, v170
	v_lshlrev_b32_e32 v171, 2, v171
	v_sub_nc_u16 v160, v160, v201
	v_lshrrev_b32_e32 v201, 16, v199
	v_sub_nc_u16 v199, v199, v129
	v_lshrrev_b32_e32 v129, 16, v129
	v_lshrrev_b16 v221, 8, v166
	v_lshrrev_b16 v223, 8, v167
	v_and_b32_e32 v170, 0x4040404, v170
	v_and_b32_e32 v171, 0x4040404, v171
	v_sub_nc_u16 v129, v201, v129
	v_and_b32_e32 v201, 0x3030303, v161
	v_bfe_u32 v161, v161, 24, 2
	v_lshrrev_b16 v225, 8, v170
	s_waitcnt lgkmcnt(1)
	v_ashrrev_i32_e32 v145, s20, v145
	v_ashrrev_i32_e32 v146, s20, v146
	v_lshrrev_b16 v202, 8, v201
	v_lshrrev_b16 v227, 8, v171
	v_lshlrev_b32_e32 v174, 2, v174
	v_ashrrev_i32_e32 v149, s1, v149
	v_ashrrev_i32_e32 v150, s1, v150
	v_sub_nc_u16 v202, v202, v203
	v_lshrrev_b32_e32 v203, 24, v20
	v_and_b32_e32 v174, 0x4040404, v174
	v_lshlrev_b32_e32 v149, 2, v149
	v_lshlrev_b32_e32 v150, 2, v150
	v_ashrrev_i32_e32 v151, s1, v151
	v_sub_nc_u16 v161, v161, v203
	v_lshrrev_b32_e32 v203, 16, v201
	v_sub_nc_u16 v201, v201, v20
	v_lshrrev_b32_e32 v20, 16, v20
	v_lshrrev_b16 v229, 8, v174
	v_and_b32_e32 v149, 0x4040404, v149
	v_and_b32_e32 v150, 0x4040404, v150
	v_lshlrev_b32_e32 v151, 2, v151
	v_sub_nc_u16 v20, v203, v20
	v_and_b32_e32 v203, 0x3030303, v162
	v_bfe_u32 v162, v162, 24, 2
	v_lshrrev_b16 v231, 8, v149
	v_lshrrev_b16 v233, 8, v150
	v_and_b32_e32 v151, 0x4040404, v151
	v_lshrrev_b16 v204, 8, v203
	v_ashrrev_i32_e32 v154, s1, v154
	v_ashrrev_i32_e32 v152, s20, v152
	;; [unrolled: 1-line block ×3, first 2 shown]
	v_lshrrev_b16 v235, 8, v151
	v_sub_nc_u16 v204, v204, v205
	v_lshrrev_b32_e32 v205, 24, v19
	v_lshlrev_b32_e32 v154, 2, v154
	v_ashrrev_i32_e32 v153, s20, v153
	v_lshlrev_b32_e32 v155, 2, v155
	v_lshlrev_b32_e32 v179, 2, v179
	v_sub_nc_u16 v162, v162, v205
	v_lshrrev_b32_e32 v205, 16, v203
	v_sub_nc_u16 v203, v203, v19
	v_lshrrev_b32_e32 v19, 16, v19
	v_and_b32_e32 v154, 0x4040404, v154
	v_and_b32_e32 v155, 0x4040404, v155
	;; [unrolled: 1-line block ×3, first 2 shown]
	v_lshlrev_b32_e32 v180, 2, v180
	v_sub_nc_u16 v19, v205, v19
	v_and_b32_e32 v205, 0x3030303, v163
	v_bfe_u32 v163, v163, 24, 2
	v_lshrrev_b16 v237, 8, v154
	v_lshrrev_b16 v239, 8, v155
	;; [unrolled: 1-line block ×4, first 2 shown]
	v_and_b32_e32 v180, 0x4040404, v180
	v_ashrrev_i32_e32 v4, s1, v4
	s_waitcnt lgkmcnt(0)
	v_ashrrev_i32_e32 v147, s20, v147
	v_ashrrev_i32_e32 v5, s1, v5
	v_sub_nc_u16 v206, v206, v207
	v_lshrrev_b32_e32 v207, 24, v18
	v_lshrrev_b16 v243, 8, v180
	v_lshlrev_b32_e32 v4, 2, v4
	v_ashrrev_i32_e32 v148, s20, v148
	v_lshlrev_b32_e32 v5, 2, v5
	v_sub_nc_u16 v163, v163, v207
	v_lshrrev_b32_e32 v207, 16, v205
	v_sub_nc_u16 v205, v205, v18
	v_lshrrev_b32_e32 v18, 16, v18
	v_and_b32_e32 v4, 0x4040404, v4
	v_and_b32_e32 v5, 0x4040404, v5
	v_lshlrev_b16 v142, 8, v142
	v_lshlrev_b16 v140, 8, v140
	v_sub_nc_u16 v18, v207, v18
	v_and_b32_e32 v207, 0x3030303, v181
	v_bfe_u32 v181, v181, 24, 2
	v_lshrrev_b16 v245, 8, v4
	v_lshlrev_b16 v138, 8, v138
	v_lshlrev_b16 v136, 8, v136
	v_lshrrev_b16 v208, 8, v207
	v_lshlrev_b16 v134, 8, v134
	v_lshlrev_b16 v132, 8, v132
	;; [unrolled: 1-line block ×4, first 2 shown]
	v_sub_nc_u16 v208, v208, v209
	v_lshrrev_b32_e32 v209, 24, v17
	v_lshlrev_b16 v161, 8, v161
	v_lshlrev_b16 v162, 8, v162
	;; [unrolled: 1-line block ×3, first 2 shown]
	v_lshrrev_b16 v247, 8, v5
	v_sub_nc_u16 v181, v181, v209
	v_lshrrev_b32_e32 v209, 16, v207
	v_sub_nc_u16 v207, v207, v17
	v_lshrrev_b32_e32 v17, 16, v17
	v_or_b32_sdwa v142, v144, v142 dst_sel:WORD_1 dst_unused:UNUSED_PAD src0_sel:BYTE_0 src1_sel:DWORD
	v_lshlrev_b16 v181, 8, v181
	v_lshlrev_b16 v144, 8, v186
	v_or_b32_sdwa v140, v143, v140 dst_sel:WORD_1 dst_unused:UNUSED_PAD src0_sel:BYTE_0 src1_sel:DWORD
	v_sub_nc_u16 v17, v209, v17
	v_and_b32_e32 v209, 0x3030303, v182
	v_bfe_u32 v182, v182, 24, 2
	v_lshlrev_b16 v143, 8, v188
	v_or_b32_sdwa v138, v141, v138 dst_sel:WORD_1 dst_unused:UNUSED_PAD src0_sel:BYTE_0 src1_sel:DWORD
	v_lshlrev_b16 v141, 8, v190
	v_lshrrev_b16 v210, 8, v209
	v_or_b32_sdwa v136, v139, v136 dst_sel:WORD_1 dst_unused:UNUSED_PAD src0_sel:BYTE_0 src1_sel:DWORD
	v_lshlrev_b16 v139, 8, v192
	v_or_b32_sdwa v134, v137, v134 dst_sel:WORD_1 dst_unused:UNUSED_PAD src0_sel:BYTE_0 src1_sel:DWORD
	v_lshlrev_b16 v137, 8, v194
	v_sub_nc_u16 v210, v210, v211
	v_lshrrev_b32_e32 v211, 24, v16
	v_or_b32_sdwa v132, v135, v132 dst_sel:WORD_1 dst_unused:UNUSED_PAD src0_sel:BYTE_0 src1_sel:DWORD
	v_lshlrev_b16 v135, 8, v196
	v_or_b32_sdwa v130, v133, v130 dst_sel:WORD_1 dst_unused:UNUSED_PAD src0_sel:BYTE_0 src1_sel:DWORD
	v_lshlrev_b16 v133, 8, v198
	v_sub_nc_u16 v182, v182, v211
	v_lshrrev_b32_e32 v211, 16, v209
	v_sub_nc_u16 v209, v209, v16
	v_lshrrev_b32_e32 v16, 16, v16
	v_or_b32_sdwa v21, v131, v21 dst_sel:WORD_1 dst_unused:UNUSED_PAD src0_sel:BYTE_0 src1_sel:DWORD
	v_lshlrev_b16 v131, 8, v200
	v_lshlrev_b16 v160, 8, v160
	v_or_b32_sdwa v20, v20, v161 dst_sel:WORD_1 dst_unused:UNUSED_PAD src0_sel:BYTE_0 src1_sel:DWORD
	v_sub_nc_u16 v16, v211, v16
	v_and_b32_e32 v211, 0x3030303, v145
	v_bfe_u32 v145, v145, 24, 2
	v_lshlrev_b16 v161, 8, v204
	v_or_b32_sdwa v19, v19, v162 dst_sel:WORD_1 dst_unused:UNUSED_PAD src0_sel:BYTE_0 src1_sel:DWORD
	v_lshlrev_b16 v162, 8, v206
	v_lshrrev_b16 v212, 8, v211
	v_or_b32_sdwa v18, v18, v163 dst_sel:WORD_1 dst_unused:UNUSED_PAD src0_sel:BYTE_0 src1_sel:DWORD
	v_lshlrev_b16 v163, 8, v208
	v_or_b32_sdwa v17, v17, v181 dst_sel:WORD_1 dst_unused:UNUSED_PAD src0_sel:BYTE_0 src1_sel:DWORD
	v_lshlrev_b16 v181, 8, v210
	v_sub_nc_u16 v212, v212, v213
	v_lshrrev_b32_e32 v213, 24, v14
	v_lshlrev_b16 v182, 8, v182
	v_or_b32_sdwa v144, v185, v144 dst_sel:DWORD dst_unused:UNUSED_PAD src0_sel:BYTE_0 src1_sel:DWORD
	v_or_b32_sdwa v143, v187, v143 dst_sel:DWORD dst_unused:UNUSED_PAD src0_sel:BYTE_0 src1_sel:DWORD
	v_or_b32_sdwa v141, v189, v141 dst_sel:DWORD dst_unused:UNUSED_PAD src0_sel:BYTE_0 src1_sel:DWORD
	v_sub_nc_u16 v145, v145, v213
	v_lshrrev_b32_e32 v213, 16, v211
	v_sub_nc_u16 v211, v211, v14
	v_lshrrev_b32_e32 v14, 16, v14
	v_or_b32_sdwa v139, v191, v139 dst_sel:DWORD dst_unused:UNUSED_PAD src0_sel:BYTE_0 src1_sel:DWORD
	v_or_b32_sdwa v137, v193, v137 dst_sel:DWORD dst_unused:UNUSED_PAD src0_sel:BYTE_0 src1_sel:DWORD
	;; [unrolled: 1-line block ×4, first 2 shown]
	v_sub_nc_u16 v14, v213, v14
	v_and_b32_e32 v213, 0x3030303, v146
	v_bfe_u32 v146, v146, 24, 2
	v_or_b32_sdwa v131, v199, v131 dst_sel:DWORD dst_unused:UNUSED_PAD src0_sel:BYTE_0 src1_sel:DWORD
	v_or_b32_sdwa v129, v129, v160 dst_sel:WORD_1 dst_unused:UNUSED_PAD src0_sel:BYTE_0 src1_sel:DWORD
	v_or_b32_sdwa v161, v203, v161 dst_sel:DWORD dst_unused:UNUSED_PAD src0_sel:BYTE_0 src1_sel:DWORD
	v_lshrrev_b16 v214, 8, v213
	v_or_b32_sdwa v162, v205, v162 dst_sel:DWORD dst_unused:UNUSED_PAD src0_sel:BYTE_0 src1_sel:DWORD
	v_or_b32_sdwa v163, v207, v163 dst_sel:DWORD dst_unused:UNUSED_PAD src0_sel:BYTE_0 src1_sel:DWORD
	;; [unrolled: 1-line block ×3, first 2 shown]
	v_or_b32_sdwa v16, v16, v182 dst_sel:WORD_1 dst_unused:UNUSED_PAD src0_sel:BYTE_0 src1_sel:DWORD
	v_sub_nc_u16 v214, v214, v215
	v_lshrrev_b32_e32 v215, 24, v13
	v_or_b32_sdwa v140, v144, v140 dst_sel:DWORD dst_unused:UNUSED_PAD src0_sel:WORD_0 src1_sel:DWORD
	v_or_b32_sdwa v138, v143, v138 dst_sel:DWORD dst_unused:UNUSED_PAD src0_sel:WORD_0 src1_sel:DWORD
	;; [unrolled: 1-line block ×4, first 2 shown]
	v_sub_nc_u16 v146, v146, v215
	v_lshrrev_b32_e32 v215, 16, v213
	v_sub_nc_u16 v213, v213, v13
	v_lshrrev_b32_e32 v13, 16, v13
	v_or_b32_sdwa v137, v137, v132 dst_sel:DWORD dst_unused:UNUSED_PAD src0_sel:WORD_0 src1_sel:DWORD
	v_or_b32_sdwa v135, v135, v130 dst_sel:DWORD dst_unused:UNUSED_PAD src0_sel:WORD_0 src1_sel:DWORD
	;; [unrolled: 1-line block ×4, first 2 shown]
	v_sub_nc_u16 v13, v215, v13
	v_and_b32_e32 v215, 0x3030303, v156
	v_bfe_u32 v156, v156, 24, 2
	v_or_b32_sdwa v139, v161, v19 dst_sel:DWORD dst_unused:UNUSED_PAD src0_sel:WORD_0 src1_sel:DWORD
	v_or_b32_sdwa v141, v162, v18 dst_sel:DWORD dst_unused:UNUSED_PAD src0_sel:WORD_0 src1_sel:DWORD
	;; [unrolled: 1-line block ×3, first 2 shown]
	v_lshrrev_b16 v216, 8, v215
	v_or_b32_sdwa v144, v181, v16 dst_sel:DWORD dst_unused:UNUSED_PAD src0_sel:WORD_0 src1_sel:DWORD
	ds_read_b128 v[16:19], v9
	ds_read_b128 v[129:132], v9 offset:16
	v_lshlrev_b16 v184, 8, v184
	v_lshlrev_b16 v182, 8, v212
	v_sub_nc_u16 v216, v216, v217
	v_lshrrev_b32_e32 v217, 24, v158
	v_lshlrev_b16 v145, 8, v145
	v_or_b32_sdwa v183, v183, v184 dst_sel:DWORD dst_unused:UNUSED_PAD src0_sel:BYTE_0 src1_sel:DWORD
	v_lshlrev_b16 v146, 8, v146
	v_or_b32_sdwa v182, v211, v182 dst_sel:DWORD dst_unused:UNUSED_PAD src0_sel:BYTE_0 src1_sel:DWORD
	v_sub_nc_u16 v156, v156, v217
	v_lshrrev_b32_e32 v217, 16, v215
	v_sub_nc_u16 v215, v215, v158
	v_lshrrev_b32_e32 v158, 16, v158
	v_or_b32_sdwa v142, v183, v142 dst_sel:DWORD dst_unused:UNUSED_PAD src0_sel:WORD_0 src1_sel:DWORD
	v_or_b32_sdwa v14, v14, v145 dst_sel:WORD_1 dst_unused:UNUSED_PAD src0_sel:BYTE_0 src1_sel:DWORD
	v_lshlrev_b16 v145, 8, v214
	v_or_b32_sdwa v13, v13, v146 dst_sel:WORD_1 dst_unused:UNUSED_PAD src0_sel:BYTE_0 src1_sel:DWORD
	v_sub_nc_u16 v158, v217, v158
	v_and_b32_e32 v217, 0x3030303, v157
	v_bfe_u32 v157, v157, 24, 2
	v_lshlrev_b16 v146, 8, v216
	v_lshlrev_b16 v156, 8, v156
	v_or_b32_sdwa v145, v213, v145 dst_sel:DWORD dst_unused:UNUSED_PAD src0_sel:BYTE_0 src1_sel:DWORD
	v_lshrrev_b16 v218, 8, v217
	v_or_b32_sdwa v14, v182, v14 dst_sel:DWORD dst_unused:UNUSED_PAD src0_sel:WORD_0 src1_sel:DWORD
	v_or_b32_sdwa v146, v215, v146 dst_sel:DWORD dst_unused:UNUSED_PAD src0_sel:BYTE_0 src1_sel:DWORD
	v_or_b32_sdwa v156, v158, v156 dst_sel:WORD_1 dst_unused:UNUSED_PAD src0_sel:BYTE_0 src1_sel:DWORD
	v_or_b32_sdwa v13, v145, v13 dst_sel:DWORD dst_unused:UNUSED_PAD src0_sel:WORD_0 src1_sel:DWORD
	v_sub_nc_u16 v218, v218, v219
	v_lshrrev_b32_e32 v219, 24, v159
	v_lshlrev_b16 v160, 8, v202
	v_or_b32_sdwa v145, v146, v156 dst_sel:DWORD dst_unused:UNUSED_PAD src0_sel:WORD_0 src1_sel:DWORD
	v_add_nc_u32_e32 v9, 32, v9
	v_lshlrev_b16 v158, 8, v218
	v_sub_nc_u16 v157, v157, v219
	v_lshrrev_b32_e32 v219, 16, v217
	v_sub_nc_u16 v217, v217, v159
	v_lshrrev_b32_e32 v159, 16, v159
	v_or_b32_sdwa v160, v201, v160 dst_sel:DWORD dst_unused:UNUSED_PAD src0_sel:BYTE_0 src1_sel:DWORD
	v_lshlrev_b16 v157, 8, v157
	s_add_i32 s1, s1, 1
	v_or_b32_sdwa v158, v217, v158 dst_sel:DWORD dst_unused:UNUSED_PAD src0_sel:BYTE_0 src1_sel:DWORD
	v_sub_nc_u16 v159, v219, v159
	v_and_b32_e32 v219, 0x3030303, v164
	v_bfe_u32 v164, v164, 24, 2
	v_or_b32_sdwa v20, v160, v20 dst_sel:DWORD dst_unused:UNUSED_PAD src0_sel:WORD_0 src1_sel:DWORD
	s_cmp_lt_u32 s20, 6
	v_or_b32_sdwa v157, v159, v157 dst_sel:WORD_1 dst_unused:UNUSED_PAD src0_sel:BYTE_0 src1_sel:DWORD
	v_lshrrev_b16 v220, 8, v219
	v_or_b32_sdwa v146, v158, v157 dst_sel:DWORD dst_unused:UNUSED_PAD src0_sel:WORD_0 src1_sel:DWORD
	v_sub_nc_u16 v220, v220, v221
	v_lshrrev_b32_e32 v221, 24, v166
	v_lshlrev_b16 v159, 8, v220
	v_sub_nc_u16 v164, v164, v221
	v_lshrrev_b32_e32 v221, 16, v219
	v_sub_nc_u16 v219, v219, v166
	v_lshrrev_b32_e32 v166, 16, v166
	v_lshlrev_b16 v164, 8, v164
	v_or_b32_sdwa v159, v219, v159 dst_sel:DWORD dst_unused:UNUSED_PAD src0_sel:BYTE_0 src1_sel:DWORD
	v_sub_nc_u16 v166, v221, v166
	v_and_b32_e32 v221, 0x3030303, v165
	v_bfe_u32 v165, v165, 24, 2
	v_or_b32_sdwa v164, v166, v164 dst_sel:WORD_1 dst_unused:UNUSED_PAD src0_sel:BYTE_0 src1_sel:DWORD
	v_lshrrev_b16 v222, 8, v221
	v_sub_nc_u16 v222, v222, v223
	v_lshrrev_b32_e32 v223, 24, v167
	v_lshlrev_b16 v166, 8, v222
	v_sub_nc_u16 v165, v165, v223
	v_lshrrev_b32_e32 v223, 16, v221
	v_sub_nc_u16 v221, v221, v167
	v_lshrrev_b32_e32 v167, 16, v167
	v_lshlrev_b16 v165, 8, v165
	v_or_b32_sdwa v166, v221, v166 dst_sel:DWORD dst_unused:UNUSED_PAD src0_sel:BYTE_0 src1_sel:DWORD
	v_sub_nc_u16 v167, v223, v167
	v_and_b32_e32 v223, 0x3030303, v168
	v_bfe_u32 v168, v168, 24, 2
	v_or_b32_sdwa v165, v167, v165 dst_sel:WORD_1 dst_unused:UNUSED_PAD src0_sel:BYTE_0 src1_sel:DWORD
	v_lshrrev_b16 v224, 8, v223
	v_or_b32_sdwa v156, v166, v165 dst_sel:DWORD dst_unused:UNUSED_PAD src0_sel:WORD_0 src1_sel:DWORD
	v_sub_nc_u16 v224, v224, v225
	v_lshrrev_b32_e32 v225, 24, v170
	v_lshlrev_b16 v167, 8, v224
	v_sub_nc_u16 v168, v168, v225
	v_lshrrev_b32_e32 v225, 16, v223
	v_sub_nc_u16 v223, v223, v170
	v_lshrrev_b32_e32 v170, 16, v170
	v_lshlrev_b16 v168, 8, v168
	v_or_b32_sdwa v167, v223, v167 dst_sel:DWORD dst_unused:UNUSED_PAD src0_sel:BYTE_0 src1_sel:DWORD
	v_sub_nc_u16 v170, v225, v170
	v_and_b32_e32 v225, 0x3030303, v169
	v_bfe_u32 v169, v169, 24, 2
	v_or_b32_sdwa v168, v170, v168 dst_sel:WORD_1 dst_unused:UNUSED_PAD src0_sel:BYTE_0 src1_sel:DWORD
	v_lshrrev_b16 v226, 8, v225
	v_or_b32_sdwa v157, v167, v168 dst_sel:DWORD dst_unused:UNUSED_PAD src0_sel:WORD_0 src1_sel:DWORD
	;; [unrolled: 15-line block ×3, first 2 shown]
	v_sub_nc_u16 v228, v228, v229
	v_lshrrev_b32_e32 v229, 24, v174
	v_lshlrev_b16 v171, 8, v228
	v_sub_nc_u16 v172, v172, v229
	v_lshrrev_b32_e32 v229, 16, v227
	v_sub_nc_u16 v227, v227, v174
	v_lshrrev_b32_e32 v174, 16, v174
	v_lshlrev_b16 v172, 8, v172
	v_or_b32_sdwa v171, v227, v171 dst_sel:DWORD dst_unused:UNUSED_PAD src0_sel:BYTE_0 src1_sel:DWORD
	v_sub_nc_u16 v174, v229, v174
	v_and_b32_e32 v229, 0x3030303, v173
	v_bfe_u32 v173, v173, 24, 2
	v_or_b32_sdwa v172, v174, v172 dst_sel:WORD_1 dst_unused:UNUSED_PAD src0_sel:BYTE_0 src1_sel:DWORD
	v_lshrrev_b16 v230, 8, v229
	v_sub_nc_u16 v230, v230, v231
	v_lshrrev_b32_e32 v231, 24, v149
	v_lshlrev_b16 v174, 8, v230
	v_sub_nc_u16 v173, v173, v231
	v_lshrrev_b32_e32 v231, 16, v229
	v_sub_nc_u16 v229, v229, v149
	v_lshrrev_b32_e32 v149, 16, v149
	v_lshlrev_b16 v173, 8, v173
	v_or_b32_sdwa v174, v229, v174 dst_sel:DWORD dst_unused:UNUSED_PAD src0_sel:BYTE_0 src1_sel:DWORD
	v_sub_nc_u16 v149, v231, v149
	v_and_b32_e32 v231, 0x3030303, v175
	v_bfe_u32 v175, v175, 24, 2
	v_or_b32_sdwa v149, v149, v173 dst_sel:WORD_1 dst_unused:UNUSED_PAD src0_sel:BYTE_0 src1_sel:DWORD
	v_lshrrev_b16 v232, 8, v231
	v_or_b32_sdwa v149, v174, v149 dst_sel:DWORD dst_unused:UNUSED_PAD src0_sel:WORD_0 src1_sel:DWORD
	v_sub_nc_u16 v232, v232, v233
	v_lshrrev_b32_e32 v233, 24, v150
	v_lshlrev_b16 v173, 8, v232
	v_sub_nc_u16 v175, v175, v233
	v_lshrrev_b32_e32 v233, 16, v231
	v_sub_nc_u16 v231, v231, v150
	v_lshrrev_b32_e32 v150, 16, v150
	v_lshlrev_b16 v175, 8, v175
	v_or_b32_sdwa v173, v231, v173 dst_sel:DWORD dst_unused:UNUSED_PAD src0_sel:BYTE_0 src1_sel:DWORD
	v_sub_nc_u16 v150, v233, v150
	v_and_b32_e32 v233, 0x3030303, v176
	v_bfe_u32 v176, v176, 24, 2
	v_or_b32_sdwa v150, v150, v175 dst_sel:WORD_1 dst_unused:UNUSED_PAD src0_sel:BYTE_0 src1_sel:DWORD
	v_lshrrev_b16 v234, 8, v233
	v_or_b32_sdwa v150, v173, v150 dst_sel:DWORD dst_unused:UNUSED_PAD src0_sel:WORD_0 src1_sel:DWORD
	;; [unrolled: 15-line block ×8, first 2 shown]
	v_sub_nc_u16 v246, v246, v247
	v_lshrrev_b32_e32 v247, 24, v5
	v_lshlrev_b16 v147, 8, v246
	v_sub_nc_u16 v148, v148, v247
	v_lshrrev_b32_e32 v247, 16, v245
	v_sub_nc_u16 v245, v245, v5
	v_lshrrev_b32_e32 v5, 16, v5
	v_lshlrev_b16 v148, 8, v148
	v_or_b32_sdwa v147, v245, v147 dst_sel:DWORD dst_unused:UNUSED_PAD src0_sel:BYTE_0 src1_sel:DWORD
	v_sub_nc_u16 v5, v247, v5
	v_or_b32_sdwa v5, v5, v148 dst_sel:WORD_1 dst_unused:UNUSED_PAD src0_sel:BYTE_0 src1_sel:DWORD
	v_or_b32_sdwa v148, v159, v164 dst_sel:DWORD dst_unused:UNUSED_PAD src0_sel:WORD_0 src1_sel:DWORD
	v_or_b32_sdwa v159, v171, v172 dst_sel:DWORD dst_unused:UNUSED_PAD src0_sel:WORD_0 src1_sel:DWORD
	;; [unrolled: 1-line block ×3, first 2 shown]
	v_mov_b32_e32 v147, 0
	s_waitcnt lgkmcnt(1)
	v_dot4c_i32_i8 v147, v142, v16
	v_mov_b32_e32 v142, 0
	v_dot4c_i32_i8 v147, v140, v17
	s_waitcnt lgkmcnt(0)
	v_dot4c_i32_i8 v142, v134, v129
	v_mov_b32_e32 v134, 0
	v_dot4c_i32_i8 v147, v138, v18
	v_dot4c_i32_i8 v142, v137, v130
	;; [unrolled: 1-line block ×3, first 2 shown]
	v_mov_b32_e32 v139, 0
	v_dot4c_i32_i8 v147, v136, v19
	v_dot4c_i32_i8 v142, v135, v131
	;; [unrolled: 1-line block ×4, first 2 shown]
	v_mov_b32_e32 v14, 0
	v_dot4c_i32_i8 v142, v21, v132
	v_dot4c_i32_i8 v134, v148, v131
	;; [unrolled: 1-line block ×4, first 2 shown]
	v_mov_b32_e32 v145, 0
	v_add_nc_u32_e32 v13, s21, v97
	v_dot4c_i32_i8 v134, v156, v132
	v_dot4c_i32_i8 v139, v4, v131
	v_add_nc_u32_e32 v4, s21, v99
	v_dot4c_i32_i8 v145, v157, v16
	v_mov_b32_e32 v157, 0
	v_dot4c_i32_i8 v14, v146, v17
	v_dot4c_i32_i8 v139, v5, v132
	s_mov_b32 s21, s20
	v_dot4c_i32_i8 v145, v158, v17
	v_dot4c_i32_i8 v157, v150, v129
	v_mov_b32_e32 v129, 0
	v_dot4c_i32_i8 v14, v133, v18
	v_dot4c_i32_i8 v145, v159, v18
	;; [unrolled: 1-line block ×3, first 2 shown]
	ds_read_b32 v130, v8
	ds_read_u16 v4, v4 offset:2
	ds_read_u16 v13, v13 offset:2
	v_dot4c_i32_i8 v129, v154, v16
	v_dot4c_i32_i8 v14, v20, v19
	;; [unrolled: 1-line block ×3, first 2 shown]
	v_bfe_i32 v20, v10, 0, 8
	v_dot4c_i32_i8 v157, v152, v131
	v_dot4c_i32_i8 v129, v155, v17
	v_lshrrev_b16 v17, 8, v15
	v_bfe_i32 v15, v15, 0, 8
	v_add_nc_u32_e32 v8, 4, v8
	v_dot4c_i32_i8 v157, v153, v132
	v_dot4c_i32_i8 v129, v143, v18
	v_lshrrev_b16 v18, 8, v10
	v_bfe_i32 v17, v17, 0, 8
	v_dot4c_i32_i8 v129, v144, v19
	v_bfe_i32 v18, v18, 0, 8
	s_waitcnt lgkmcnt(1)
	v_lshrrev_b16 v16, 8, v4
	v_bfe_i32 v4, v4, 0, 8
	s_waitcnt lgkmcnt(0)
	v_lshrrev_b16 v5, 8, v13
	v_bfe_i32 v13, v13, 0, 8
	v_mul_f32_e32 v7, v130, v7
	v_bfe_i32 v16, v16, 0, 8
	v_mul_lo_u32 v4, v147, v4
	v_bfe_i32 v21, v5, 0, 8
	v_mul_lo_u32 v5, v14, v15
	v_mul_lo_u32 v10, v145, v13
	;; [unrolled: 1-line block ×3, first 2 shown]
	v_mad_u64_u32 v[14:15], null, v142, v16, v[4:5]
	v_mad_u64_u32 v[15:16], null, v157, v21, v[10:11]
	;; [unrolled: 1-line block ×3, first 2 shown]
	v_mul_f32_e32 v5, v130, v11
	v_mul_f32_e32 v10, v130, v12
	v_mad_u64_u32 v[16:17], null, v139, v18, v[13:14]
	v_mul_f32_e32 v6, v130, v6
	v_cvt_f32_i32_e32 v11, v14
	v_cvt_f32_i32_e32 v4, v4
	;; [unrolled: 1-line block ×4, first 2 shown]
	v_fmac_f32_e32 v23, v5, v11
	v_fmac_f32_e32 v87, v10, v4
	v_fmac_f32_e32 v84, v6, v12
	v_fmac_f32_e32 v3, v7, v13
	s_cbranch_scc1 .LBB209_11
; %bb.12:                               ;   in Loop: Header=BB209_5 Depth=1
	s_or_b32 s1, s4, 0x80
	s_cmp_ge_i32 s1, s15
	s_barrier
	buffer_gl0_inv
	s_cbranch_scc1 .LBB209_4
; %bb.13:                               ;   in Loop: Header=BB209_5 Depth=1
	v_add_nc_u32_e32 v4, s5, v85
	v_cmp_gt_i32_e64 s1, s9, v4
	s_and_b32 s19, s0, s1
	s_and_saveexec_b32 s1, s19
	s_cbranch_execz .LBB209_15
; %bb.14:                               ;   in Loop: Header=BB209_5 Depth=1
	v_add_nc_u32_e32 v4, v89, v4
	v_mad_i64_i32 v[4:5], null, v4, 36, v[1:2]
	global_load_dword v4, v[4:5], off offset:4
	s_waitcnt vmcnt(0)
	ds_write_b32 v82, v4
.LBB209_15:                             ;   in Loop: Header=BB209_5 Depth=1
	s_or_b32 exec_lo, exec_lo, s1
	s_and_saveexec_b32 s19, vcc_lo
	s_cbranch_execz .LBB209_18
; %bb.16:                               ;   in Loop: Header=BB209_5 Depth=1
	v_or_b32_e32 v4, 4, v128
	v_cmp_gt_i32_e64 s1, s9, v4
	s_and_b32 s1, s0, s1
	s_and_b32 exec_lo, exec_lo, s1
	s_cbranch_execz .LBB209_18
; %bb.17:                               ;   in Loop: Header=BB209_5 Depth=1
	v_ashrrev_i32_e32 v4, 31, v128
	v_add_co_u32 v5, s1, v89, v128
	v_add_co_ci_u32_e64 v6, null, v95, v4, s1
	v_mad_u64_u32 v[4:5], null, v5, 36, s[2:3]
	v_mad_i32_i24 v5, v6, 36, v5
	global_load_dword v4, v[4:5], off offset:144
	s_waitcnt vmcnt(0)
	v_cvt_f32_f16_e32 v4, v4
	ds_write_b32 v83, v4
.LBB209_18:                             ;   in Loop: Header=BB209_5 Depth=1
	s_or_b32 exec_lo, exec_lo, s19
	v_mov_b32_e32 v129, v80
	v_mov_b32_e32 v130, v81
	s_mov_b32 s1, 8
	s_mov_b32 s21, 6
	;; [unrolled: 1-line block ×3, first 2 shown]
	s_waitcnt lgkmcnt(0)
	s_barrier
	buffer_gl0_inv
.LBB209_19:                             ;   Parent Loop BB209_5 Depth=1
                                        ; =>  This Inner Loop Header: Depth=2
	s_add_i32 s20, s21, 2
	s_add_i32 s22, s21, -6
	s_lshr_b32 s23, s20, 4
	s_and_b32 s24, s20, 0x3ffffff8
	s_lshl_b32 s25, s23, 5
	v_lshl_add_u32 v131, s24, 2, v90
	s_add_i32 s24, s25, 0x4200
	s_lshl_b32 s23, s23, 2
	v_add3_u32 v8, s24, v112, v113
	v_add3_u32 v9, s24, v115, v116
	;; [unrolled: 1-line block ×3, first 2 shown]
	v_add_nc_u32_e32 v21, 0x1080, v131
	ds_read2_b32 v[18:19], v131 offset1:1
	ds_read2_b32 v[16:17], v131 offset0:2 offset1:3
	ds_read2_b32 v[4:5], v131 offset0:4 offset1:5
	;; [unrolled: 1-line block ×3, first 2 shown]
	ds_read2_b32 v[133:134], v8 offset1:1
	ds_read2_b32 v[135:136], v8 offset0:2 offset1:3
	ds_read2_b32 v[137:138], v9 offset1:1
	ds_read2_b32 v[139:140], v9 offset0:2 offset1:3
	ds_read2_b32 v[146:147], v132 offset0:2 offset1:3
	ds_read2_b32 v[10:11], v8 offset0:4 offset1:5
	ds_read2_b32 v[12:13], v8 offset0:6 offset1:7
	ds_read2_b32 v[14:15], v9 offset0:4 offset1:5
	ds_read2_b32 v[148:149], v21 offset1:1
	ds_read2_b32 v[8:9], v9 offset0:6 offset1:7
	v_add_nc_u32_e32 v20, 0x2100, v131
	s_addk_i32 s23, 0x7380
	v_add_nc_u32_e32 v152, 0x2118, v131
	s_waitcnt lgkmcnt(13)
	v_ashrrev_i32_e32 v156, s22, v18
	v_ashrrev_i32_e32 v157, s22, v19
	s_waitcnt lgkmcnt(12)
	v_ashrrev_i32_e32 v158, s22, v16
	v_ashrrev_i32_e32 v159, s22, v17
	s_waitcnt lgkmcnt(9)
	v_ashrrev_i32_e32 v160, s19, v133
	v_and_b32_e32 v172, 0x3030303, v156
	v_ashrrev_i32_e32 v161, s19, v134
	v_bfe_u32 v156, v156, 24, 2
	ds_read2_b32 v[16:17], v132 offset0:4 offset1:5
	ds_read2_b32 v[150:151], v20 offset1:1
	ds_read2_b32 v[18:19], v132 offset1:1
	v_lshlrev_b32_e32 v160, 2, v160
	v_lshrrev_b16 v173, 8, v172
	v_lshlrev_b32_e32 v161, 2, v161
	s_waitcnt lgkmcnt(11)
	v_ashrrev_i32_e32 v162, s19, v135
	v_add3_u32 v20, s24, v123, v124
	v_and_b32_e32 v160, 0x4040404, v160
	v_ashrrev_i32_e32 v163, s19, v136
	v_and_b32_e32 v161, 0x4040404, v161
	v_lshlrev_b32_e32 v162, 2, v162
	s_waitcnt lgkmcnt(10)
	v_ashrrev_i32_e32 v144, s19, v138
	v_lshrrev_b16 v174, 8, v160
	s_waitcnt lgkmcnt(9)
	v_ashrrev_i32_e32 v143, s19, v139
	v_lshrrev_b16 v176, 8, v161
	v_and_b32_e32 v162, 0x4040404, v162
	v_ashrrev_i32_e32 v142, s19, v140
	v_sub_nc_u16 v173, v173, v174
	v_lshrrev_b32_e32 v174, 24, v160
	s_waitcnt lgkmcnt(8)
	v_ashrrev_i32_e32 v139, s19, v146
	v_lshrrev_b16 v178, 8, v162
	s_waitcnt lgkmcnt(0)
	v_ashrrev_i32_e32 v141, s19, v18
	v_add_nc_u32_e32 v18, 0x3180, v131
	v_sub_nc_u16 v156, v156, v174
	v_lshrrev_b32_e32 v174, 16, v172
	v_sub_nc_u16 v172, v172, v160
	v_lshrrev_b32_e32 v160, 16, v160
	v_ashrrev_i32_e32 v140, s19, v19
	v_ashrrev_i32_e32 v138, s19, v147
	ds_read2_b32 v[146:147], v18 offset1:1
	ds_read2_b32 v[18:19], v20 offset1:1
	v_lshlrev_b32_e32 v163, 2, v163
	v_sub_nc_u16 v160, v174, v160
	v_and_b32_e32 v174, 0x3030303, v157
	v_bfe_u32 v157, v157, 24, 2
	v_ashrrev_i32_e32 v145, s19, v137
	v_and_b32_e32 v163, 0x4040404, v163
	v_ashrrev_i32_e32 v164, s22, v148
	v_lshrrev_b16 v175, 8, v174
	v_add_nc_u32_e32 v148, 0x1088, v131
	v_lshlrev_b32_e32 v145, 2, v145
	v_lshrrev_b16 v180, 8, v163
	v_ashrrev_i32_e32 v165, s22, v149
	v_sub_nc_u16 v175, v175, v176
	v_lshrrev_b32_e32 v176, 24, v161
	v_and_b32_e32 v145, 0x4040404, v145
	v_lshlrev_b32_e32 v144, 2, v144
	v_lshlrev_b32_e32 v143, 2, v143
	;; [unrolled: 1-line block ×3, first 2 shown]
	v_sub_nc_u16 v157, v157, v176
	v_lshrrev_b32_e32 v176, 16, v174
	v_sub_nc_u16 v174, v174, v161
	v_lshrrev_b32_e32 v161, 16, v161
	s_waitcnt lgkmcnt(0)
	v_ashrrev_i32_e32 v137, s19, v18
	v_ashrrev_i32_e32 v135, s19, v19
	ds_read2_b32 v[133:134], v20 offset0:2 offset1:3
	ds_read2_b32 v[18:19], v20 offset0:4 offset1:5
	;; [unrolled: 1-line block ×3, first 2 shown]
	v_lshrrev_b16 v182, 8, v145
	v_sub_nc_u16 v161, v176, v161
	v_and_b32_e32 v176, 0x3030303, v158
	v_bfe_u32 v158, v158, 24, 2
	ds_read2_b32 v[148:149], v148 offset1:1
	v_and_b32_e32 v144, 0x4040404, v144
	v_and_b32_e32 v143, 0x4040404, v143
	v_lshrrev_b16 v177, 8, v176
	v_and_b32_e32 v142, 0x4040404, v142
	v_ashrrev_i32_e32 v168, s22, v150
	v_lshrrev_b16 v184, 8, v144
	v_lshrrev_b16 v186, 8, v143
	v_sub_nc_u16 v177, v177, v178
	v_lshrrev_b32_e32 v178, 24, v162
	v_lshrrev_b16 v188, 8, v142
	v_lshlrev_b32_e32 v141, 2, v141
	v_add_nc_u32_e32 v150, 0x2110, v131
	s_waitcnt lgkmcnt(3)
	v_ashrrev_i32_e32 v136, s19, v133
	v_sub_nc_u16 v158, v158, v178
	v_lshrrev_b32_e32 v178, 16, v176
	v_sub_nc_u16 v176, v176, v162
	v_lshrrev_b32_e32 v162, 16, v162
	v_add3_u32 v133, s23, v125, v114
	v_and_b32_e32 v141, 0x4040404, v141
	s_waitcnt lgkmcnt(0)
	v_ashrrev_i32_e32 v166, s22, v148
	v_ashrrev_i32_e32 v167, s22, v149
	v_sub_nc_u16 v162, v178, v162
	v_and_b32_e32 v178, 0x3030303, v159
	v_bfe_u32 v159, v159, 24, 2
	ds_read_b32 v133, v133
	v_lshrrev_b16 v190, 8, v141
	v_add_nc_u32_e32 v148, 0x2108, v131
	v_lshrrev_b16 v179, 8, v178
	v_ashrrev_i32_e32 v169, s22, v151
	v_lshlrev_b32_e32 v140, 2, v140
	ds_read2_b32 v[148:149], v148 offset1:1
	ds_read2_b32 v[150:151], v150 offset1:1
	;; [unrolled: 1-line block ×3, first 2 shown]
	ds_read2_b32 v[154:155], v132 offset0:6 offset1:7
	v_sub_nc_u16 v179, v179, v180
	v_lshrrev_b32_e32 v180, 24, v163
	v_and_b32_e32 v140, 0x4040404, v140
	v_lshlrev_b32_e32 v139, 2, v139
	v_lshlrev_b32_e32 v138, 2, v138
	v_ashrrev_i32_e32 v170, s22, v146
	v_sub_nc_u16 v159, v159, v180
	v_lshrrev_b32_e32 v180, 16, v178
	v_sub_nc_u16 v178, v178, v163
	v_lshrrev_b32_e32 v163, 16, v163
	v_lshrrev_b16 v192, 8, v140
	v_and_b32_e32 v139, 0x4040404, v139
	v_and_b32_e32 v138, 0x4040404, v138
	v_lshlrev_b32_e32 v137, 2, v137
	v_sub_nc_u16 v163, v180, v163
	v_and_b32_e32 v180, 0x3030303, v164
	v_bfe_u32 v164, v164, 24, 2
	s_waitcnt lgkmcnt(3)
	v_ashrrev_i32_e32 v148, s22, v148
	v_lshrrev_b16 v194, 8, v139
	v_ashrrev_i32_e32 v149, s22, v149
	v_lshrrev_b16 v181, 8, v180
	v_lshrrev_b16 v196, 8, v138
	v_and_b32_e32 v137, 0x4040404, v137
	v_add3_u32 v132, s23, v121, v122
	v_add_nc_u32_e32 v146, 0x3188, v131
	v_sub_nc_u16 v181, v181, v182
	v_lshrrev_b32_e32 v182, 24, v145
	v_lshrrev_b16 v198, 8, v137
	ds_read_b32 v132, v132
	v_ashrrev_i32_e32 v171, s22, v147
	ds_read2_b32 v[146:147], v146 offset1:1
	v_sub_nc_u16 v164, v164, v182
	v_lshrrev_b32_e32 v182, 16, v180
	v_sub_nc_u16 v180, v180, v145
	v_lshrrev_b32_e32 v145, 16, v145
	v_lshlrev_b32_e32 v135, 2, v135
	v_lshlrev_b32_e32 v136, 2, v136
	v_ashrrev_i32_e32 v134, s19, v134
	v_lshlrev_b16 v156, 8, v156
	v_sub_nc_u16 v145, v182, v145
	v_and_b32_e32 v182, 0x3030303, v165
	v_bfe_u32 v165, v165, 24, 2
	v_and_b32_e32 v135, 0x4040404, v135
	v_and_b32_e32 v136, 0x4040404, v136
	v_lshlrev_b32_e32 v134, 2, v134
	v_lshrrev_b16 v183, 8, v182
	v_lshlrev_b16 v157, 8, v157
	v_lshrrev_b16 v200, 8, v135
	v_lshrrev_b16 v202, 8, v136
	v_and_b32_e32 v134, 0x4040404, v134
	v_sub_nc_u16 v183, v183, v184
	v_lshrrev_b32_e32 v184, 24, v144
	s_waitcnt lgkmcnt(0)
	v_ashrrev_i32_e32 v146, s22, v146
	v_ashrrev_i32_e32 v147, s22, v147
	v_lshrrev_b16 v204, 8, v134
	v_lshlrev_b16 v158, 8, v158
	v_sub_nc_u16 v165, v165, v184
	v_lshrrev_b32_e32 v184, 16, v182
	v_sub_nc_u16 v182, v182, v144
	v_lshrrev_b32_e32 v144, 16, v144
	v_lshlrev_b16 v159, 8, v159
	v_lshlrev_b16 v173, 8, v173
	v_or_b32_sdwa v156, v160, v156 dst_sel:WORD_1 dst_unused:UNUSED_PAD src0_sel:BYTE_0 src1_sel:DWORD
	v_lshlrev_b16 v160, 8, v175
	v_sub_nc_u16 v144, v184, v144
	v_and_b32_e32 v184, 0x3030303, v166
	v_bfe_u32 v166, v166, 24, 2
	v_or_b32_sdwa v157, v161, v157 dst_sel:WORD_1 dst_unused:UNUSED_PAD src0_sel:BYTE_0 src1_sel:DWORD
	v_lshlrev_b16 v161, 8, v177
	v_or_b32_sdwa v158, v162, v158 dst_sel:WORD_1 dst_unused:UNUSED_PAD src0_sel:BYTE_0 src1_sel:DWORD
	v_lshrrev_b16 v185, 8, v184
	v_lshlrev_b16 v162, 8, v179
	v_or_b32_sdwa v159, v163, v159 dst_sel:WORD_1 dst_unused:UNUSED_PAD src0_sel:BYTE_0 src1_sel:DWORD
	v_lshlrev_b16 v163, 8, v181
	v_lshlrev_b16 v164, 8, v164
	v_sub_nc_u16 v185, v185, v186
	v_lshrrev_b32_e32 v186, 24, v143
	v_or_b32_sdwa v172, v172, v173 dst_sel:DWORD dst_unused:UNUSED_PAD src0_sel:BYTE_0 src1_sel:DWORD
	v_or_b32_sdwa v160, v174, v160 dst_sel:DWORD dst_unused:UNUSED_PAD src0_sel:BYTE_0 src1_sel:DWORD
	;; [unrolled: 1-line block ×4, first 2 shown]
	v_sub_nc_u16 v166, v166, v186
	v_lshrrev_b32_e32 v186, 16, v184
	v_sub_nc_u16 v184, v184, v143
	v_lshrrev_b32_e32 v143, 16, v143
	v_or_b32_sdwa v163, v180, v163 dst_sel:DWORD dst_unused:UNUSED_PAD src0_sel:BYTE_0 src1_sel:DWORD
	v_or_b32_sdwa v145, v145, v164 dst_sel:WORD_1 dst_unused:UNUSED_PAD src0_sel:BYTE_0 src1_sel:DWORD
	v_lshlrev_b16 v164, 8, v183
	v_lshlrev_b16 v165, 8, v165
	v_sub_nc_u16 v143, v186, v143
	v_and_b32_e32 v186, 0x3030303, v167
	v_bfe_u32 v167, v167, 24, 2
	v_or_b32_sdwa v145, v163, v145 dst_sel:DWORD dst_unused:UNUSED_PAD src0_sel:WORD_0 src1_sel:DWORD
	v_or_b32_sdwa v164, v182, v164 dst_sel:DWORD dst_unused:UNUSED_PAD src0_sel:BYTE_0 src1_sel:DWORD
	v_or_b32_sdwa v144, v144, v165 dst_sel:WORD_1 dst_unused:UNUSED_PAD src0_sel:BYTE_0 src1_sel:DWORD
	v_lshrrev_b16 v187, 8, v186
	v_ashrrev_i32_e32 v10, s19, v10
	v_ashrrev_i32_e32 v11, s19, v11
	v_lshlrev_b16 v165, 8, v185
	v_or_b32_sdwa v144, v164, v144 dst_sel:DWORD dst_unused:UNUSED_PAD src0_sel:WORD_0 src1_sel:DWORD
	v_sub_nc_u16 v187, v187, v188
	v_lshrrev_b32_e32 v188, 24, v142
	v_mov_b32_e32 v164, 0
	v_lshlrev_b32_e32 v10, 2, v10
	v_lshlrev_b32_e32 v11, 2, v11
	v_lshlrev_b16 v166, 8, v166
	v_sub_nc_u16 v167, v167, v188
	v_lshrrev_b32_e32 v188, 16, v186
	v_sub_nc_u16 v186, v186, v142
	v_lshrrev_b32_e32 v142, 16, v142
	v_and_b32_e32 v10, 0x4040404, v10
	v_lshlrev_b16 v167, 8, v167
	v_and_b32_e32 v11, 0x4040404, v11
	v_or_b32_sdwa v165, v184, v165 dst_sel:DWORD dst_unused:UNUSED_PAD src0_sel:BYTE_0 src1_sel:DWORD
	v_sub_nc_u16 v142, v188, v142
	v_and_b32_e32 v188, 0x3030303, v168
	v_bfe_u32 v168, v168, 24, 2
	v_or_b32_sdwa v143, v143, v166 dst_sel:WORD_1 dst_unused:UNUSED_PAD src0_sel:BYTE_0 src1_sel:DWORD
	v_ashrrev_i32_e32 v12, s19, v12
	v_or_b32_sdwa v142, v142, v167 dst_sel:WORD_1 dst_unused:UNUSED_PAD src0_sel:BYTE_0 src1_sel:DWORD
	v_lshrrev_b16 v189, 8, v188
	s_and_b32 s24, s1, -16
	v_or_b32_sdwa v143, v165, v143 dst_sel:DWORD dst_unused:UNUSED_PAD src0_sel:WORD_0 src1_sel:DWORD
	v_lshlrev_b32_e32 v12, 2, v12
	s_add_i32 s21, s21, s24
	v_sub_nc_u16 v189, v189, v190
	v_lshrrev_b32_e32 v190, 24, v141
	v_lshlrev_b16 v166, 8, v187
	v_and_b32_e32 v12, 0x4040404, v12
	v_ashrrev_i32_e32 v13, s19, v13
	v_lshlrev_b16 v167, 8, v189
	v_sub_nc_u16 v168, v168, v190
	v_lshrrev_b32_e32 v190, 16, v188
	v_sub_nc_u16 v188, v188, v141
	v_lshrrev_b32_e32 v141, 16, v141
	v_or_b32_sdwa v166, v186, v166 dst_sel:DWORD dst_unused:UNUSED_PAD src0_sel:BYTE_0 src1_sel:DWORD
	v_lshlrev_b16 v168, 8, v168
	v_lshrrev_b16 v165, 8, v12
	v_or_b32_sdwa v167, v188, v167 dst_sel:DWORD dst_unused:UNUSED_PAD src0_sel:BYTE_0 src1_sel:DWORD
	v_sub_nc_u16 v141, v190, v141
	v_and_b32_e32 v190, 0x3030303, v169
	v_bfe_u32 v169, v169, 24, 2
	v_or_b32_sdwa v142, v166, v142 dst_sel:DWORD dst_unused:UNUSED_PAD src0_sel:WORD_0 src1_sel:DWORD
	v_lshlrev_b32_e32 v13, 2, v13
	v_or_b32_sdwa v141, v141, v168 dst_sel:WORD_1 dst_unused:UNUSED_PAD src0_sel:BYTE_0 src1_sel:DWORD
	v_lshrrev_b16 v191, 8, v190
	v_ashrrev_i32_e32 v14, s19, v14
	v_ashrrev_i32_e32 v15, s19, v15
	v_and_b32_e32 v13, 0x4040404, v13
	v_ashrrev_i32_e32 v16, s19, v16
	v_sub_nc_u16 v191, v191, v192
	v_lshrrev_b32_e32 v192, 24, v140
	v_lshlrev_b32_e32 v14, 2, v14
	v_lshlrev_b32_e32 v15, 2, v15
	v_ashrrev_i32_e32 v150, s22, v150
	v_lshlrev_b16 v168, 8, v191
	v_sub_nc_u16 v169, v169, v192
	v_lshrrev_b32_e32 v192, 16, v190
	v_sub_nc_u16 v190, v190, v140
	v_lshrrev_b32_e32 v140, 16, v140
	v_and_b32_e32 v14, 0x4040404, v14
	v_lshlrev_b16 v169, 8, v169
	v_and_b32_e32 v15, 0x4040404, v15
	v_or_b32_sdwa v168, v190, v168 dst_sel:DWORD dst_unused:UNUSED_PAD src0_sel:BYTE_0 src1_sel:DWORD
	v_sub_nc_u16 v140, v192, v140
	v_and_b32_e32 v192, 0x3030303, v148
	v_bfe_u32 v148, v148, 24, 2
	v_lshlrev_b32_e32 v16, 2, v16
	v_ashrrev_i32_e32 v17, s19, v17
	v_or_b32_sdwa v140, v140, v169 dst_sel:WORD_1 dst_unused:UNUSED_PAD src0_sel:BYTE_0 src1_sel:DWORD
	v_lshrrev_b16 v193, 8, v192
	v_ashrrev_i32_e32 v151, s22, v151
	v_and_b32_e32 v16, 0x4040404, v16
	v_lshlrev_b32_e32 v17, 2, v17
	v_ashrrev_i32_e32 v18, s19, v18
	v_sub_nc_u16 v193, v193, v194
	v_lshrrev_b32_e32 v194, 24, v139
	v_lshrrev_b16 v173, 8, v16
	v_and_b32_e32 v17, 0x4040404, v17
	v_lshlrev_b32_e32 v18, 2, v18
	v_lshlrev_b16 v169, 8, v193
	v_sub_nc_u16 v148, v148, v194
	v_lshrrev_b32_e32 v194, 16, v192
	v_sub_nc_u16 v192, v192, v139
	v_lshrrev_b32_e32 v139, 16, v139
	v_lshrrev_b16 v175, 8, v17
	v_lshlrev_b16 v148, 8, v148
	v_and_b32_e32 v18, 0x4040404, v18
	v_or_b32_sdwa v169, v192, v169 dst_sel:DWORD dst_unused:UNUSED_PAD src0_sel:BYTE_0 src1_sel:DWORD
	v_sub_nc_u16 v139, v194, v139
	v_and_b32_e32 v194, 0x3030303, v149
	v_bfe_u32 v149, v149, 24, 2
	v_lshrrev_b16 v177, 8, v18
	v_ashrrev_i32_e32 v19, s19, v19
	v_or_b32_sdwa v139, v139, v148 dst_sel:WORD_1 dst_unused:UNUSED_PAD src0_sel:BYTE_0 src1_sel:DWORD
	v_lshrrev_b16 v195, 8, v194
	v_ashrrev_i32_e32 v8, s19, v8
	v_ashrrev_i32_e32 v9, s19, v9
	v_lshlrev_b32_e32 v19, 2, v19
	v_ashrrev_i32_e32 v152, s22, v152
	v_sub_nc_u16 v195, v195, v196
	v_lshrrev_b32_e32 v196, 24, v138
	v_lshlrev_b32_e32 v8, 2, v8
	v_and_b32_e32 v19, 0x4040404, v19
	v_lshlrev_b32_e32 v9, 2, v9
	v_lshlrev_b16 v148, 8, v195
	v_sub_nc_u16 v149, v149, v196
	v_lshrrev_b32_e32 v196, 16, v194
	v_sub_nc_u16 v194, v194, v138
	v_lshrrev_b32_e32 v138, 16, v138
	v_lshrrev_b16 v179, 8, v19
	v_lshlrev_b16 v149, 8, v149
	v_and_b32_e32 v8, 0x4040404, v8
	v_or_b32_sdwa v148, v194, v148 dst_sel:DWORD dst_unused:UNUSED_PAD src0_sel:BYTE_0 src1_sel:DWORD
	v_sub_nc_u16 v138, v196, v138
	v_and_b32_e32 v196, 0x3030303, v170
	v_bfe_u32 v170, v170, 24, 2
	v_lshrrev_b16 v181, 8, v8
	v_and_b32_e32 v9, 0x4040404, v9
	v_or_b32_sdwa v138, v138, v149 dst_sel:WORD_1 dst_unused:UNUSED_PAD src0_sel:BYTE_0 src1_sel:DWORD
	v_lshrrev_b16 v197, 8, v196
	v_ashrrev_i32_e32 v153, s22, v153
	v_ashrrev_i32_e32 v20, s19, v20
	v_lshrrev_b16 v183, 8, v9
	v_or_b32_sdwa v148, v148, v138 dst_sel:DWORD dst_unused:UNUSED_PAD src0_sel:WORD_0 src1_sel:DWORD
	v_sub_nc_u16 v197, v197, v198
	v_lshrrev_b32_e32 v198, 24, v137
	v_lshlrev_b32_e32 v20, 2, v20
	v_ashrrev_i32_e32 v21, s19, v21
	s_add_i32 s1, s1, 2
	v_lshlrev_b16 v149, 8, v197
	v_sub_nc_u16 v170, v170, v198
	v_lshrrev_b32_e32 v198, 16, v196
	v_sub_nc_u16 v196, v196, v137
	v_lshrrev_b32_e32 v137, 16, v137
	v_and_b32_e32 v20, 0x4040404, v20
	v_lshlrev_b16 v170, 8, v170
	v_lshlrev_b32_e32 v21, 2, v21
	v_or_b32_sdwa v149, v196, v149 dst_sel:DWORD dst_unused:UNUSED_PAD src0_sel:BYTE_0 src1_sel:DWORD
	v_sub_nc_u16 v137, v198, v137
	v_and_b32_e32 v198, 0x3030303, v171
	v_bfe_u32 v171, v171, 24, 2
	v_lshrrev_b16 v189, 8, v20
	v_and_b32_e32 v21, 0x4040404, v21
	v_or_b32_sdwa v137, v137, v170 dst_sel:WORD_1 dst_unused:UNUSED_PAD src0_sel:BYTE_0 src1_sel:DWORD
	v_lshrrev_b16 v199, 8, v198
	v_lshrrev_b16 v191, 8, v21
	v_or_b32_sdwa v149, v149, v137 dst_sel:DWORD dst_unused:UNUSED_PAD src0_sel:WORD_0 src1_sel:DWORD
	v_sub_nc_u16 v199, v199, v200
	v_lshrrev_b32_e32 v200, 24, v135
	v_lshlrev_b16 v170, 8, v199
	v_sub_nc_u16 v171, v171, v200
	v_lshrrev_b32_e32 v200, 16, v198
	v_sub_nc_u16 v198, v198, v135
	v_lshrrev_b32_e32 v135, 16, v135
	v_lshlrev_b16 v171, 8, v171
	v_or_b32_sdwa v170, v198, v170 dst_sel:DWORD dst_unused:UNUSED_PAD src0_sel:BYTE_0 src1_sel:DWORD
	v_sub_nc_u16 v135, v200, v135
	v_and_b32_e32 v200, 0x3030303, v146
	v_bfe_u32 v146, v146, 24, 2
	v_or_b32_sdwa v135, v135, v171 dst_sel:WORD_1 dst_unused:UNUSED_PAD src0_sel:BYTE_0 src1_sel:DWORD
	v_lshrrev_b16 v201, 8, v200
	v_sub_nc_u16 v201, v201, v202
	v_lshrrev_b32_e32 v202, 24, v136
	v_lshlrev_b16 v171, 8, v201
	v_sub_nc_u16 v146, v146, v202
	v_lshrrev_b32_e32 v202, 16, v200
	v_sub_nc_u16 v200, v200, v136
	v_lshrrev_b32_e32 v136, 16, v136
	v_lshlrev_b16 v146, 8, v146
	v_or_b32_sdwa v171, v200, v171 dst_sel:DWORD dst_unused:UNUSED_PAD src0_sel:BYTE_0 src1_sel:DWORD
	v_sub_nc_u16 v136, v202, v136
	v_and_b32_e32 v202, 0x3030303, v147
	v_bfe_u32 v147, v147, 24, 2
	v_or_b32_sdwa v136, v136, v146 dst_sel:WORD_1 dst_unused:UNUSED_PAD src0_sel:BYTE_0 src1_sel:DWORD
	v_lshrrev_b16 v203, 8, v202
	v_or_b32_sdwa v163, v171, v136 dst_sel:DWORD dst_unused:UNUSED_PAD src0_sel:WORD_0 src1_sel:DWORD
	v_sub_nc_u16 v203, v203, v204
	v_lshrrev_b32_e32 v204, 24, v134
	v_lshrrev_b16 v171, 8, v15
	v_lshlrev_b16 v146, 8, v203
	v_sub_nc_u16 v147, v147, v204
	v_lshrrev_b32_e32 v204, 16, v202
	v_sub_nc_u16 v202, v202, v134
	v_lshrrev_b32_e32 v134, 16, v134
	v_lshlrev_b16 v147, 8, v147
	v_or_b32_sdwa v146, v202, v146 dst_sel:DWORD dst_unused:UNUSED_PAD src0_sel:BYTE_0 src1_sel:DWORD
	v_sub_nc_u16 v134, v204, v134
	v_or_b32_sdwa v134, v134, v147 dst_sel:WORD_1 dst_unused:UNUSED_PAD src0_sel:BYTE_0 src1_sel:DWORD
	v_or_b32_sdwa v147, v172, v156 dst_sel:DWORD dst_unused:UNUSED_PAD src0_sel:WORD_0 src1_sel:DWORD
	v_or_b32_sdwa v156, v160, v157 dst_sel:DWORD dst_unused:UNUSED_PAD src0_sel:WORD_0 src1_sel:DWORD
	;; [unrolled: 1-line block ×9, first 2 shown]
	ds_read_b128 v[134:137], v129
	ds_read_b128 v[138:141], v129 offset:16
	v_lshrrev_b16 v167, 8, v13
	v_lshrrev_b16 v169, 8, v14
	v_add_nc_u32_e32 v129, 32, v129
	s_waitcnt lgkmcnt(1)
	v_dot4c_i32_i8 v164, v147, v134
	v_mov_b32_e32 v147, 0
	v_dot4c_i32_i8 v164, v156, v135
	v_dot4c_i32_i8 v147, v145, v134
	v_mov_b32_e32 v145, 0
	v_dot4c_i32_i8 v164, v157, v136
	v_dot4c_i32_i8 v147, v144, v135
	;; [unrolled: 1-line block ×3, first 2 shown]
	v_mov_b32_e32 v159, 0
	v_dot4c_i32_i8 v164, v158, v137
	v_dot4c_i32_i8 v147, v143, v136
	;; [unrolled: 1-line block ×4, first 2 shown]
	v_ashrrev_i32_e32 v134, s22, v4
	v_lshrrev_b16 v160, 8, v10
	v_add_nc_u32_e32 v4, s21, v93
	v_dot4c_i32_i8 v145, v161, v136
	v_dot4c_i32_i8 v159, v162, v135
	v_and_b32_e32 v157, 0x3030303, v134
	v_bfe_u32 v134, v134, 24, 2
	v_ashrrev_i32_e32 v135, s22, v5
	v_lshrrev_b16 v162, 8, v11
	v_dot4c_i32_i8 v159, v163, v136
	v_lshrrev_b16 v158, 8, v157
	v_ashrrev_i32_e32 v136, s22, v6
	ds_read_u16 v144, v4 offset:26370
	v_add3_u32 v4, s23, v117, v118
	v_dot4c_i32_i8 v159, v146, v137
	v_sub_nc_u16 v158, v158, v160
	v_lshrrev_b32_e32 v160, 24, v10
	v_add_nc_u32_e32 v6, 0x1098, v131
	ds_read_b32 v146, v4
	v_add_nc_u32_e32 v4, 0x1090, v131
	v_dot4c_i32_i8 v147, v142, v137
	v_sub_nc_u16 v134, v134, v160
	v_lshrrev_b32_e32 v160, 16, v157
	v_sub_nc_u16 v157, v157, v10
	v_lshrrev_b32_e32 v10, 16, v10
	v_dot4c_i32_i8 v145, v148, v137
	v_ashrrev_i32_e32 v137, s22, v7
	ds_read2_b32 v[4:5], v4 offset1:1
	ds_read2_b32 v[6:7], v6 offset1:1
	v_ashrrev_i32_e32 v142, s19, v154
	v_sub_nc_u16 v10, v160, v10
	v_and_b32_e32 v160, 0x3030303, v135
	v_bfe_u32 v135, v135, 24, 2
	v_ashrrev_i32_e32 v143, s19, v155
	v_lshlrev_b32_e32 v142, 2, v142
	v_lshlrev_b16 v158, 8, v158
	v_lshrrev_b16 v161, 8, v160
	v_lshlrev_b16 v134, 8, v134
	v_lshlrev_b32_e32 v143, 2, v143
	v_and_b32_e32 v142, 0x4040404, v142
	v_or_b32_sdwa v157, v157, v158 dst_sel:DWORD dst_unused:UNUSED_PAD src0_sel:BYTE_0 src1_sel:DWORD
	v_sub_nc_u16 v161, v161, v162
	v_lshrrev_b32_e32 v162, 24, v11
	v_and_b32_e32 v143, 0x4040404, v143
	v_lshrrev_b16 v185, 8, v142
	v_or_b32_sdwa v10, v10, v134 dst_sel:WORD_1 dst_unused:UNUSED_PAD src0_sel:BYTE_0 src1_sel:DWORD
	v_lshlrev_b16 v134, 8, v161
	v_sub_nc_u16 v135, v135, v162
	v_lshrrev_b32_e32 v162, 16, v160
	v_sub_nc_u16 v160, v160, v11
	v_lshrrev_b32_e32 v11, 16, v11
	s_waitcnt lgkmcnt(1)
	v_ashrrev_i32_e32 v148, s22, v4
	v_ashrrev_i32_e32 v149, s22, v5
	v_add_nc_u32_e32 v5, s21, v91
	s_waitcnt lgkmcnt(0)
	v_ashrrev_i32_e32 v154, s22, v6
	v_sub_nc_u16 v11, v162, v11
	v_and_b32_e32 v162, 0x3030303, v136
	v_bfe_u32 v136, v136, 24, 2
	v_add_nc_u32_e32 v4, 0x3190, v131
	v_add_nc_u32_e32 v6, 0x3198, v131
	ds_read_u16 v131, v5 offset:28418
	v_lshrrev_b16 v163, 8, v162
	v_add3_u32 v5, s23, v126, v127
	v_ashrrev_i32_e32 v155, s22, v7
	ds_read_b32 v156, v5
	ds_read2_b32 v[4:5], v4 offset1:1
	ds_read2_b32 v[6:7], v6 offset1:1
	v_sub_nc_u16 v163, v163, v165
	v_lshrrev_b32_e32 v165, 24, v12
	v_lshrrev_b16 v187, 8, v143
	v_or_b32_sdwa v10, v157, v10 dst_sel:DWORD dst_unused:UNUSED_PAD src0_sel:WORD_0 src1_sel:DWORD
	v_lshlrev_b16 v135, 8, v135
	v_or_b32_sdwa v134, v160, v134 dst_sel:DWORD dst_unused:UNUSED_PAD src0_sel:BYTE_0 src1_sel:DWORD
	v_sub_nc_u16 v136, v136, v165
	v_lshrrev_b32_e32 v165, 16, v162
	v_sub_nc_u16 v162, v162, v12
	v_lshrrev_b32_e32 v12, 16, v12
	v_or_b32_sdwa v11, v11, v135 dst_sel:WORD_1 dst_unused:UNUSED_PAD src0_sel:BYTE_0 src1_sel:DWORD
	v_lshlrev_b16 v135, 8, v163
	v_lshlrev_b16 v136, 8, v136
	s_add_i32 s19, s19, 1
	v_sub_nc_u16 v12, v165, v12
	v_and_b32_e32 v165, 0x3030303, v137
	v_bfe_u32 v137, v137, 24, 2
	v_or_b32_sdwa v11, v134, v11 dst_sel:DWORD dst_unused:UNUSED_PAD src0_sel:WORD_0 src1_sel:DWORD
	s_waitcnt lgkmcnt(1)
	v_ashrrev_i32_e32 v4, s22, v4
	v_ashrrev_i32_e32 v5, s22, v5
	v_lshrrev_b16 v166, 8, v165
	s_waitcnt lgkmcnt(0)
	v_ashrrev_i32_e32 v6, s22, v6
	v_ashrrev_i32_e32 v7, s22, v7
	v_mov_b32_e32 v134, 0
	v_or_b32_sdwa v135, v162, v135 dst_sel:DWORD dst_unused:UNUSED_PAD src0_sel:BYTE_0 src1_sel:DWORD
	v_sub_nc_u16 v166, v166, v167
	v_lshrrev_b32_e32 v167, 24, v13
	v_or_b32_sdwa v12, v12, v136 dst_sel:WORD_1 dst_unused:UNUSED_PAD src0_sel:BYTE_0 src1_sel:DWORD
	s_cmp_lt_u32 s20, 14
	v_lshlrev_b16 v136, 8, v166
	v_sub_nc_u16 v137, v137, v167
	v_lshrrev_b32_e32 v167, 16, v165
	v_sub_nc_u16 v165, v165, v13
	v_lshrrev_b32_e32 v13, 16, v13
	v_or_b32_sdwa v12, v135, v12 dst_sel:DWORD dst_unused:UNUSED_PAD src0_sel:WORD_0 src1_sel:DWORD
	v_lshlrev_b16 v137, 8, v137
	v_or_b32_sdwa v136, v165, v136 dst_sel:DWORD dst_unused:UNUSED_PAD src0_sel:BYTE_0 src1_sel:DWORD
	v_sub_nc_u16 v13, v167, v13
	v_and_b32_e32 v167, 0x3030303, v148
	v_bfe_u32 v148, v148, 24, 2
	v_or_b32_sdwa v13, v13, v137 dst_sel:WORD_1 dst_unused:UNUSED_PAD src0_sel:BYTE_0 src1_sel:DWORD
	v_lshrrev_b16 v168, 8, v167
	v_or_b32_sdwa v13, v136, v13 dst_sel:DWORD dst_unused:UNUSED_PAD src0_sel:WORD_0 src1_sel:DWORD
	v_sub_nc_u16 v168, v168, v169
	v_lshrrev_b32_e32 v169, 24, v14
	v_lshlrev_b16 v137, 8, v168
	v_sub_nc_u16 v148, v148, v169
	v_lshrrev_b32_e32 v169, 16, v167
	v_sub_nc_u16 v167, v167, v14
	v_lshrrev_b32_e32 v14, 16, v14
	v_lshlrev_b16 v148, 8, v148
	v_or_b32_sdwa v137, v167, v137 dst_sel:DWORD dst_unused:UNUSED_PAD src0_sel:BYTE_0 src1_sel:DWORD
	v_sub_nc_u16 v14, v169, v14
	v_and_b32_e32 v169, 0x3030303, v149
	v_bfe_u32 v149, v149, 24, 2
	v_or_b32_sdwa v14, v14, v148 dst_sel:WORD_1 dst_unused:UNUSED_PAD src0_sel:BYTE_0 src1_sel:DWORD
	v_lshrrev_b16 v170, 8, v169
	v_or_b32_sdwa v14, v137, v14 dst_sel:DWORD dst_unused:UNUSED_PAD src0_sel:WORD_0 src1_sel:DWORD
	v_sub_nc_u16 v170, v170, v171
	v_lshrrev_b32_e32 v171, 24, v15
	v_lshlrev_b16 v148, 8, v170
	v_sub_nc_u16 v149, v149, v171
	v_lshrrev_b32_e32 v171, 16, v169
	v_sub_nc_u16 v169, v169, v15
	v_lshrrev_b32_e32 v15, 16, v15
	;; [unrolled: 15-line block ×3, first 2 shown]
	v_lshlrev_b16 v150, 8, v150
	v_or_b32_sdwa v149, v171, v149 dst_sel:DWORD dst_unused:UNUSED_PAD src0_sel:BYTE_0 src1_sel:DWORD
	v_sub_nc_u16 v16, v173, v16
	v_and_b32_e32 v173, 0x3030303, v151
	v_bfe_u32 v151, v151, 24, 2
	v_or_b32_sdwa v16, v16, v150 dst_sel:WORD_1 dst_unused:UNUSED_PAD src0_sel:BYTE_0 src1_sel:DWORD
	v_lshrrev_b16 v174, 8, v173
	v_or_b32_sdwa v16, v149, v16 dst_sel:DWORD dst_unused:UNUSED_PAD src0_sel:WORD_0 src1_sel:DWORD
	v_sub_nc_u16 v174, v174, v175
	v_lshrrev_b32_e32 v175, 24, v17
	v_dot4c_i32_i8 v134, v16, v138
	v_lshlrev_b16 v150, 8, v174
	v_sub_nc_u16 v151, v151, v175
	v_lshrrev_b32_e32 v175, 16, v173
	v_sub_nc_u16 v173, v173, v17
	v_lshrrev_b32_e32 v17, 16, v17
	v_lshlrev_b16 v151, 8, v151
	v_or_b32_sdwa v150, v173, v150 dst_sel:DWORD dst_unused:UNUSED_PAD src0_sel:BYTE_0 src1_sel:DWORD
	v_sub_nc_u16 v17, v175, v17
	v_and_b32_e32 v175, 0x3030303, v4
	v_bfe_u32 v4, v4, 24, 2
	v_or_b32_sdwa v17, v17, v151 dst_sel:WORD_1 dst_unused:UNUSED_PAD src0_sel:BYTE_0 src1_sel:DWORD
	v_lshrrev_b16 v176, 8, v175
	v_or_b32_sdwa v17, v150, v17 dst_sel:DWORD dst_unused:UNUSED_PAD src0_sel:WORD_0 src1_sel:DWORD
	v_sub_nc_u16 v176, v176, v177
	v_lshrrev_b32_e32 v177, 24, v18
	v_dot4c_i32_i8 v134, v17, v139
	v_lshlrev_b16 v151, 8, v176
	v_sub_nc_u16 v4, v4, v177
	v_lshrrev_b32_e32 v177, 16, v175
	v_sub_nc_u16 v175, v175, v18
	v_lshrrev_b32_e32 v18, 16, v18
	v_lshlrev_b16 v4, 8, v4
	v_or_b32_sdwa v151, v175, v151 dst_sel:DWORD dst_unused:UNUSED_PAD src0_sel:BYTE_0 src1_sel:DWORD
	v_sub_nc_u16 v18, v177, v18
	v_and_b32_e32 v177, 0x3030303, v5
	v_bfe_u32 v5, v5, 24, 2
	v_or_b32_sdwa v4, v18, v4 dst_sel:WORD_1 dst_unused:UNUSED_PAD src0_sel:BYTE_0 src1_sel:DWORD
	v_lshrrev_b16 v178, 8, v177
	v_or_b32_sdwa v4, v151, v4 dst_sel:DWORD dst_unused:UNUSED_PAD src0_sel:WORD_0 src1_sel:DWORD
	v_sub_nc_u16 v178, v178, v179
	v_lshrrev_b32_e32 v179, 24, v19
	v_lshlrev_b16 v18, 8, v178
	v_sub_nc_u16 v5, v5, v179
	v_lshrrev_b32_e32 v179, 16, v177
	v_sub_nc_u16 v177, v177, v19
	v_lshrrev_b32_e32 v19, 16, v19
	v_lshlrev_b16 v5, 8, v5
	v_or_b32_sdwa v18, v177, v18 dst_sel:DWORD dst_unused:UNUSED_PAD src0_sel:BYTE_0 src1_sel:DWORD
	v_sub_nc_u16 v19, v179, v19
	v_and_b32_e32 v179, 0x3030303, v154
	v_bfe_u32 v154, v154, 24, 2
	v_or_b32_sdwa v5, v19, v5 dst_sel:WORD_1 dst_unused:UNUSED_PAD src0_sel:BYTE_0 src1_sel:DWORD
	v_lshrrev_b16 v180, 8, v179
	v_or_b32_sdwa v5, v18, v5 dst_sel:DWORD dst_unused:UNUSED_PAD src0_sel:WORD_0 src1_sel:DWORD
	v_sub_nc_u16 v180, v180, v181
	v_lshrrev_b32_e32 v181, 24, v8
	v_lshlrev_b16 v19, 8, v180
	v_sub_nc_u16 v154, v154, v181
	v_lshrrev_b32_e32 v181, 16, v179
	v_sub_nc_u16 v179, v179, v8
	v_lshrrev_b32_e32 v8, 16, v8
	v_lshlrev_b16 v154, 8, v154
	v_or_b32_sdwa v19, v179, v19 dst_sel:DWORD dst_unused:UNUSED_PAD src0_sel:BYTE_0 src1_sel:DWORD
	v_sub_nc_u16 v8, v181, v8
	v_and_b32_e32 v181, 0x3030303, v155
	v_bfe_u32 v155, v155, 24, 2
	v_or_b32_sdwa v8, v8, v154 dst_sel:WORD_1 dst_unused:UNUSED_PAD src0_sel:BYTE_0 src1_sel:DWORD
	v_lshrrev_b16 v182, 8, v181
	v_or_b32_sdwa v8, v19, v8 dst_sel:DWORD dst_unused:UNUSED_PAD src0_sel:WORD_0 src1_sel:DWORD
	v_sub_nc_u16 v182, v182, v183
	v_lshrrev_b32_e32 v183, 24, v9
	v_lshlrev_b16 v154, 8, v182
	v_sub_nc_u16 v155, v155, v183
	v_lshrrev_b32_e32 v183, 16, v181
	v_sub_nc_u16 v181, v181, v9
	v_lshrrev_b32_e32 v9, 16, v9
	v_lshlrev_b16 v155, 8, v155
	v_or_b32_sdwa v154, v181, v154 dst_sel:DWORD dst_unused:UNUSED_PAD src0_sel:BYTE_0 src1_sel:DWORD
	v_sub_nc_u16 v9, v183, v9
	v_and_b32_e32 v183, 0x3030303, v152
	v_bfe_u32 v152, v152, 24, 2
	v_or_b32_sdwa v9, v9, v155 dst_sel:WORD_1 dst_unused:UNUSED_PAD src0_sel:BYTE_0 src1_sel:DWORD
	v_lshrrev_b16 v184, 8, v183
	v_or_b32_sdwa v9, v154, v9 dst_sel:DWORD dst_unused:UNUSED_PAD src0_sel:WORD_0 src1_sel:DWORD
	v_sub_nc_u16 v184, v184, v185
	v_lshrrev_b32_e32 v185, 24, v142
	v_lshlrev_b16 v155, 8, v184
	v_sub_nc_u16 v152, v152, v185
	v_lshrrev_b32_e32 v185, 16, v183
	v_sub_nc_u16 v183, v183, v142
	v_lshrrev_b32_e32 v142, 16, v142
	v_lshlrev_b16 v152, 8, v152
	v_or_b32_sdwa v155, v183, v155 dst_sel:DWORD dst_unused:UNUSED_PAD src0_sel:BYTE_0 src1_sel:DWORD
	v_sub_nc_u16 v142, v185, v142
	v_and_b32_e32 v185, 0x3030303, v153
	v_bfe_u32 v153, v153, 24, 2
	v_or_b32_sdwa v142, v142, v152 dst_sel:WORD_1 dst_unused:UNUSED_PAD src0_sel:BYTE_0 src1_sel:DWORD
	v_lshrrev_b16 v186, 8, v185
	v_or_b32_sdwa v18, v155, v142 dst_sel:DWORD dst_unused:UNUSED_PAD src0_sel:WORD_0 src1_sel:DWORD
	v_sub_nc_u16 v186, v186, v187
	v_lshrrev_b32_e32 v187, 24, v143
	v_dot4c_i32_i8 v134, v18, v140
	v_lshlrev_b16 v152, 8, v186
	v_sub_nc_u16 v153, v153, v187
	v_lshrrev_b32_e32 v187, 16, v185
	v_sub_nc_u16 v185, v185, v143
	v_lshrrev_b32_e32 v143, 16, v143
	v_lshlrev_b16 v153, 8, v153
	v_or_b32_sdwa v152, v185, v152 dst_sel:DWORD dst_unused:UNUSED_PAD src0_sel:BYTE_0 src1_sel:DWORD
	v_sub_nc_u16 v143, v187, v143
	v_and_b32_e32 v187, 0x3030303, v6
	v_bfe_u32 v6, v6, 24, 2
	v_or_b32_sdwa v143, v143, v153 dst_sel:WORD_1 dst_unused:UNUSED_PAD src0_sel:BYTE_0 src1_sel:DWORD
	v_lshrrev_b16 v188, 8, v187
	v_or_b32_sdwa v19, v152, v143 dst_sel:DWORD dst_unused:UNUSED_PAD src0_sel:WORD_0 src1_sel:DWORD
	v_sub_nc_u16 v188, v188, v189
	v_lshrrev_b32_e32 v189, 24, v20
	v_dot4c_i32_i8 v134, v19, v141
	v_lshlrev_b16 v153, 8, v188
	v_sub_nc_u16 v6, v6, v189
	v_lshrrev_b32_e32 v189, 16, v187
	v_sub_nc_u16 v187, v187, v20
	v_lshrrev_b32_e32 v20, 16, v20
	v_lshlrev_b16 v6, 8, v6
	v_or_b32_sdwa v153, v187, v153 dst_sel:DWORD dst_unused:UNUSED_PAD src0_sel:BYTE_0 src1_sel:DWORD
	v_sub_nc_u16 v20, v189, v20
	v_and_b32_e32 v189, 0x3030303, v7
	v_bfe_u32 v7, v7, 24, 2
	v_or_b32_sdwa v6, v20, v6 dst_sel:WORD_1 dst_unused:UNUSED_PAD src0_sel:BYTE_0 src1_sel:DWORD
	v_lshrrev_b16 v190, 8, v189
	v_or_b32_sdwa v6, v153, v6 dst_sel:DWORD dst_unused:UNUSED_PAD src0_sel:WORD_0 src1_sel:DWORD
	v_sub_nc_u16 v190, v190, v191
	v_lshrrev_b32_e32 v191, 24, v21
	v_lshlrev_b16 v20, 8, v190
	v_sub_nc_u16 v7, v7, v191
	v_lshrrev_b32_e32 v191, 16, v189
	v_sub_nc_u16 v189, v189, v21
	v_lshrrev_b32_e32 v21, 16, v21
	v_lshlrev_b16 v7, 8, v7
	v_or_b32_sdwa v20, v189, v20 dst_sel:DWORD dst_unused:UNUSED_PAD src0_sel:BYTE_0 src1_sel:DWORD
	v_sub_nc_u16 v21, v191, v21
	v_or_b32_sdwa v7, v21, v7 dst_sel:WORD_1 dst_unused:UNUSED_PAD src0_sel:BYTE_0 src1_sel:DWORD
	v_mov_b32_e32 v21, 0
	v_or_b32_sdwa v7, v20, v7 dst_sel:DWORD dst_unused:UNUSED_PAD src0_sel:WORD_0 src1_sel:DWORD
	v_mov_b32_e32 v20, 0
	v_dot4c_i32_i8 v21, v10, v138
	v_add_nc_u32_e32 v10, s21, v94
	v_dot4c_i32_i8 v20, v14, v138
	v_mov_b32_e32 v14, 0
	v_dot4c_i32_i8 v21, v11, v139
	v_dot4c_i32_i8 v20, v15, v139
	;; [unrolled: 1-line block ×3, first 2 shown]
	v_add_nc_u32_e32 v4, s21, v92
	ds_read_u16 v10, v10 offset:25346
	ds_read_u16 v4, v4 offset:27394
	v_dot4c_i32_i8 v14, v5, v139
	v_bfe_i32 v5, v144, 0, 8
	v_dot4c_i32_i8 v21, v12, v140
	v_lshrrev_b16 v12, 8, v131
	v_bfe_i32 v131, v131, 0, 8
	v_dot4c_i32_i8 v14, v6, v140
	v_mul_lo_u32 v5, v147, v5
	v_dot4c_i32_i8 v20, v8, v140
	v_dot4c_i32_i8 v21, v13, v141
	ds_read_b32 v16, v130
	v_dot4c_i32_i8 v14, v7, v141
	v_mul_lo_u32 v7, v159, v131
	v_dot4c_i32_i8 v20, v9, v141
	v_bfe_i32 v12, v12, 0, 8
	v_add_nc_u32_e32 v130, 4, v130
	s_mov_b32 s21, s20
	s_waitcnt lgkmcnt(2)
	v_lshrrev_b16 v11, 8, v10
	v_bfe_i32 v10, v10, 0, 8
	s_waitcnt lgkmcnt(1)
	v_lshrrev_b16 v15, 8, v4
	v_bfe_i32 v17, v4, 0, 8
	v_lshrrev_b16 v4, 8, v144
	v_bfe_i32 v11, v11, 0, 8
	v_bfe_i32 v15, v15, 0, 8
	v_mul_lo_u32 v6, v145, v17
	v_bfe_i32 v135, v4, 0, 8
	v_mul_lo_u32 v4, v164, v10
	v_mad_u64_u32 v[8:9], null, v21, v11, v[4:5]
	v_mad_u64_u32 v[9:10], null, v20, v135, v[5:6]
	;; [unrolled: 1-line block ×3, first 2 shown]
	s_waitcnt lgkmcnt(0)
	v_mul_f32_e32 v4, v16, v133
	v_mul_f32_e32 v5, v16, v146
	v_mad_u64_u32 v[11:12], null, v14, v12, v[7:8]
	v_mul_f32_e32 v6, v16, v132
	v_mul_f32_e32 v7, v16, v156
	v_cvt_f32_i32_e32 v8, v8
	v_cvt_f32_i32_e32 v9, v9
	;; [unrolled: 1-line block ×4, first 2 shown]
	v_fmac_f32_e32 v23, v4, v8
	v_fmac_f32_e32 v87, v5, v9
	;; [unrolled: 1-line block ×4, first 2 shown]
	s_cbranch_scc1 .LBB209_19
; %bb.20:                               ;   in Loop: Header=BB209_5 Depth=1
	s_or_b32 s1, s4, 0x100
	s_cmp_ge_i32 s1, s15
	s_barrier
	buffer_gl0_inv
	s_cbranch_scc1 .LBB209_4
; %bb.21:                               ;   in Loop: Header=BB209_5 Depth=1
	v_add_nc_u32_e32 v4, s5, v86
	v_cmp_gt_i32_e64 s1, s9, v4
	s_and_b32 s19, s0, s1
	s_and_saveexec_b32 s1, s19
	s_cbranch_execz .LBB209_23
; %bb.22:                               ;   in Loop: Header=BB209_5 Depth=1
	v_add_nc_u32_e32 v4, v89, v4
	v_mad_i64_i32 v[4:5], null, v4, 36, v[1:2]
	global_load_dword v4, v[4:5], off offset:4
	s_waitcnt vmcnt(0)
	ds_write_b32 v82, v4
.LBB209_23:                             ;   in Loop: Header=BB209_5 Depth=1
	s_or_b32 exec_lo, exec_lo, s1
	s_and_saveexec_b32 s19, vcc_lo
	s_cbranch_execz .LBB209_26
; %bb.24:                               ;   in Loop: Header=BB209_5 Depth=1
	v_or_b32_e32 v4, 8, v128
	v_cmp_gt_i32_e64 s1, s9, v4
	s_and_b32 s1, s0, s1
	s_and_b32 exec_lo, exec_lo, s1
	s_cbranch_execz .LBB209_26
; %bb.25:                               ;   in Loop: Header=BB209_5 Depth=1
	v_ashrrev_i32_e32 v4, 31, v128
	v_add_co_u32 v5, s1, v89, v128
	v_add_co_ci_u32_e64 v6, null, v95, v4, s1
	v_mad_u64_u32 v[4:5], null, v5, 36, s[2:3]
	v_mad_i32_i24 v5, v6, 36, v5
	global_load_dword v4, v[4:5], off offset:288
	s_waitcnt vmcnt(0)
	v_cvt_f32_f16_e32 v4, v4
	ds_write_b32 v83, v4
.LBB209_26:                             ;   in Loop: Header=BB209_5 Depth=1
	s_or_b32 exec_lo, exec_lo, s19
	v_mov_b32_e32 v129, v80
	v_mov_b32_e32 v130, v81
	s_mov_b32 s1, 16
	s_mov_b32 s21, 14
	;; [unrolled: 1-line block ×3, first 2 shown]
	s_waitcnt lgkmcnt(0)
	s_barrier
	buffer_gl0_inv
.LBB209_27:                             ;   Parent Loop BB209_5 Depth=1
                                        ; =>  This Inner Loop Header: Depth=2
	s_add_i32 s20, s21, 2
	s_add_i32 s22, s21, -14
	s_lshr_b32 s23, s20, 4
	s_and_b32 s24, s20, 0x3ffffff8
	s_lshl_b32 s25, s23, 5
	v_lshl_add_u32 v131, s24, 2, v90
	s_add_i32 s24, s25, 0x4200
	s_lshl_b32 s23, s23, 2
	v_add3_u32 v8, s24, v112, v113
	v_add3_u32 v9, s24, v115, v116
	;; [unrolled: 1-line block ×3, first 2 shown]
	v_add_nc_u32_e32 v21, 0x1080, v131
	ds_read2_b32 v[18:19], v131 offset1:1
	ds_read2_b32 v[16:17], v131 offset0:2 offset1:3
	ds_read2_b32 v[4:5], v131 offset0:4 offset1:5
	;; [unrolled: 1-line block ×3, first 2 shown]
	ds_read2_b32 v[133:134], v8 offset1:1
	ds_read2_b32 v[135:136], v8 offset0:2 offset1:3
	ds_read2_b32 v[137:138], v9 offset1:1
	ds_read2_b32 v[139:140], v9 offset0:2 offset1:3
	ds_read2_b32 v[146:147], v132 offset0:2 offset1:3
	;; [unrolled: 1-line block ×5, first 2 shown]
	ds_read2_b32 v[148:149], v21 offset1:1
	ds_read2_b32 v[8:9], v9 offset0:6 offset1:7
	v_add_nc_u32_e32 v20, 0x2100, v131
	s_addk_i32 s23, 0x7380
	v_add_nc_u32_e32 v152, 0x2118, v131
	s_waitcnt lgkmcnt(13)
	v_ashrrev_i32_e32 v156, s22, v18
	v_ashrrev_i32_e32 v157, s22, v19
	s_waitcnt lgkmcnt(12)
	v_ashrrev_i32_e32 v158, s22, v16
	v_ashrrev_i32_e32 v159, s22, v17
	s_waitcnt lgkmcnt(9)
	v_ashrrev_i32_e32 v160, s19, v133
	v_and_b32_e32 v172, 0x3030303, v156
	v_ashrrev_i32_e32 v161, s19, v134
	v_bfe_u32 v156, v156, 24, 2
	ds_read2_b32 v[16:17], v132 offset0:4 offset1:5
	ds_read2_b32 v[150:151], v20 offset1:1
	ds_read2_b32 v[18:19], v132 offset1:1
	v_lshlrev_b32_e32 v160, 2, v160
	v_lshrrev_b16 v173, 8, v172
	v_lshlrev_b32_e32 v161, 2, v161
	s_waitcnt lgkmcnt(11)
	v_ashrrev_i32_e32 v162, s19, v135
	v_add3_u32 v20, s24, v123, v124
	v_and_b32_e32 v160, 0x4040404, v160
	v_ashrrev_i32_e32 v163, s19, v136
	v_and_b32_e32 v161, 0x4040404, v161
	v_lshlrev_b32_e32 v162, 2, v162
	s_waitcnt lgkmcnt(10)
	v_ashrrev_i32_e32 v144, s19, v138
	v_lshrrev_b16 v174, 8, v160
	s_waitcnt lgkmcnt(9)
	v_ashrrev_i32_e32 v143, s19, v139
	v_lshrrev_b16 v176, 8, v161
	v_and_b32_e32 v162, 0x4040404, v162
	v_ashrrev_i32_e32 v142, s19, v140
	v_sub_nc_u16 v173, v173, v174
	v_lshrrev_b32_e32 v174, 24, v160
	s_waitcnt lgkmcnt(8)
	v_ashrrev_i32_e32 v139, s19, v146
	v_lshrrev_b16 v178, 8, v162
	s_waitcnt lgkmcnt(0)
	v_ashrrev_i32_e32 v141, s19, v18
	v_add_nc_u32_e32 v18, 0x3180, v131
	v_sub_nc_u16 v156, v156, v174
	v_lshrrev_b32_e32 v174, 16, v172
	v_sub_nc_u16 v172, v172, v160
	v_lshrrev_b32_e32 v160, 16, v160
	v_ashrrev_i32_e32 v140, s19, v19
	v_ashrrev_i32_e32 v138, s19, v147
	ds_read2_b32 v[146:147], v18 offset1:1
	ds_read2_b32 v[18:19], v20 offset1:1
	v_lshlrev_b32_e32 v163, 2, v163
	v_sub_nc_u16 v160, v174, v160
	v_and_b32_e32 v174, 0x3030303, v157
	v_bfe_u32 v157, v157, 24, 2
	v_ashrrev_i32_e32 v145, s19, v137
	v_and_b32_e32 v163, 0x4040404, v163
	v_ashrrev_i32_e32 v164, s22, v148
	v_lshrrev_b16 v175, 8, v174
	v_add_nc_u32_e32 v148, 0x1088, v131
	v_lshlrev_b32_e32 v145, 2, v145
	v_lshrrev_b16 v180, 8, v163
	v_ashrrev_i32_e32 v165, s22, v149
	v_sub_nc_u16 v175, v175, v176
	v_lshrrev_b32_e32 v176, 24, v161
	v_and_b32_e32 v145, 0x4040404, v145
	v_lshlrev_b32_e32 v144, 2, v144
	v_lshlrev_b32_e32 v143, 2, v143
	;; [unrolled: 1-line block ×3, first 2 shown]
	v_sub_nc_u16 v157, v157, v176
	v_lshrrev_b32_e32 v176, 16, v174
	v_sub_nc_u16 v174, v174, v161
	v_lshrrev_b32_e32 v161, 16, v161
	s_waitcnt lgkmcnt(0)
	v_ashrrev_i32_e32 v137, s19, v18
	v_ashrrev_i32_e32 v135, s19, v19
	ds_read2_b32 v[133:134], v20 offset0:2 offset1:3
	ds_read2_b32 v[18:19], v20 offset0:4 offset1:5
	;; [unrolled: 1-line block ×3, first 2 shown]
	v_lshrrev_b16 v182, 8, v145
	v_sub_nc_u16 v161, v176, v161
	v_and_b32_e32 v176, 0x3030303, v158
	v_bfe_u32 v158, v158, 24, 2
	ds_read2_b32 v[148:149], v148 offset1:1
	v_and_b32_e32 v144, 0x4040404, v144
	v_and_b32_e32 v143, 0x4040404, v143
	v_lshrrev_b16 v177, 8, v176
	v_and_b32_e32 v142, 0x4040404, v142
	v_ashrrev_i32_e32 v168, s22, v150
	v_lshrrev_b16 v184, 8, v144
	v_lshrrev_b16 v186, 8, v143
	v_sub_nc_u16 v177, v177, v178
	v_lshrrev_b32_e32 v178, 24, v162
	v_lshrrev_b16 v188, 8, v142
	v_lshlrev_b32_e32 v141, 2, v141
	v_add_nc_u32_e32 v150, 0x2110, v131
	s_waitcnt lgkmcnt(3)
	v_ashrrev_i32_e32 v136, s19, v133
	v_sub_nc_u16 v158, v158, v178
	v_lshrrev_b32_e32 v178, 16, v176
	v_sub_nc_u16 v176, v176, v162
	v_lshrrev_b32_e32 v162, 16, v162
	v_add3_u32 v133, s23, v125, v114
	v_and_b32_e32 v141, 0x4040404, v141
	s_waitcnt lgkmcnt(0)
	v_ashrrev_i32_e32 v166, s22, v148
	v_ashrrev_i32_e32 v167, s22, v149
	v_sub_nc_u16 v162, v178, v162
	v_and_b32_e32 v178, 0x3030303, v159
	v_bfe_u32 v159, v159, 24, 2
	ds_read_b32 v133, v133
	v_lshrrev_b16 v190, 8, v141
	v_add_nc_u32_e32 v148, 0x2108, v131
	v_lshrrev_b16 v179, 8, v178
	v_ashrrev_i32_e32 v169, s22, v151
	v_lshlrev_b32_e32 v140, 2, v140
	ds_read2_b32 v[148:149], v148 offset1:1
	ds_read2_b32 v[150:151], v150 offset1:1
	;; [unrolled: 1-line block ×3, first 2 shown]
	ds_read2_b32 v[154:155], v132 offset0:6 offset1:7
	v_sub_nc_u16 v179, v179, v180
	v_lshrrev_b32_e32 v180, 24, v163
	v_and_b32_e32 v140, 0x4040404, v140
	v_lshlrev_b32_e32 v139, 2, v139
	v_lshlrev_b32_e32 v138, 2, v138
	v_ashrrev_i32_e32 v170, s22, v146
	v_sub_nc_u16 v159, v159, v180
	v_lshrrev_b32_e32 v180, 16, v178
	v_sub_nc_u16 v178, v178, v163
	v_lshrrev_b32_e32 v163, 16, v163
	v_lshrrev_b16 v192, 8, v140
	v_and_b32_e32 v139, 0x4040404, v139
	v_and_b32_e32 v138, 0x4040404, v138
	v_lshlrev_b32_e32 v137, 2, v137
	v_sub_nc_u16 v163, v180, v163
	v_and_b32_e32 v180, 0x3030303, v164
	v_bfe_u32 v164, v164, 24, 2
	s_waitcnt lgkmcnt(3)
	v_ashrrev_i32_e32 v148, s22, v148
	v_lshrrev_b16 v194, 8, v139
	v_ashrrev_i32_e32 v149, s22, v149
	v_lshrrev_b16 v181, 8, v180
	v_lshrrev_b16 v196, 8, v138
	v_and_b32_e32 v137, 0x4040404, v137
	v_add3_u32 v132, s23, v121, v122
	v_add_nc_u32_e32 v146, 0x3188, v131
	v_sub_nc_u16 v181, v181, v182
	v_lshrrev_b32_e32 v182, 24, v145
	v_lshrrev_b16 v198, 8, v137
	ds_read_b32 v132, v132
	v_ashrrev_i32_e32 v171, s22, v147
	ds_read2_b32 v[146:147], v146 offset1:1
	v_sub_nc_u16 v164, v164, v182
	v_lshrrev_b32_e32 v182, 16, v180
	v_sub_nc_u16 v180, v180, v145
	v_lshrrev_b32_e32 v145, 16, v145
	v_lshlrev_b32_e32 v135, 2, v135
	v_lshlrev_b32_e32 v136, 2, v136
	v_ashrrev_i32_e32 v134, s19, v134
	v_lshlrev_b16 v156, 8, v156
	v_sub_nc_u16 v145, v182, v145
	v_and_b32_e32 v182, 0x3030303, v165
	v_bfe_u32 v165, v165, 24, 2
	v_and_b32_e32 v135, 0x4040404, v135
	v_and_b32_e32 v136, 0x4040404, v136
	v_lshlrev_b32_e32 v134, 2, v134
	v_lshrrev_b16 v183, 8, v182
	v_lshlrev_b16 v157, 8, v157
	v_lshrrev_b16 v200, 8, v135
	v_lshrrev_b16 v202, 8, v136
	v_and_b32_e32 v134, 0x4040404, v134
	v_sub_nc_u16 v183, v183, v184
	v_lshrrev_b32_e32 v184, 24, v144
	s_waitcnt lgkmcnt(0)
	v_ashrrev_i32_e32 v146, s22, v146
	v_ashrrev_i32_e32 v147, s22, v147
	v_lshrrev_b16 v204, 8, v134
	v_lshlrev_b16 v158, 8, v158
	v_sub_nc_u16 v165, v165, v184
	v_lshrrev_b32_e32 v184, 16, v182
	v_sub_nc_u16 v182, v182, v144
	v_lshrrev_b32_e32 v144, 16, v144
	v_lshlrev_b16 v159, 8, v159
	v_lshlrev_b16 v173, 8, v173
	v_or_b32_sdwa v156, v160, v156 dst_sel:WORD_1 dst_unused:UNUSED_PAD src0_sel:BYTE_0 src1_sel:DWORD
	v_lshlrev_b16 v160, 8, v175
	v_sub_nc_u16 v144, v184, v144
	v_and_b32_e32 v184, 0x3030303, v166
	v_bfe_u32 v166, v166, 24, 2
	v_or_b32_sdwa v157, v161, v157 dst_sel:WORD_1 dst_unused:UNUSED_PAD src0_sel:BYTE_0 src1_sel:DWORD
	v_lshlrev_b16 v161, 8, v177
	v_or_b32_sdwa v158, v162, v158 dst_sel:WORD_1 dst_unused:UNUSED_PAD src0_sel:BYTE_0 src1_sel:DWORD
	v_lshrrev_b16 v185, 8, v184
	v_lshlrev_b16 v162, 8, v179
	v_or_b32_sdwa v159, v163, v159 dst_sel:WORD_1 dst_unused:UNUSED_PAD src0_sel:BYTE_0 src1_sel:DWORD
	v_lshlrev_b16 v163, 8, v181
	v_lshlrev_b16 v164, 8, v164
	v_sub_nc_u16 v185, v185, v186
	v_lshrrev_b32_e32 v186, 24, v143
	v_or_b32_sdwa v172, v172, v173 dst_sel:DWORD dst_unused:UNUSED_PAD src0_sel:BYTE_0 src1_sel:DWORD
	v_or_b32_sdwa v160, v174, v160 dst_sel:DWORD dst_unused:UNUSED_PAD src0_sel:BYTE_0 src1_sel:DWORD
	;; [unrolled: 1-line block ×4, first 2 shown]
	v_sub_nc_u16 v166, v166, v186
	v_lshrrev_b32_e32 v186, 16, v184
	v_sub_nc_u16 v184, v184, v143
	v_lshrrev_b32_e32 v143, 16, v143
	v_or_b32_sdwa v163, v180, v163 dst_sel:DWORD dst_unused:UNUSED_PAD src0_sel:BYTE_0 src1_sel:DWORD
	v_or_b32_sdwa v145, v145, v164 dst_sel:WORD_1 dst_unused:UNUSED_PAD src0_sel:BYTE_0 src1_sel:DWORD
	v_lshlrev_b16 v164, 8, v183
	v_lshlrev_b16 v165, 8, v165
	v_sub_nc_u16 v143, v186, v143
	v_and_b32_e32 v186, 0x3030303, v167
	v_bfe_u32 v167, v167, 24, 2
	v_or_b32_sdwa v145, v163, v145 dst_sel:DWORD dst_unused:UNUSED_PAD src0_sel:WORD_0 src1_sel:DWORD
	v_or_b32_sdwa v164, v182, v164 dst_sel:DWORD dst_unused:UNUSED_PAD src0_sel:BYTE_0 src1_sel:DWORD
	v_or_b32_sdwa v144, v144, v165 dst_sel:WORD_1 dst_unused:UNUSED_PAD src0_sel:BYTE_0 src1_sel:DWORD
	v_lshrrev_b16 v187, 8, v186
	v_ashrrev_i32_e32 v10, s19, v10
	v_ashrrev_i32_e32 v11, s19, v11
	v_lshlrev_b16 v165, 8, v185
	v_or_b32_sdwa v144, v164, v144 dst_sel:DWORD dst_unused:UNUSED_PAD src0_sel:WORD_0 src1_sel:DWORD
	v_sub_nc_u16 v187, v187, v188
	v_lshrrev_b32_e32 v188, 24, v142
	v_mov_b32_e32 v164, 0
	v_lshlrev_b32_e32 v10, 2, v10
	v_lshlrev_b32_e32 v11, 2, v11
	v_lshlrev_b16 v166, 8, v166
	v_sub_nc_u16 v167, v167, v188
	v_lshrrev_b32_e32 v188, 16, v186
	v_sub_nc_u16 v186, v186, v142
	v_lshrrev_b32_e32 v142, 16, v142
	v_and_b32_e32 v10, 0x4040404, v10
	v_lshlrev_b16 v167, 8, v167
	v_and_b32_e32 v11, 0x4040404, v11
	v_or_b32_sdwa v165, v184, v165 dst_sel:DWORD dst_unused:UNUSED_PAD src0_sel:BYTE_0 src1_sel:DWORD
	v_sub_nc_u16 v142, v188, v142
	v_and_b32_e32 v188, 0x3030303, v168
	v_bfe_u32 v168, v168, 24, 2
	v_or_b32_sdwa v143, v143, v166 dst_sel:WORD_1 dst_unused:UNUSED_PAD src0_sel:BYTE_0 src1_sel:DWORD
	v_ashrrev_i32_e32 v12, s19, v12
	v_or_b32_sdwa v142, v142, v167 dst_sel:WORD_1 dst_unused:UNUSED_PAD src0_sel:BYTE_0 src1_sel:DWORD
	v_lshrrev_b16 v189, 8, v188
	s_and_b32 s24, s1, -16
	v_or_b32_sdwa v143, v165, v143 dst_sel:DWORD dst_unused:UNUSED_PAD src0_sel:WORD_0 src1_sel:DWORD
	v_lshlrev_b32_e32 v12, 2, v12
	s_add_i32 s21, s21, s24
	v_sub_nc_u16 v189, v189, v190
	v_lshrrev_b32_e32 v190, 24, v141
	v_lshlrev_b16 v166, 8, v187
	v_and_b32_e32 v12, 0x4040404, v12
	v_ashrrev_i32_e32 v13, s19, v13
	v_lshlrev_b16 v167, 8, v189
	v_sub_nc_u16 v168, v168, v190
	v_lshrrev_b32_e32 v190, 16, v188
	v_sub_nc_u16 v188, v188, v141
	v_lshrrev_b32_e32 v141, 16, v141
	v_or_b32_sdwa v166, v186, v166 dst_sel:DWORD dst_unused:UNUSED_PAD src0_sel:BYTE_0 src1_sel:DWORD
	v_lshlrev_b16 v168, 8, v168
	v_lshrrev_b16 v165, 8, v12
	v_or_b32_sdwa v167, v188, v167 dst_sel:DWORD dst_unused:UNUSED_PAD src0_sel:BYTE_0 src1_sel:DWORD
	v_sub_nc_u16 v141, v190, v141
	v_and_b32_e32 v190, 0x3030303, v169
	v_bfe_u32 v169, v169, 24, 2
	v_or_b32_sdwa v142, v166, v142 dst_sel:DWORD dst_unused:UNUSED_PAD src0_sel:WORD_0 src1_sel:DWORD
	v_lshlrev_b32_e32 v13, 2, v13
	v_or_b32_sdwa v141, v141, v168 dst_sel:WORD_1 dst_unused:UNUSED_PAD src0_sel:BYTE_0 src1_sel:DWORD
	v_lshrrev_b16 v191, 8, v190
	v_ashrrev_i32_e32 v14, s19, v14
	v_ashrrev_i32_e32 v15, s19, v15
	v_and_b32_e32 v13, 0x4040404, v13
	v_ashrrev_i32_e32 v16, s19, v16
	v_sub_nc_u16 v191, v191, v192
	v_lshrrev_b32_e32 v192, 24, v140
	v_lshlrev_b32_e32 v14, 2, v14
	v_lshlrev_b32_e32 v15, 2, v15
	v_ashrrev_i32_e32 v150, s22, v150
	v_lshlrev_b16 v168, 8, v191
	v_sub_nc_u16 v169, v169, v192
	v_lshrrev_b32_e32 v192, 16, v190
	v_sub_nc_u16 v190, v190, v140
	v_lshrrev_b32_e32 v140, 16, v140
	v_and_b32_e32 v14, 0x4040404, v14
	v_lshlrev_b16 v169, 8, v169
	v_and_b32_e32 v15, 0x4040404, v15
	v_or_b32_sdwa v168, v190, v168 dst_sel:DWORD dst_unused:UNUSED_PAD src0_sel:BYTE_0 src1_sel:DWORD
	v_sub_nc_u16 v140, v192, v140
	v_and_b32_e32 v192, 0x3030303, v148
	v_bfe_u32 v148, v148, 24, 2
	v_lshlrev_b32_e32 v16, 2, v16
	v_ashrrev_i32_e32 v17, s19, v17
	v_or_b32_sdwa v140, v140, v169 dst_sel:WORD_1 dst_unused:UNUSED_PAD src0_sel:BYTE_0 src1_sel:DWORD
	v_lshrrev_b16 v193, 8, v192
	v_ashrrev_i32_e32 v151, s22, v151
	v_and_b32_e32 v16, 0x4040404, v16
	v_lshlrev_b32_e32 v17, 2, v17
	v_ashrrev_i32_e32 v18, s19, v18
	v_sub_nc_u16 v193, v193, v194
	v_lshrrev_b32_e32 v194, 24, v139
	v_lshrrev_b16 v173, 8, v16
	v_and_b32_e32 v17, 0x4040404, v17
	v_lshlrev_b32_e32 v18, 2, v18
	v_lshlrev_b16 v169, 8, v193
	v_sub_nc_u16 v148, v148, v194
	v_lshrrev_b32_e32 v194, 16, v192
	v_sub_nc_u16 v192, v192, v139
	v_lshrrev_b32_e32 v139, 16, v139
	v_lshrrev_b16 v175, 8, v17
	v_lshlrev_b16 v148, 8, v148
	v_and_b32_e32 v18, 0x4040404, v18
	v_or_b32_sdwa v169, v192, v169 dst_sel:DWORD dst_unused:UNUSED_PAD src0_sel:BYTE_0 src1_sel:DWORD
	v_sub_nc_u16 v139, v194, v139
	v_and_b32_e32 v194, 0x3030303, v149
	v_bfe_u32 v149, v149, 24, 2
	v_lshrrev_b16 v177, 8, v18
	v_ashrrev_i32_e32 v19, s19, v19
	v_or_b32_sdwa v139, v139, v148 dst_sel:WORD_1 dst_unused:UNUSED_PAD src0_sel:BYTE_0 src1_sel:DWORD
	v_lshrrev_b16 v195, 8, v194
	v_ashrrev_i32_e32 v8, s19, v8
	v_ashrrev_i32_e32 v9, s19, v9
	v_lshlrev_b32_e32 v19, 2, v19
	v_ashrrev_i32_e32 v152, s22, v152
	v_sub_nc_u16 v195, v195, v196
	v_lshrrev_b32_e32 v196, 24, v138
	v_lshlrev_b32_e32 v8, 2, v8
	v_and_b32_e32 v19, 0x4040404, v19
	v_lshlrev_b32_e32 v9, 2, v9
	v_lshlrev_b16 v148, 8, v195
	v_sub_nc_u16 v149, v149, v196
	v_lshrrev_b32_e32 v196, 16, v194
	v_sub_nc_u16 v194, v194, v138
	v_lshrrev_b32_e32 v138, 16, v138
	v_lshrrev_b16 v179, 8, v19
	v_lshlrev_b16 v149, 8, v149
	v_and_b32_e32 v8, 0x4040404, v8
	v_or_b32_sdwa v148, v194, v148 dst_sel:DWORD dst_unused:UNUSED_PAD src0_sel:BYTE_0 src1_sel:DWORD
	v_sub_nc_u16 v138, v196, v138
	v_and_b32_e32 v196, 0x3030303, v170
	v_bfe_u32 v170, v170, 24, 2
	v_lshrrev_b16 v181, 8, v8
	v_and_b32_e32 v9, 0x4040404, v9
	v_or_b32_sdwa v138, v138, v149 dst_sel:WORD_1 dst_unused:UNUSED_PAD src0_sel:BYTE_0 src1_sel:DWORD
	v_lshrrev_b16 v197, 8, v196
	v_ashrrev_i32_e32 v153, s22, v153
	v_ashrrev_i32_e32 v20, s19, v20
	v_lshrrev_b16 v183, 8, v9
	v_or_b32_sdwa v148, v148, v138 dst_sel:DWORD dst_unused:UNUSED_PAD src0_sel:WORD_0 src1_sel:DWORD
	v_sub_nc_u16 v197, v197, v198
	v_lshrrev_b32_e32 v198, 24, v137
	v_lshlrev_b32_e32 v20, 2, v20
	v_ashrrev_i32_e32 v21, s19, v21
	s_add_i32 s1, s1, 2
	v_lshlrev_b16 v149, 8, v197
	v_sub_nc_u16 v170, v170, v198
	v_lshrrev_b32_e32 v198, 16, v196
	v_sub_nc_u16 v196, v196, v137
	v_lshrrev_b32_e32 v137, 16, v137
	v_and_b32_e32 v20, 0x4040404, v20
	v_lshlrev_b16 v170, 8, v170
	v_lshlrev_b32_e32 v21, 2, v21
	v_or_b32_sdwa v149, v196, v149 dst_sel:DWORD dst_unused:UNUSED_PAD src0_sel:BYTE_0 src1_sel:DWORD
	v_sub_nc_u16 v137, v198, v137
	v_and_b32_e32 v198, 0x3030303, v171
	v_bfe_u32 v171, v171, 24, 2
	v_lshrrev_b16 v189, 8, v20
	v_and_b32_e32 v21, 0x4040404, v21
	v_or_b32_sdwa v137, v137, v170 dst_sel:WORD_1 dst_unused:UNUSED_PAD src0_sel:BYTE_0 src1_sel:DWORD
	v_lshrrev_b16 v199, 8, v198
	v_lshrrev_b16 v191, 8, v21
	v_or_b32_sdwa v149, v149, v137 dst_sel:DWORD dst_unused:UNUSED_PAD src0_sel:WORD_0 src1_sel:DWORD
	v_sub_nc_u16 v199, v199, v200
	v_lshrrev_b32_e32 v200, 24, v135
	v_lshlrev_b16 v170, 8, v199
	v_sub_nc_u16 v171, v171, v200
	v_lshrrev_b32_e32 v200, 16, v198
	v_sub_nc_u16 v198, v198, v135
	v_lshrrev_b32_e32 v135, 16, v135
	v_lshlrev_b16 v171, 8, v171
	v_or_b32_sdwa v170, v198, v170 dst_sel:DWORD dst_unused:UNUSED_PAD src0_sel:BYTE_0 src1_sel:DWORD
	v_sub_nc_u16 v135, v200, v135
	v_and_b32_e32 v200, 0x3030303, v146
	v_bfe_u32 v146, v146, 24, 2
	v_or_b32_sdwa v135, v135, v171 dst_sel:WORD_1 dst_unused:UNUSED_PAD src0_sel:BYTE_0 src1_sel:DWORD
	v_lshrrev_b16 v201, 8, v200
	v_sub_nc_u16 v201, v201, v202
	v_lshrrev_b32_e32 v202, 24, v136
	v_lshlrev_b16 v171, 8, v201
	v_sub_nc_u16 v146, v146, v202
	v_lshrrev_b32_e32 v202, 16, v200
	v_sub_nc_u16 v200, v200, v136
	v_lshrrev_b32_e32 v136, 16, v136
	v_lshlrev_b16 v146, 8, v146
	v_or_b32_sdwa v171, v200, v171 dst_sel:DWORD dst_unused:UNUSED_PAD src0_sel:BYTE_0 src1_sel:DWORD
	v_sub_nc_u16 v136, v202, v136
	v_and_b32_e32 v202, 0x3030303, v147
	v_bfe_u32 v147, v147, 24, 2
	v_or_b32_sdwa v136, v136, v146 dst_sel:WORD_1 dst_unused:UNUSED_PAD src0_sel:BYTE_0 src1_sel:DWORD
	v_lshrrev_b16 v203, 8, v202
	v_or_b32_sdwa v163, v171, v136 dst_sel:DWORD dst_unused:UNUSED_PAD src0_sel:WORD_0 src1_sel:DWORD
	v_sub_nc_u16 v203, v203, v204
	v_lshrrev_b32_e32 v204, 24, v134
	v_lshrrev_b16 v171, 8, v15
	v_lshlrev_b16 v146, 8, v203
	v_sub_nc_u16 v147, v147, v204
	v_lshrrev_b32_e32 v204, 16, v202
	v_sub_nc_u16 v202, v202, v134
	v_lshrrev_b32_e32 v134, 16, v134
	v_lshlrev_b16 v147, 8, v147
	v_or_b32_sdwa v146, v202, v146 dst_sel:DWORD dst_unused:UNUSED_PAD src0_sel:BYTE_0 src1_sel:DWORD
	v_sub_nc_u16 v134, v204, v134
	v_or_b32_sdwa v134, v134, v147 dst_sel:WORD_1 dst_unused:UNUSED_PAD src0_sel:BYTE_0 src1_sel:DWORD
	v_or_b32_sdwa v147, v172, v156 dst_sel:DWORD dst_unused:UNUSED_PAD src0_sel:WORD_0 src1_sel:DWORD
	v_or_b32_sdwa v156, v160, v157 dst_sel:DWORD dst_unused:UNUSED_PAD src0_sel:WORD_0 src1_sel:DWORD
	v_or_b32_sdwa v157, v161, v158 dst_sel:DWORD dst_unused:UNUSED_PAD src0_sel:WORD_0 src1_sel:DWORD
	v_or_b32_sdwa v158, v162, v159 dst_sel:DWORD dst_unused:UNUSED_PAD src0_sel:WORD_0 src1_sel:DWORD
	v_or_b32_sdwa v159, v167, v141 dst_sel:DWORD dst_unused:UNUSED_PAD src0_sel:WORD_0 src1_sel:DWORD
	v_or_b32_sdwa v160, v168, v140 dst_sel:DWORD dst_unused:UNUSED_PAD src0_sel:WORD_0 src1_sel:DWORD
	v_or_b32_sdwa v161, v169, v139 dst_sel:DWORD dst_unused:UNUSED_PAD src0_sel:WORD_0 src1_sel:DWORD
	v_or_b32_sdwa v162, v170, v135 dst_sel:DWORD dst_unused:UNUSED_PAD src0_sel:WORD_0 src1_sel:DWORD
	v_or_b32_sdwa v146, v146, v134 dst_sel:DWORD dst_unused:UNUSED_PAD src0_sel:WORD_0 src1_sel:DWORD
	ds_read_b128 v[134:137], v129
	ds_read_b128 v[138:141], v129 offset:16
	v_lshrrev_b16 v167, 8, v13
	v_lshrrev_b16 v169, 8, v14
	v_add_nc_u32_e32 v129, 32, v129
	s_waitcnt lgkmcnt(1)
	v_dot4c_i32_i8 v164, v147, v134
	v_mov_b32_e32 v147, 0
	v_dot4c_i32_i8 v164, v156, v135
	v_dot4c_i32_i8 v147, v145, v134
	v_mov_b32_e32 v145, 0
	v_dot4c_i32_i8 v164, v157, v136
	v_dot4c_i32_i8 v147, v144, v135
	v_dot4c_i32_i8 v145, v159, v134
	v_mov_b32_e32 v159, 0
	v_dot4c_i32_i8 v164, v158, v137
	v_dot4c_i32_i8 v147, v143, v136
	;; [unrolled: 1-line block ×4, first 2 shown]
	v_ashrrev_i32_e32 v134, s22, v4
	v_lshrrev_b16 v160, 8, v10
	v_add_nc_u32_e32 v4, s21, v93
	v_dot4c_i32_i8 v145, v161, v136
	v_dot4c_i32_i8 v159, v162, v135
	v_and_b32_e32 v157, 0x3030303, v134
	v_bfe_u32 v134, v134, 24, 2
	v_ashrrev_i32_e32 v135, s22, v5
	v_lshrrev_b16 v162, 8, v11
	v_dot4c_i32_i8 v159, v163, v136
	v_lshrrev_b16 v158, 8, v157
	v_ashrrev_i32_e32 v136, s22, v6
	ds_read_u16 v144, v4 offset:26354
	v_add3_u32 v4, s23, v117, v118
	v_dot4c_i32_i8 v159, v146, v137
	v_sub_nc_u16 v158, v158, v160
	v_lshrrev_b32_e32 v160, 24, v10
	v_add_nc_u32_e32 v6, 0x1098, v131
	ds_read_b32 v146, v4
	v_add_nc_u32_e32 v4, 0x1090, v131
	v_dot4c_i32_i8 v147, v142, v137
	v_sub_nc_u16 v134, v134, v160
	v_lshrrev_b32_e32 v160, 16, v157
	v_sub_nc_u16 v157, v157, v10
	v_lshrrev_b32_e32 v10, 16, v10
	v_dot4c_i32_i8 v145, v148, v137
	v_ashrrev_i32_e32 v137, s22, v7
	ds_read2_b32 v[4:5], v4 offset1:1
	ds_read2_b32 v[6:7], v6 offset1:1
	v_ashrrev_i32_e32 v142, s19, v154
	v_sub_nc_u16 v10, v160, v10
	v_and_b32_e32 v160, 0x3030303, v135
	v_bfe_u32 v135, v135, 24, 2
	v_ashrrev_i32_e32 v143, s19, v155
	v_lshlrev_b32_e32 v142, 2, v142
	v_lshlrev_b16 v158, 8, v158
	v_lshrrev_b16 v161, 8, v160
	v_lshlrev_b16 v134, 8, v134
	v_lshlrev_b32_e32 v143, 2, v143
	v_and_b32_e32 v142, 0x4040404, v142
	v_or_b32_sdwa v157, v157, v158 dst_sel:DWORD dst_unused:UNUSED_PAD src0_sel:BYTE_0 src1_sel:DWORD
	v_sub_nc_u16 v161, v161, v162
	v_lshrrev_b32_e32 v162, 24, v11
	v_and_b32_e32 v143, 0x4040404, v143
	v_lshrrev_b16 v185, 8, v142
	v_or_b32_sdwa v10, v10, v134 dst_sel:WORD_1 dst_unused:UNUSED_PAD src0_sel:BYTE_0 src1_sel:DWORD
	v_lshlrev_b16 v134, 8, v161
	v_sub_nc_u16 v135, v135, v162
	v_lshrrev_b32_e32 v162, 16, v160
	v_sub_nc_u16 v160, v160, v11
	v_lshrrev_b32_e32 v11, 16, v11
	s_waitcnt lgkmcnt(1)
	v_ashrrev_i32_e32 v148, s22, v4
	v_ashrrev_i32_e32 v149, s22, v5
	v_add_nc_u32_e32 v5, s21, v91
	s_waitcnt lgkmcnt(0)
	v_ashrrev_i32_e32 v154, s22, v6
	v_sub_nc_u16 v11, v162, v11
	v_and_b32_e32 v162, 0x3030303, v136
	v_bfe_u32 v136, v136, 24, 2
	v_add_nc_u32_e32 v4, 0x3190, v131
	v_add_nc_u32_e32 v6, 0x3198, v131
	ds_read_u16 v131, v5 offset:28402
	v_lshrrev_b16 v163, 8, v162
	v_add3_u32 v5, s23, v126, v127
	v_ashrrev_i32_e32 v155, s22, v7
	ds_read_b32 v156, v5
	ds_read2_b32 v[4:5], v4 offset1:1
	ds_read2_b32 v[6:7], v6 offset1:1
	v_sub_nc_u16 v163, v163, v165
	v_lshrrev_b32_e32 v165, 24, v12
	v_lshrrev_b16 v187, 8, v143
	v_or_b32_sdwa v10, v157, v10 dst_sel:DWORD dst_unused:UNUSED_PAD src0_sel:WORD_0 src1_sel:DWORD
	v_lshlrev_b16 v135, 8, v135
	v_or_b32_sdwa v134, v160, v134 dst_sel:DWORD dst_unused:UNUSED_PAD src0_sel:BYTE_0 src1_sel:DWORD
	v_sub_nc_u16 v136, v136, v165
	v_lshrrev_b32_e32 v165, 16, v162
	v_sub_nc_u16 v162, v162, v12
	v_lshrrev_b32_e32 v12, 16, v12
	v_or_b32_sdwa v11, v11, v135 dst_sel:WORD_1 dst_unused:UNUSED_PAD src0_sel:BYTE_0 src1_sel:DWORD
	v_lshlrev_b16 v135, 8, v163
	v_lshlrev_b16 v136, 8, v136
	s_add_i32 s19, s19, 1
	v_sub_nc_u16 v12, v165, v12
	v_and_b32_e32 v165, 0x3030303, v137
	v_bfe_u32 v137, v137, 24, 2
	v_or_b32_sdwa v11, v134, v11 dst_sel:DWORD dst_unused:UNUSED_PAD src0_sel:WORD_0 src1_sel:DWORD
	s_waitcnt lgkmcnt(1)
	v_ashrrev_i32_e32 v4, s22, v4
	v_ashrrev_i32_e32 v5, s22, v5
	v_lshrrev_b16 v166, 8, v165
	s_waitcnt lgkmcnt(0)
	v_ashrrev_i32_e32 v6, s22, v6
	v_ashrrev_i32_e32 v7, s22, v7
	v_mov_b32_e32 v134, 0
	v_or_b32_sdwa v135, v162, v135 dst_sel:DWORD dst_unused:UNUSED_PAD src0_sel:BYTE_0 src1_sel:DWORD
	v_sub_nc_u16 v166, v166, v167
	v_lshrrev_b32_e32 v167, 24, v13
	v_or_b32_sdwa v12, v12, v136 dst_sel:WORD_1 dst_unused:UNUSED_PAD src0_sel:BYTE_0 src1_sel:DWORD
	s_cmp_lt_u32 s20, 22
	v_lshlrev_b16 v136, 8, v166
	v_sub_nc_u16 v137, v137, v167
	v_lshrrev_b32_e32 v167, 16, v165
	v_sub_nc_u16 v165, v165, v13
	v_lshrrev_b32_e32 v13, 16, v13
	v_or_b32_sdwa v12, v135, v12 dst_sel:DWORD dst_unused:UNUSED_PAD src0_sel:WORD_0 src1_sel:DWORD
	v_lshlrev_b16 v137, 8, v137
	v_or_b32_sdwa v136, v165, v136 dst_sel:DWORD dst_unused:UNUSED_PAD src0_sel:BYTE_0 src1_sel:DWORD
	v_sub_nc_u16 v13, v167, v13
	v_and_b32_e32 v167, 0x3030303, v148
	v_bfe_u32 v148, v148, 24, 2
	v_or_b32_sdwa v13, v13, v137 dst_sel:WORD_1 dst_unused:UNUSED_PAD src0_sel:BYTE_0 src1_sel:DWORD
	v_lshrrev_b16 v168, 8, v167
	v_or_b32_sdwa v13, v136, v13 dst_sel:DWORD dst_unused:UNUSED_PAD src0_sel:WORD_0 src1_sel:DWORD
	v_sub_nc_u16 v168, v168, v169
	v_lshrrev_b32_e32 v169, 24, v14
	v_lshlrev_b16 v137, 8, v168
	v_sub_nc_u16 v148, v148, v169
	v_lshrrev_b32_e32 v169, 16, v167
	v_sub_nc_u16 v167, v167, v14
	v_lshrrev_b32_e32 v14, 16, v14
	v_lshlrev_b16 v148, 8, v148
	v_or_b32_sdwa v137, v167, v137 dst_sel:DWORD dst_unused:UNUSED_PAD src0_sel:BYTE_0 src1_sel:DWORD
	v_sub_nc_u16 v14, v169, v14
	v_and_b32_e32 v169, 0x3030303, v149
	v_bfe_u32 v149, v149, 24, 2
	v_or_b32_sdwa v14, v14, v148 dst_sel:WORD_1 dst_unused:UNUSED_PAD src0_sel:BYTE_0 src1_sel:DWORD
	v_lshrrev_b16 v170, 8, v169
	v_or_b32_sdwa v14, v137, v14 dst_sel:DWORD dst_unused:UNUSED_PAD src0_sel:WORD_0 src1_sel:DWORD
	v_sub_nc_u16 v170, v170, v171
	v_lshrrev_b32_e32 v171, 24, v15
	v_lshlrev_b16 v148, 8, v170
	v_sub_nc_u16 v149, v149, v171
	v_lshrrev_b32_e32 v171, 16, v169
	v_sub_nc_u16 v169, v169, v15
	v_lshrrev_b32_e32 v15, 16, v15
	;; [unrolled: 15-line block ×3, first 2 shown]
	v_lshlrev_b16 v150, 8, v150
	v_or_b32_sdwa v149, v171, v149 dst_sel:DWORD dst_unused:UNUSED_PAD src0_sel:BYTE_0 src1_sel:DWORD
	v_sub_nc_u16 v16, v173, v16
	v_and_b32_e32 v173, 0x3030303, v151
	v_bfe_u32 v151, v151, 24, 2
	v_or_b32_sdwa v16, v16, v150 dst_sel:WORD_1 dst_unused:UNUSED_PAD src0_sel:BYTE_0 src1_sel:DWORD
	v_lshrrev_b16 v174, 8, v173
	v_or_b32_sdwa v16, v149, v16 dst_sel:DWORD dst_unused:UNUSED_PAD src0_sel:WORD_0 src1_sel:DWORD
	v_sub_nc_u16 v174, v174, v175
	v_lshrrev_b32_e32 v175, 24, v17
	v_dot4c_i32_i8 v134, v16, v138
	v_lshlrev_b16 v150, 8, v174
	v_sub_nc_u16 v151, v151, v175
	v_lshrrev_b32_e32 v175, 16, v173
	v_sub_nc_u16 v173, v173, v17
	v_lshrrev_b32_e32 v17, 16, v17
	v_lshlrev_b16 v151, 8, v151
	v_or_b32_sdwa v150, v173, v150 dst_sel:DWORD dst_unused:UNUSED_PAD src0_sel:BYTE_0 src1_sel:DWORD
	v_sub_nc_u16 v17, v175, v17
	v_and_b32_e32 v175, 0x3030303, v4
	v_bfe_u32 v4, v4, 24, 2
	v_or_b32_sdwa v17, v17, v151 dst_sel:WORD_1 dst_unused:UNUSED_PAD src0_sel:BYTE_0 src1_sel:DWORD
	v_lshrrev_b16 v176, 8, v175
	v_or_b32_sdwa v17, v150, v17 dst_sel:DWORD dst_unused:UNUSED_PAD src0_sel:WORD_0 src1_sel:DWORD
	v_sub_nc_u16 v176, v176, v177
	v_lshrrev_b32_e32 v177, 24, v18
	v_dot4c_i32_i8 v134, v17, v139
	v_lshlrev_b16 v151, 8, v176
	v_sub_nc_u16 v4, v4, v177
	v_lshrrev_b32_e32 v177, 16, v175
	v_sub_nc_u16 v175, v175, v18
	v_lshrrev_b32_e32 v18, 16, v18
	v_lshlrev_b16 v4, 8, v4
	v_or_b32_sdwa v151, v175, v151 dst_sel:DWORD dst_unused:UNUSED_PAD src0_sel:BYTE_0 src1_sel:DWORD
	v_sub_nc_u16 v18, v177, v18
	v_and_b32_e32 v177, 0x3030303, v5
	v_bfe_u32 v5, v5, 24, 2
	v_or_b32_sdwa v4, v18, v4 dst_sel:WORD_1 dst_unused:UNUSED_PAD src0_sel:BYTE_0 src1_sel:DWORD
	v_lshrrev_b16 v178, 8, v177
	v_or_b32_sdwa v4, v151, v4 dst_sel:DWORD dst_unused:UNUSED_PAD src0_sel:WORD_0 src1_sel:DWORD
	v_sub_nc_u16 v178, v178, v179
	v_lshrrev_b32_e32 v179, 24, v19
	v_lshlrev_b16 v18, 8, v178
	v_sub_nc_u16 v5, v5, v179
	v_lshrrev_b32_e32 v179, 16, v177
	v_sub_nc_u16 v177, v177, v19
	v_lshrrev_b32_e32 v19, 16, v19
	v_lshlrev_b16 v5, 8, v5
	v_or_b32_sdwa v18, v177, v18 dst_sel:DWORD dst_unused:UNUSED_PAD src0_sel:BYTE_0 src1_sel:DWORD
	v_sub_nc_u16 v19, v179, v19
	v_and_b32_e32 v179, 0x3030303, v154
	v_bfe_u32 v154, v154, 24, 2
	v_or_b32_sdwa v5, v19, v5 dst_sel:WORD_1 dst_unused:UNUSED_PAD src0_sel:BYTE_0 src1_sel:DWORD
	v_lshrrev_b16 v180, 8, v179
	v_or_b32_sdwa v5, v18, v5 dst_sel:DWORD dst_unused:UNUSED_PAD src0_sel:WORD_0 src1_sel:DWORD
	v_sub_nc_u16 v180, v180, v181
	v_lshrrev_b32_e32 v181, 24, v8
	;; [unrolled: 15-line block ×5, first 2 shown]
	v_dot4c_i32_i8 v134, v18, v140
	v_lshlrev_b16 v152, 8, v186
	v_sub_nc_u16 v153, v153, v187
	v_lshrrev_b32_e32 v187, 16, v185
	v_sub_nc_u16 v185, v185, v143
	v_lshrrev_b32_e32 v143, 16, v143
	v_lshlrev_b16 v153, 8, v153
	v_or_b32_sdwa v152, v185, v152 dst_sel:DWORD dst_unused:UNUSED_PAD src0_sel:BYTE_0 src1_sel:DWORD
	v_sub_nc_u16 v143, v187, v143
	v_and_b32_e32 v187, 0x3030303, v6
	v_bfe_u32 v6, v6, 24, 2
	v_or_b32_sdwa v143, v143, v153 dst_sel:WORD_1 dst_unused:UNUSED_PAD src0_sel:BYTE_0 src1_sel:DWORD
	v_lshrrev_b16 v188, 8, v187
	v_or_b32_sdwa v19, v152, v143 dst_sel:DWORD dst_unused:UNUSED_PAD src0_sel:WORD_0 src1_sel:DWORD
	v_sub_nc_u16 v188, v188, v189
	v_lshrrev_b32_e32 v189, 24, v20
	v_dot4c_i32_i8 v134, v19, v141
	v_lshlrev_b16 v153, 8, v188
	v_sub_nc_u16 v6, v6, v189
	v_lshrrev_b32_e32 v189, 16, v187
	v_sub_nc_u16 v187, v187, v20
	v_lshrrev_b32_e32 v20, 16, v20
	v_lshlrev_b16 v6, 8, v6
	v_or_b32_sdwa v153, v187, v153 dst_sel:DWORD dst_unused:UNUSED_PAD src0_sel:BYTE_0 src1_sel:DWORD
	v_sub_nc_u16 v20, v189, v20
	v_and_b32_e32 v189, 0x3030303, v7
	v_bfe_u32 v7, v7, 24, 2
	v_or_b32_sdwa v6, v20, v6 dst_sel:WORD_1 dst_unused:UNUSED_PAD src0_sel:BYTE_0 src1_sel:DWORD
	v_lshrrev_b16 v190, 8, v189
	v_or_b32_sdwa v6, v153, v6 dst_sel:DWORD dst_unused:UNUSED_PAD src0_sel:WORD_0 src1_sel:DWORD
	v_sub_nc_u16 v190, v190, v191
	v_lshrrev_b32_e32 v191, 24, v21
	v_lshlrev_b16 v20, 8, v190
	v_sub_nc_u16 v7, v7, v191
	v_lshrrev_b32_e32 v191, 16, v189
	v_sub_nc_u16 v189, v189, v21
	v_lshrrev_b32_e32 v21, 16, v21
	v_lshlrev_b16 v7, 8, v7
	v_or_b32_sdwa v20, v189, v20 dst_sel:DWORD dst_unused:UNUSED_PAD src0_sel:BYTE_0 src1_sel:DWORD
	v_sub_nc_u16 v21, v191, v21
	v_or_b32_sdwa v7, v21, v7 dst_sel:WORD_1 dst_unused:UNUSED_PAD src0_sel:BYTE_0 src1_sel:DWORD
	v_mov_b32_e32 v21, 0
	v_or_b32_sdwa v7, v20, v7 dst_sel:DWORD dst_unused:UNUSED_PAD src0_sel:WORD_0 src1_sel:DWORD
	v_mov_b32_e32 v20, 0
	v_dot4c_i32_i8 v21, v10, v138
	v_add_nc_u32_e32 v10, s21, v94
	v_dot4c_i32_i8 v20, v14, v138
	v_mov_b32_e32 v14, 0
	v_dot4c_i32_i8 v21, v11, v139
	v_dot4c_i32_i8 v20, v15, v139
	;; [unrolled: 1-line block ×3, first 2 shown]
	v_add_nc_u32_e32 v4, s21, v92
	ds_read_u16 v10, v10 offset:25330
	ds_read_u16 v4, v4 offset:27378
	v_dot4c_i32_i8 v14, v5, v139
	v_bfe_i32 v5, v144, 0, 8
	v_dot4c_i32_i8 v21, v12, v140
	v_lshrrev_b16 v12, 8, v131
	v_bfe_i32 v131, v131, 0, 8
	v_dot4c_i32_i8 v14, v6, v140
	v_mul_lo_u32 v5, v147, v5
	v_dot4c_i32_i8 v20, v8, v140
	v_dot4c_i32_i8 v21, v13, v141
	ds_read_b32 v16, v130
	v_dot4c_i32_i8 v14, v7, v141
	v_mul_lo_u32 v7, v159, v131
	v_dot4c_i32_i8 v20, v9, v141
	v_bfe_i32 v12, v12, 0, 8
	v_add_nc_u32_e32 v130, 4, v130
	s_mov_b32 s21, s20
	s_waitcnt lgkmcnt(2)
	v_lshrrev_b16 v11, 8, v10
	v_bfe_i32 v10, v10, 0, 8
	s_waitcnt lgkmcnt(1)
	v_lshrrev_b16 v15, 8, v4
	v_bfe_i32 v17, v4, 0, 8
	v_lshrrev_b16 v4, 8, v144
	v_bfe_i32 v11, v11, 0, 8
	v_bfe_i32 v15, v15, 0, 8
	v_mul_lo_u32 v6, v145, v17
	v_bfe_i32 v135, v4, 0, 8
	v_mul_lo_u32 v4, v164, v10
	v_mad_u64_u32 v[8:9], null, v21, v11, v[4:5]
	v_mad_u64_u32 v[9:10], null, v20, v135, v[5:6]
	;; [unrolled: 1-line block ×3, first 2 shown]
	s_waitcnt lgkmcnt(0)
	v_mul_f32_e32 v4, v16, v133
	v_mul_f32_e32 v5, v16, v146
	v_mad_u64_u32 v[11:12], null, v14, v12, v[7:8]
	v_mul_f32_e32 v6, v16, v132
	v_mul_f32_e32 v7, v16, v156
	v_cvt_f32_i32_e32 v8, v8
	v_cvt_f32_i32_e32 v9, v9
	;; [unrolled: 1-line block ×4, first 2 shown]
	v_fmac_f32_e32 v23, v4, v8
	v_fmac_f32_e32 v87, v5, v9
	;; [unrolled: 1-line block ×4, first 2 shown]
	s_cbranch_scc1 .LBB209_27
; %bb.28:                               ;   in Loop: Header=BB209_5 Depth=1
	s_or_b32 s1, s4, 0x180
	s_cmp_ge_i32 s1, s15
	s_barrier
	buffer_gl0_inv
	s_cbranch_scc1 .LBB209_4
; %bb.29:                               ;   in Loop: Header=BB209_5 Depth=1
	v_add_nc_u32_e32 v4, s5, v88
	v_cmp_gt_i32_e64 s1, s9, v4
	s_and_b32 s4, s0, s1
	s_and_saveexec_b32 s1, s4
	s_cbranch_execz .LBB209_31
; %bb.30:                               ;   in Loop: Header=BB209_5 Depth=1
	v_add_nc_u32_e32 v4, v89, v4
	v_mad_i64_i32 v[4:5], null, v4, 36, v[1:2]
	global_load_dword v4, v[4:5], off offset:4
	s_waitcnt vmcnt(0)
	ds_write_b32 v82, v4
.LBB209_31:                             ;   in Loop: Header=BB209_5 Depth=1
	s_or_b32 exec_lo, exec_lo, s1
	s_and_saveexec_b32 s4, vcc_lo
	s_cbranch_execz .LBB209_34
; %bb.32:                               ;   in Loop: Header=BB209_5 Depth=1
	v_or_b32_e32 v4, 12, v128
	v_cmp_gt_i32_e64 s1, s9, v4
	s_and_b32 s1, s0, s1
	s_and_b32 exec_lo, exec_lo, s1
	s_cbranch_execz .LBB209_34
; %bb.33:                               ;   in Loop: Header=BB209_5 Depth=1
	v_ashrrev_i32_e32 v4, 31, v128
	v_add_co_u32 v5, s1, v89, v128
	v_add_co_ci_u32_e64 v6, null, v95, v4, s1
	v_mad_u64_u32 v[4:5], null, v5, 36, s[2:3]
	v_mad_i32_i24 v5, v6, 36, v5
	global_load_dword v4, v[4:5], off offset:432
	s_waitcnt vmcnt(0)
	v_cvt_f32_f16_e32 v4, v4
	ds_write_b32 v83, v4
.LBB209_34:                             ;   in Loop: Header=BB209_5 Depth=1
	s_or_b32 exec_lo, exec_lo, s4
	v_mov_b32_e32 v128, v80
	v_mov_b32_e32 v129, v81
	s_mov_b32 s1, 24
	s_mov_b32 s19, 22
	;; [unrolled: 1-line block ×3, first 2 shown]
	s_waitcnt lgkmcnt(0)
	s_barrier
	buffer_gl0_inv
.LBB209_35:                             ;   Parent Loop BB209_5 Depth=1
                                        ; =>  This Inner Loop Header: Depth=2
	s_add_i32 s5, s19, 2
	s_sub_i32 s20, s19, 22
	s_lshr_b32 s21, s5, 4
	s_and_b32 s22, s5, 0x3ffffff8
	s_lshl_b32 s23, s21, 5
	v_lshl_add_u32 v130, s22, 2, v90
	s_add_i32 s22, s23, 0x4200
	s_lshl_b32 s21, s21, 2
	v_add3_u32 v8, s22, v112, v113
	v_add3_u32 v9, s22, v115, v116
	v_add3_u32 v131, s22, v119, v120
	v_add_nc_u32_e32 v21, 0x1080, v130
	ds_read2_b32 v[18:19], v130 offset1:1
	ds_read2_b32 v[16:17], v130 offset0:2 offset1:3
	ds_read2_b32 v[4:5], v130 offset0:4 offset1:5
	;; [unrolled: 1-line block ×3, first 2 shown]
	ds_read2_b32 v[132:133], v8 offset1:1
	ds_read2_b32 v[134:135], v8 offset0:2 offset1:3
	ds_read2_b32 v[136:137], v9 offset1:1
	ds_read2_b32 v[138:139], v9 offset0:2 offset1:3
	ds_read2_b32 v[145:146], v131 offset0:2 offset1:3
	;; [unrolled: 1-line block ×5, first 2 shown]
	ds_read2_b32 v[147:148], v21 offset1:1
	ds_read2_b32 v[8:9], v9 offset0:6 offset1:7
	v_add_nc_u32_e32 v20, 0x2100, v130
	s_addk_i32 s21, 0x7380
	v_add_nc_u32_e32 v151, 0x2118, v130
	s_waitcnt lgkmcnt(13)
	v_ashrrev_i32_e32 v155, s20, v18
	v_ashrrev_i32_e32 v156, s20, v19
	s_waitcnt lgkmcnt(12)
	v_ashrrev_i32_e32 v157, s20, v16
	v_ashrrev_i32_e32 v158, s20, v17
	s_waitcnt lgkmcnt(9)
	v_ashrrev_i32_e32 v159, s4, v132
	v_and_b32_e32 v171, 0x3030303, v155
	v_ashrrev_i32_e32 v160, s4, v133
	v_bfe_u32 v155, v155, 24, 2
	ds_read2_b32 v[16:17], v131 offset0:4 offset1:5
	ds_read2_b32 v[149:150], v20 offset1:1
	ds_read2_b32 v[18:19], v131 offset1:1
	v_lshlrev_b32_e32 v159, 2, v159
	v_lshrrev_b16 v172, 8, v171
	v_lshlrev_b32_e32 v160, 2, v160
	s_waitcnt lgkmcnt(11)
	v_ashrrev_i32_e32 v161, s4, v134
	v_add3_u32 v20, s22, v123, v124
	v_and_b32_e32 v159, 0x4040404, v159
	v_ashrrev_i32_e32 v162, s4, v135
	v_and_b32_e32 v160, 0x4040404, v160
	v_lshlrev_b32_e32 v161, 2, v161
	s_waitcnt lgkmcnt(10)
	v_ashrrev_i32_e32 v143, s4, v137
	v_lshrrev_b16 v173, 8, v159
	s_waitcnt lgkmcnt(9)
	v_ashrrev_i32_e32 v142, s4, v138
	v_lshrrev_b16 v175, 8, v160
	v_and_b32_e32 v161, 0x4040404, v161
	v_ashrrev_i32_e32 v141, s4, v139
	v_sub_nc_u16 v172, v172, v173
	v_lshrrev_b32_e32 v173, 24, v159
	s_waitcnt lgkmcnt(8)
	v_ashrrev_i32_e32 v138, s4, v145
	v_lshrrev_b16 v177, 8, v161
	s_waitcnt lgkmcnt(0)
	v_ashrrev_i32_e32 v140, s4, v18
	v_add_nc_u32_e32 v18, 0x3180, v130
	v_sub_nc_u16 v155, v155, v173
	v_lshrrev_b32_e32 v173, 16, v171
	v_sub_nc_u16 v171, v171, v159
	v_lshrrev_b32_e32 v159, 16, v159
	v_ashrrev_i32_e32 v139, s4, v19
	v_ashrrev_i32_e32 v137, s4, v146
	ds_read2_b32 v[145:146], v18 offset1:1
	ds_read2_b32 v[18:19], v20 offset1:1
	v_lshlrev_b32_e32 v162, 2, v162
	v_sub_nc_u16 v159, v173, v159
	v_and_b32_e32 v173, 0x3030303, v156
	v_bfe_u32 v156, v156, 24, 2
	v_ashrrev_i32_e32 v144, s4, v136
	v_and_b32_e32 v162, 0x4040404, v162
	v_ashrrev_i32_e32 v163, s20, v147
	v_lshrrev_b16 v174, 8, v173
	v_add_nc_u32_e32 v147, 0x1088, v130
	v_lshlrev_b32_e32 v144, 2, v144
	v_lshrrev_b16 v179, 8, v162
	v_ashrrev_i32_e32 v164, s20, v148
	v_sub_nc_u16 v174, v174, v175
	v_lshrrev_b32_e32 v175, 24, v160
	v_and_b32_e32 v144, 0x4040404, v144
	v_lshlrev_b32_e32 v143, 2, v143
	v_lshlrev_b32_e32 v142, 2, v142
	v_lshlrev_b32_e32 v141, 2, v141
	v_sub_nc_u16 v156, v156, v175
	v_lshrrev_b32_e32 v175, 16, v173
	v_sub_nc_u16 v173, v173, v160
	v_lshrrev_b32_e32 v160, 16, v160
	s_waitcnt lgkmcnt(0)
	v_ashrrev_i32_e32 v136, s4, v18
	v_ashrrev_i32_e32 v134, s4, v19
	ds_read2_b32 v[132:133], v20 offset0:2 offset1:3
	ds_read2_b32 v[18:19], v20 offset0:4 offset1:5
	;; [unrolled: 1-line block ×3, first 2 shown]
	v_lshrrev_b16 v181, 8, v144
	v_sub_nc_u16 v160, v175, v160
	v_and_b32_e32 v175, 0x3030303, v157
	v_bfe_u32 v157, v157, 24, 2
	ds_read2_b32 v[147:148], v147 offset1:1
	v_and_b32_e32 v143, 0x4040404, v143
	v_and_b32_e32 v142, 0x4040404, v142
	v_lshrrev_b16 v176, 8, v175
	v_and_b32_e32 v141, 0x4040404, v141
	v_ashrrev_i32_e32 v167, s20, v149
	v_lshrrev_b16 v183, 8, v143
	v_lshrrev_b16 v185, 8, v142
	v_sub_nc_u16 v176, v176, v177
	v_lshrrev_b32_e32 v177, 24, v161
	v_lshrrev_b16 v187, 8, v141
	v_lshlrev_b32_e32 v140, 2, v140
	v_add_nc_u32_e32 v149, 0x2110, v130
	s_waitcnt lgkmcnt(3)
	v_ashrrev_i32_e32 v135, s4, v132
	v_sub_nc_u16 v157, v157, v177
	v_lshrrev_b32_e32 v177, 16, v175
	v_sub_nc_u16 v175, v175, v161
	v_lshrrev_b32_e32 v161, 16, v161
	v_add3_u32 v132, s21, v125, v114
	v_and_b32_e32 v140, 0x4040404, v140
	s_waitcnt lgkmcnt(0)
	v_ashrrev_i32_e32 v165, s20, v147
	v_ashrrev_i32_e32 v166, s20, v148
	v_sub_nc_u16 v161, v177, v161
	v_and_b32_e32 v177, 0x3030303, v158
	v_bfe_u32 v158, v158, 24, 2
	ds_read_b32 v132, v132
	v_lshrrev_b16 v189, 8, v140
	v_add_nc_u32_e32 v147, 0x2108, v130
	v_lshrrev_b16 v178, 8, v177
	v_ashrrev_i32_e32 v168, s20, v150
	v_lshlrev_b32_e32 v139, 2, v139
	ds_read2_b32 v[147:148], v147 offset1:1
	ds_read2_b32 v[149:150], v149 offset1:1
	;; [unrolled: 1-line block ×3, first 2 shown]
	ds_read2_b32 v[153:154], v131 offset0:6 offset1:7
	v_sub_nc_u16 v178, v178, v179
	v_lshrrev_b32_e32 v179, 24, v162
	v_and_b32_e32 v139, 0x4040404, v139
	v_lshlrev_b32_e32 v138, 2, v138
	v_lshlrev_b32_e32 v137, 2, v137
	v_ashrrev_i32_e32 v169, s20, v145
	v_sub_nc_u16 v158, v158, v179
	v_lshrrev_b32_e32 v179, 16, v177
	v_sub_nc_u16 v177, v177, v162
	v_lshrrev_b32_e32 v162, 16, v162
	v_lshrrev_b16 v191, 8, v139
	v_and_b32_e32 v138, 0x4040404, v138
	v_and_b32_e32 v137, 0x4040404, v137
	v_lshlrev_b32_e32 v136, 2, v136
	v_sub_nc_u16 v162, v179, v162
	v_and_b32_e32 v179, 0x3030303, v163
	v_bfe_u32 v163, v163, 24, 2
	s_waitcnt lgkmcnt(3)
	v_ashrrev_i32_e32 v147, s20, v147
	v_lshrrev_b16 v193, 8, v138
	v_ashrrev_i32_e32 v148, s20, v148
	v_lshrrev_b16 v180, 8, v179
	v_lshrrev_b16 v195, 8, v137
	v_and_b32_e32 v136, 0x4040404, v136
	v_add3_u32 v131, s21, v121, v122
	v_add_nc_u32_e32 v145, 0x3188, v130
	v_sub_nc_u16 v180, v180, v181
	v_lshrrev_b32_e32 v181, 24, v144
	v_lshrrev_b16 v197, 8, v136
	ds_read_b32 v131, v131
	v_ashrrev_i32_e32 v170, s20, v146
	ds_read2_b32 v[145:146], v145 offset1:1
	v_sub_nc_u16 v163, v163, v181
	v_lshrrev_b32_e32 v181, 16, v179
	v_sub_nc_u16 v179, v179, v144
	v_lshrrev_b32_e32 v144, 16, v144
	v_lshlrev_b32_e32 v134, 2, v134
	v_lshlrev_b32_e32 v135, 2, v135
	v_ashrrev_i32_e32 v133, s4, v133
	v_lshlrev_b16 v155, 8, v155
	v_sub_nc_u16 v144, v181, v144
	v_and_b32_e32 v181, 0x3030303, v164
	v_bfe_u32 v164, v164, 24, 2
	v_and_b32_e32 v134, 0x4040404, v134
	v_and_b32_e32 v135, 0x4040404, v135
	v_lshlrev_b32_e32 v133, 2, v133
	v_lshrrev_b16 v182, 8, v181
	v_lshlrev_b16 v156, 8, v156
	v_lshrrev_b16 v199, 8, v134
	v_lshrrev_b16 v201, 8, v135
	v_and_b32_e32 v133, 0x4040404, v133
	v_sub_nc_u16 v182, v182, v183
	v_lshrrev_b32_e32 v183, 24, v143
	s_waitcnt lgkmcnt(0)
	v_ashrrev_i32_e32 v145, s20, v145
	v_ashrrev_i32_e32 v146, s20, v146
	v_lshrrev_b16 v203, 8, v133
	v_lshlrev_b16 v157, 8, v157
	v_sub_nc_u16 v164, v164, v183
	v_lshrrev_b32_e32 v183, 16, v181
	v_sub_nc_u16 v181, v181, v143
	v_lshrrev_b32_e32 v143, 16, v143
	v_lshlrev_b16 v158, 8, v158
	v_lshlrev_b16 v172, 8, v172
	v_or_b32_sdwa v155, v159, v155 dst_sel:WORD_1 dst_unused:UNUSED_PAD src0_sel:BYTE_0 src1_sel:DWORD
	v_lshlrev_b16 v159, 8, v174
	v_sub_nc_u16 v143, v183, v143
	v_and_b32_e32 v183, 0x3030303, v165
	v_bfe_u32 v165, v165, 24, 2
	v_or_b32_sdwa v156, v160, v156 dst_sel:WORD_1 dst_unused:UNUSED_PAD src0_sel:BYTE_0 src1_sel:DWORD
	v_lshlrev_b16 v160, 8, v176
	v_or_b32_sdwa v157, v161, v157 dst_sel:WORD_1 dst_unused:UNUSED_PAD src0_sel:BYTE_0 src1_sel:DWORD
	v_lshrrev_b16 v184, 8, v183
	v_lshlrev_b16 v161, 8, v178
	v_or_b32_sdwa v158, v162, v158 dst_sel:WORD_1 dst_unused:UNUSED_PAD src0_sel:BYTE_0 src1_sel:DWORD
	v_lshlrev_b16 v162, 8, v180
	v_lshlrev_b16 v163, 8, v163
	v_sub_nc_u16 v184, v184, v185
	v_lshrrev_b32_e32 v185, 24, v142
	v_or_b32_sdwa v171, v171, v172 dst_sel:DWORD dst_unused:UNUSED_PAD src0_sel:BYTE_0 src1_sel:DWORD
	v_or_b32_sdwa v159, v173, v159 dst_sel:DWORD dst_unused:UNUSED_PAD src0_sel:BYTE_0 src1_sel:DWORD
	v_or_b32_sdwa v160, v175, v160 dst_sel:DWORD dst_unused:UNUSED_PAD src0_sel:BYTE_0 src1_sel:DWORD
	v_or_b32_sdwa v161, v177, v161 dst_sel:DWORD dst_unused:UNUSED_PAD src0_sel:BYTE_0 src1_sel:DWORD
	v_sub_nc_u16 v165, v165, v185
	v_lshrrev_b32_e32 v185, 16, v183
	v_sub_nc_u16 v183, v183, v142
	v_lshrrev_b32_e32 v142, 16, v142
	v_or_b32_sdwa v162, v179, v162 dst_sel:DWORD dst_unused:UNUSED_PAD src0_sel:BYTE_0 src1_sel:DWORD
	v_or_b32_sdwa v144, v144, v163 dst_sel:WORD_1 dst_unused:UNUSED_PAD src0_sel:BYTE_0 src1_sel:DWORD
	v_lshlrev_b16 v163, 8, v182
	v_lshlrev_b16 v164, 8, v164
	v_sub_nc_u16 v142, v185, v142
	v_and_b32_e32 v185, 0x3030303, v166
	v_bfe_u32 v166, v166, 24, 2
	v_or_b32_sdwa v144, v162, v144 dst_sel:DWORD dst_unused:UNUSED_PAD src0_sel:WORD_0 src1_sel:DWORD
	v_or_b32_sdwa v163, v181, v163 dst_sel:DWORD dst_unused:UNUSED_PAD src0_sel:BYTE_0 src1_sel:DWORD
	v_or_b32_sdwa v143, v143, v164 dst_sel:WORD_1 dst_unused:UNUSED_PAD src0_sel:BYTE_0 src1_sel:DWORD
	v_lshrrev_b16 v186, 8, v185
	v_ashrrev_i32_e32 v10, s4, v10
	v_ashrrev_i32_e32 v11, s4, v11
	v_lshlrev_b16 v164, 8, v184
	v_or_b32_sdwa v143, v163, v143 dst_sel:DWORD dst_unused:UNUSED_PAD src0_sel:WORD_0 src1_sel:DWORD
	v_sub_nc_u16 v186, v186, v187
	v_lshrrev_b32_e32 v187, 24, v141
	v_mov_b32_e32 v163, 0
	v_lshlrev_b32_e32 v10, 2, v10
	v_lshlrev_b32_e32 v11, 2, v11
	v_lshlrev_b16 v165, 8, v165
	v_sub_nc_u16 v166, v166, v187
	v_lshrrev_b32_e32 v187, 16, v185
	v_sub_nc_u16 v185, v185, v141
	v_lshrrev_b32_e32 v141, 16, v141
	v_and_b32_e32 v10, 0x4040404, v10
	v_lshlrev_b16 v166, 8, v166
	v_and_b32_e32 v11, 0x4040404, v11
	v_or_b32_sdwa v164, v183, v164 dst_sel:DWORD dst_unused:UNUSED_PAD src0_sel:BYTE_0 src1_sel:DWORD
	v_sub_nc_u16 v141, v187, v141
	v_and_b32_e32 v187, 0x3030303, v167
	v_bfe_u32 v167, v167, 24, 2
	v_or_b32_sdwa v142, v142, v165 dst_sel:WORD_1 dst_unused:UNUSED_PAD src0_sel:BYTE_0 src1_sel:DWORD
	v_ashrrev_i32_e32 v12, s4, v12
	v_or_b32_sdwa v141, v141, v166 dst_sel:WORD_1 dst_unused:UNUSED_PAD src0_sel:BYTE_0 src1_sel:DWORD
	v_lshrrev_b16 v188, 8, v187
	s_and_b32 s22, s1, -16
	v_or_b32_sdwa v142, v164, v142 dst_sel:DWORD dst_unused:UNUSED_PAD src0_sel:WORD_0 src1_sel:DWORD
	v_lshlrev_b32_e32 v12, 2, v12
	s_add_i32 s19, s19, s22
	v_sub_nc_u16 v188, v188, v189
	v_lshrrev_b32_e32 v189, 24, v140
	v_lshlrev_b16 v165, 8, v186
	v_and_b32_e32 v12, 0x4040404, v12
	v_ashrrev_i32_e32 v13, s4, v13
	v_lshlrev_b16 v166, 8, v188
	v_sub_nc_u16 v167, v167, v189
	v_lshrrev_b32_e32 v189, 16, v187
	v_sub_nc_u16 v187, v187, v140
	v_lshrrev_b32_e32 v140, 16, v140
	v_or_b32_sdwa v165, v185, v165 dst_sel:DWORD dst_unused:UNUSED_PAD src0_sel:BYTE_0 src1_sel:DWORD
	v_lshlrev_b16 v167, 8, v167
	v_lshrrev_b16 v164, 8, v12
	v_or_b32_sdwa v166, v187, v166 dst_sel:DWORD dst_unused:UNUSED_PAD src0_sel:BYTE_0 src1_sel:DWORD
	v_sub_nc_u16 v140, v189, v140
	v_and_b32_e32 v189, 0x3030303, v168
	v_bfe_u32 v168, v168, 24, 2
	v_or_b32_sdwa v141, v165, v141 dst_sel:DWORD dst_unused:UNUSED_PAD src0_sel:WORD_0 src1_sel:DWORD
	v_lshlrev_b32_e32 v13, 2, v13
	v_or_b32_sdwa v140, v140, v167 dst_sel:WORD_1 dst_unused:UNUSED_PAD src0_sel:BYTE_0 src1_sel:DWORD
	v_lshrrev_b16 v190, 8, v189
	v_ashrrev_i32_e32 v14, s4, v14
	v_ashrrev_i32_e32 v15, s4, v15
	v_and_b32_e32 v13, 0x4040404, v13
	v_ashrrev_i32_e32 v16, s4, v16
	v_sub_nc_u16 v190, v190, v191
	v_lshrrev_b32_e32 v191, 24, v139
	v_lshlrev_b32_e32 v14, 2, v14
	v_lshlrev_b32_e32 v15, 2, v15
	v_ashrrev_i32_e32 v149, s20, v149
	v_lshlrev_b16 v167, 8, v190
	v_sub_nc_u16 v168, v168, v191
	v_lshrrev_b32_e32 v191, 16, v189
	v_sub_nc_u16 v189, v189, v139
	v_lshrrev_b32_e32 v139, 16, v139
	v_and_b32_e32 v14, 0x4040404, v14
	v_lshlrev_b16 v168, 8, v168
	v_and_b32_e32 v15, 0x4040404, v15
	v_or_b32_sdwa v167, v189, v167 dst_sel:DWORD dst_unused:UNUSED_PAD src0_sel:BYTE_0 src1_sel:DWORD
	v_sub_nc_u16 v139, v191, v139
	v_and_b32_e32 v191, 0x3030303, v147
	v_bfe_u32 v147, v147, 24, 2
	v_lshlrev_b32_e32 v16, 2, v16
	v_ashrrev_i32_e32 v17, s4, v17
	v_or_b32_sdwa v139, v139, v168 dst_sel:WORD_1 dst_unused:UNUSED_PAD src0_sel:BYTE_0 src1_sel:DWORD
	v_lshrrev_b16 v192, 8, v191
	v_ashrrev_i32_e32 v150, s20, v150
	v_and_b32_e32 v16, 0x4040404, v16
	v_lshlrev_b32_e32 v17, 2, v17
	v_ashrrev_i32_e32 v18, s4, v18
	v_sub_nc_u16 v192, v192, v193
	v_lshrrev_b32_e32 v193, 24, v138
	v_lshrrev_b16 v172, 8, v16
	v_and_b32_e32 v17, 0x4040404, v17
	v_lshlrev_b32_e32 v18, 2, v18
	v_lshlrev_b16 v168, 8, v192
	v_sub_nc_u16 v147, v147, v193
	v_lshrrev_b32_e32 v193, 16, v191
	v_sub_nc_u16 v191, v191, v138
	v_lshrrev_b32_e32 v138, 16, v138
	v_lshrrev_b16 v174, 8, v17
	v_lshlrev_b16 v147, 8, v147
	v_and_b32_e32 v18, 0x4040404, v18
	v_or_b32_sdwa v168, v191, v168 dst_sel:DWORD dst_unused:UNUSED_PAD src0_sel:BYTE_0 src1_sel:DWORD
	v_sub_nc_u16 v138, v193, v138
	v_and_b32_e32 v193, 0x3030303, v148
	v_bfe_u32 v148, v148, 24, 2
	v_lshrrev_b16 v176, 8, v18
	v_ashrrev_i32_e32 v19, s4, v19
	v_or_b32_sdwa v138, v138, v147 dst_sel:WORD_1 dst_unused:UNUSED_PAD src0_sel:BYTE_0 src1_sel:DWORD
	v_lshrrev_b16 v194, 8, v193
	v_ashrrev_i32_e32 v8, s4, v8
	v_ashrrev_i32_e32 v9, s4, v9
	v_lshlrev_b32_e32 v19, 2, v19
	v_ashrrev_i32_e32 v151, s20, v151
	v_sub_nc_u16 v194, v194, v195
	v_lshrrev_b32_e32 v195, 24, v137
	v_lshlrev_b32_e32 v8, 2, v8
	v_and_b32_e32 v19, 0x4040404, v19
	v_lshlrev_b32_e32 v9, 2, v9
	v_lshlrev_b16 v147, 8, v194
	v_sub_nc_u16 v148, v148, v195
	v_lshrrev_b32_e32 v195, 16, v193
	v_sub_nc_u16 v193, v193, v137
	v_lshrrev_b32_e32 v137, 16, v137
	v_lshrrev_b16 v178, 8, v19
	v_lshlrev_b16 v148, 8, v148
	v_and_b32_e32 v8, 0x4040404, v8
	v_or_b32_sdwa v147, v193, v147 dst_sel:DWORD dst_unused:UNUSED_PAD src0_sel:BYTE_0 src1_sel:DWORD
	v_sub_nc_u16 v137, v195, v137
	v_and_b32_e32 v195, 0x3030303, v169
	v_bfe_u32 v169, v169, 24, 2
	v_lshrrev_b16 v180, 8, v8
	v_and_b32_e32 v9, 0x4040404, v9
	v_or_b32_sdwa v137, v137, v148 dst_sel:WORD_1 dst_unused:UNUSED_PAD src0_sel:BYTE_0 src1_sel:DWORD
	v_lshrrev_b16 v196, 8, v195
	v_ashrrev_i32_e32 v152, s20, v152
	v_ashrrev_i32_e32 v20, s4, v20
	v_lshrrev_b16 v182, 8, v9
	v_or_b32_sdwa v147, v147, v137 dst_sel:DWORD dst_unused:UNUSED_PAD src0_sel:WORD_0 src1_sel:DWORD
	v_sub_nc_u16 v196, v196, v197
	v_lshrrev_b32_e32 v197, 24, v136
	v_lshlrev_b32_e32 v20, 2, v20
	v_ashrrev_i32_e32 v21, s4, v21
	s_add_i32 s1, s1, 2
	v_lshlrev_b16 v148, 8, v196
	v_sub_nc_u16 v169, v169, v197
	v_lshrrev_b32_e32 v197, 16, v195
	v_sub_nc_u16 v195, v195, v136
	v_lshrrev_b32_e32 v136, 16, v136
	v_and_b32_e32 v20, 0x4040404, v20
	v_lshlrev_b16 v169, 8, v169
	v_lshlrev_b32_e32 v21, 2, v21
	v_or_b32_sdwa v148, v195, v148 dst_sel:DWORD dst_unused:UNUSED_PAD src0_sel:BYTE_0 src1_sel:DWORD
	v_sub_nc_u16 v136, v197, v136
	v_and_b32_e32 v197, 0x3030303, v170
	v_bfe_u32 v170, v170, 24, 2
	v_lshrrev_b16 v188, 8, v20
	v_and_b32_e32 v21, 0x4040404, v21
	v_or_b32_sdwa v136, v136, v169 dst_sel:WORD_1 dst_unused:UNUSED_PAD src0_sel:BYTE_0 src1_sel:DWORD
	v_lshrrev_b16 v198, 8, v197
	v_lshrrev_b16 v190, 8, v21
	v_or_b32_sdwa v148, v148, v136 dst_sel:DWORD dst_unused:UNUSED_PAD src0_sel:WORD_0 src1_sel:DWORD
	v_sub_nc_u16 v198, v198, v199
	v_lshrrev_b32_e32 v199, 24, v134
	v_lshlrev_b16 v169, 8, v198
	v_sub_nc_u16 v170, v170, v199
	v_lshrrev_b32_e32 v199, 16, v197
	v_sub_nc_u16 v197, v197, v134
	v_lshrrev_b32_e32 v134, 16, v134
	v_lshlrev_b16 v170, 8, v170
	v_or_b32_sdwa v169, v197, v169 dst_sel:DWORD dst_unused:UNUSED_PAD src0_sel:BYTE_0 src1_sel:DWORD
	v_sub_nc_u16 v134, v199, v134
	v_and_b32_e32 v199, 0x3030303, v145
	v_bfe_u32 v145, v145, 24, 2
	v_or_b32_sdwa v134, v134, v170 dst_sel:WORD_1 dst_unused:UNUSED_PAD src0_sel:BYTE_0 src1_sel:DWORD
	v_lshrrev_b16 v200, 8, v199
	v_sub_nc_u16 v200, v200, v201
	v_lshrrev_b32_e32 v201, 24, v135
	v_lshlrev_b16 v170, 8, v200
	v_sub_nc_u16 v145, v145, v201
	v_lshrrev_b32_e32 v201, 16, v199
	v_sub_nc_u16 v199, v199, v135
	v_lshrrev_b32_e32 v135, 16, v135
	v_lshlrev_b16 v145, 8, v145
	v_or_b32_sdwa v170, v199, v170 dst_sel:DWORD dst_unused:UNUSED_PAD src0_sel:BYTE_0 src1_sel:DWORD
	v_sub_nc_u16 v135, v201, v135
	v_and_b32_e32 v201, 0x3030303, v146
	v_bfe_u32 v146, v146, 24, 2
	v_or_b32_sdwa v135, v135, v145 dst_sel:WORD_1 dst_unused:UNUSED_PAD src0_sel:BYTE_0 src1_sel:DWORD
	v_lshrrev_b16 v202, 8, v201
	v_or_b32_sdwa v162, v170, v135 dst_sel:DWORD dst_unused:UNUSED_PAD src0_sel:WORD_0 src1_sel:DWORD
	v_sub_nc_u16 v202, v202, v203
	v_lshrrev_b32_e32 v203, 24, v133
	v_lshrrev_b16 v170, 8, v15
	v_lshlrev_b16 v145, 8, v202
	v_sub_nc_u16 v146, v146, v203
	v_lshrrev_b32_e32 v203, 16, v201
	v_sub_nc_u16 v201, v201, v133
	v_lshrrev_b32_e32 v133, 16, v133
	v_lshlrev_b16 v146, 8, v146
	v_or_b32_sdwa v145, v201, v145 dst_sel:DWORD dst_unused:UNUSED_PAD src0_sel:BYTE_0 src1_sel:DWORD
	v_sub_nc_u16 v133, v203, v133
	v_or_b32_sdwa v133, v133, v146 dst_sel:WORD_1 dst_unused:UNUSED_PAD src0_sel:BYTE_0 src1_sel:DWORD
	v_or_b32_sdwa v146, v171, v155 dst_sel:DWORD dst_unused:UNUSED_PAD src0_sel:WORD_0 src1_sel:DWORD
	v_or_b32_sdwa v155, v159, v156 dst_sel:DWORD dst_unused:UNUSED_PAD src0_sel:WORD_0 src1_sel:DWORD
	;; [unrolled: 1-line block ×9, first 2 shown]
	ds_read_b128 v[133:136], v128
	ds_read_b128 v[137:140], v128 offset:16
	v_lshrrev_b16 v166, 8, v13
	v_lshrrev_b16 v168, 8, v14
	v_add_nc_u32_e32 v128, 32, v128
	s_waitcnt lgkmcnt(1)
	v_dot4c_i32_i8 v163, v146, v133
	v_mov_b32_e32 v146, 0
	v_dot4c_i32_i8 v163, v155, v134
	v_dot4c_i32_i8 v146, v144, v133
	v_mov_b32_e32 v144, 0
	v_dot4c_i32_i8 v163, v156, v135
	v_dot4c_i32_i8 v146, v143, v134
	;; [unrolled: 1-line block ×3, first 2 shown]
	v_mov_b32_e32 v158, 0
	v_dot4c_i32_i8 v163, v157, v136
	v_dot4c_i32_i8 v146, v142, v135
	;; [unrolled: 1-line block ×4, first 2 shown]
	v_ashrrev_i32_e32 v133, s20, v4
	v_lshrrev_b16 v159, 8, v10
	v_add_nc_u32_e32 v4, s19, v93
	v_dot4c_i32_i8 v144, v160, v135
	v_dot4c_i32_i8 v158, v161, v134
	v_and_b32_e32 v156, 0x3030303, v133
	v_bfe_u32 v133, v133, 24, 2
	v_ashrrev_i32_e32 v134, s20, v5
	v_lshrrev_b16 v161, 8, v11
	v_dot4c_i32_i8 v158, v162, v135
	v_lshrrev_b16 v157, 8, v156
	v_ashrrev_i32_e32 v135, s20, v6
	ds_read_u16 v143, v4 offset:26354
	v_add3_u32 v4, s21, v117, v118
	v_dot4c_i32_i8 v158, v145, v136
	v_sub_nc_u16 v157, v157, v159
	v_lshrrev_b32_e32 v159, 24, v10
	v_add_nc_u32_e32 v6, 0x1098, v130
	ds_read_b32 v145, v4
	v_add_nc_u32_e32 v4, 0x1090, v130
	v_dot4c_i32_i8 v146, v141, v136
	v_sub_nc_u16 v133, v133, v159
	v_lshrrev_b32_e32 v159, 16, v156
	v_sub_nc_u16 v156, v156, v10
	v_lshrrev_b32_e32 v10, 16, v10
	v_dot4c_i32_i8 v144, v147, v136
	v_ashrrev_i32_e32 v136, s20, v7
	ds_read2_b32 v[4:5], v4 offset1:1
	ds_read2_b32 v[6:7], v6 offset1:1
	v_ashrrev_i32_e32 v141, s4, v153
	v_sub_nc_u16 v10, v159, v10
	v_and_b32_e32 v159, 0x3030303, v134
	v_bfe_u32 v134, v134, 24, 2
	v_ashrrev_i32_e32 v142, s4, v154
	v_lshlrev_b32_e32 v141, 2, v141
	v_lshlrev_b16 v157, 8, v157
	v_lshrrev_b16 v160, 8, v159
	v_lshlrev_b16 v133, 8, v133
	v_lshlrev_b32_e32 v142, 2, v142
	v_and_b32_e32 v141, 0x4040404, v141
	v_or_b32_sdwa v156, v156, v157 dst_sel:DWORD dst_unused:UNUSED_PAD src0_sel:BYTE_0 src1_sel:DWORD
	v_sub_nc_u16 v160, v160, v161
	v_lshrrev_b32_e32 v161, 24, v11
	v_and_b32_e32 v142, 0x4040404, v142
	v_lshrrev_b16 v184, 8, v141
	v_or_b32_sdwa v10, v10, v133 dst_sel:WORD_1 dst_unused:UNUSED_PAD src0_sel:BYTE_0 src1_sel:DWORD
	v_lshlrev_b16 v133, 8, v160
	v_sub_nc_u16 v134, v134, v161
	v_lshrrev_b32_e32 v161, 16, v159
	v_sub_nc_u16 v159, v159, v11
	v_lshrrev_b32_e32 v11, 16, v11
	s_waitcnt lgkmcnt(1)
	v_ashrrev_i32_e32 v147, s20, v4
	v_ashrrev_i32_e32 v148, s20, v5
	v_add_nc_u32_e32 v5, s19, v91
	s_waitcnt lgkmcnt(0)
	v_ashrrev_i32_e32 v153, s20, v6
	v_sub_nc_u16 v11, v161, v11
	v_and_b32_e32 v161, 0x3030303, v135
	v_bfe_u32 v135, v135, 24, 2
	v_add_nc_u32_e32 v4, 0x3190, v130
	v_add_nc_u32_e32 v6, 0x3198, v130
	ds_read_u16 v130, v5 offset:28402
	v_lshrrev_b16 v162, 8, v161
	v_add3_u32 v5, s21, v126, v127
	v_ashrrev_i32_e32 v154, s20, v7
	ds_read_b32 v155, v5
	ds_read2_b32 v[4:5], v4 offset1:1
	ds_read2_b32 v[6:7], v6 offset1:1
	v_sub_nc_u16 v162, v162, v164
	v_lshrrev_b32_e32 v164, 24, v12
	v_lshrrev_b16 v186, 8, v142
	v_or_b32_sdwa v10, v156, v10 dst_sel:DWORD dst_unused:UNUSED_PAD src0_sel:WORD_0 src1_sel:DWORD
	v_lshlrev_b16 v134, 8, v134
	v_or_b32_sdwa v133, v159, v133 dst_sel:DWORD dst_unused:UNUSED_PAD src0_sel:BYTE_0 src1_sel:DWORD
	v_sub_nc_u16 v135, v135, v164
	v_lshrrev_b32_e32 v164, 16, v161
	v_sub_nc_u16 v161, v161, v12
	v_lshrrev_b32_e32 v12, 16, v12
	v_or_b32_sdwa v11, v11, v134 dst_sel:WORD_1 dst_unused:UNUSED_PAD src0_sel:BYTE_0 src1_sel:DWORD
	v_lshlrev_b16 v134, 8, v162
	v_lshlrev_b16 v135, 8, v135
	s_add_i32 s4, s4, 1
	v_sub_nc_u16 v12, v164, v12
	v_and_b32_e32 v164, 0x3030303, v136
	v_bfe_u32 v136, v136, 24, 2
	v_or_b32_sdwa v11, v133, v11 dst_sel:DWORD dst_unused:UNUSED_PAD src0_sel:WORD_0 src1_sel:DWORD
	s_waitcnt lgkmcnt(1)
	v_ashrrev_i32_e32 v4, s20, v4
	v_ashrrev_i32_e32 v5, s20, v5
	v_lshrrev_b16 v165, 8, v164
	s_waitcnt lgkmcnt(0)
	v_ashrrev_i32_e32 v6, s20, v6
	v_ashrrev_i32_e32 v7, s20, v7
	v_mov_b32_e32 v133, 0
	v_or_b32_sdwa v134, v161, v134 dst_sel:DWORD dst_unused:UNUSED_PAD src0_sel:BYTE_0 src1_sel:DWORD
	v_sub_nc_u16 v165, v165, v166
	v_lshrrev_b32_e32 v166, 24, v13
	v_or_b32_sdwa v12, v12, v135 dst_sel:WORD_1 dst_unused:UNUSED_PAD src0_sel:BYTE_0 src1_sel:DWORD
	s_cmp_lt_u32 s5, 30
	v_lshlrev_b16 v135, 8, v165
	v_sub_nc_u16 v136, v136, v166
	v_lshrrev_b32_e32 v166, 16, v164
	v_sub_nc_u16 v164, v164, v13
	v_lshrrev_b32_e32 v13, 16, v13
	v_or_b32_sdwa v12, v134, v12 dst_sel:DWORD dst_unused:UNUSED_PAD src0_sel:WORD_0 src1_sel:DWORD
	v_lshlrev_b16 v136, 8, v136
	v_or_b32_sdwa v135, v164, v135 dst_sel:DWORD dst_unused:UNUSED_PAD src0_sel:BYTE_0 src1_sel:DWORD
	v_sub_nc_u16 v13, v166, v13
	v_and_b32_e32 v166, 0x3030303, v147
	v_bfe_u32 v147, v147, 24, 2
	v_or_b32_sdwa v13, v13, v136 dst_sel:WORD_1 dst_unused:UNUSED_PAD src0_sel:BYTE_0 src1_sel:DWORD
	v_lshrrev_b16 v167, 8, v166
	v_or_b32_sdwa v13, v135, v13 dst_sel:DWORD dst_unused:UNUSED_PAD src0_sel:WORD_0 src1_sel:DWORD
	v_sub_nc_u16 v167, v167, v168
	v_lshrrev_b32_e32 v168, 24, v14
	v_lshlrev_b16 v136, 8, v167
	v_sub_nc_u16 v147, v147, v168
	v_lshrrev_b32_e32 v168, 16, v166
	v_sub_nc_u16 v166, v166, v14
	v_lshrrev_b32_e32 v14, 16, v14
	v_lshlrev_b16 v147, 8, v147
	v_or_b32_sdwa v136, v166, v136 dst_sel:DWORD dst_unused:UNUSED_PAD src0_sel:BYTE_0 src1_sel:DWORD
	v_sub_nc_u16 v14, v168, v14
	v_and_b32_e32 v168, 0x3030303, v148
	v_bfe_u32 v148, v148, 24, 2
	v_or_b32_sdwa v14, v14, v147 dst_sel:WORD_1 dst_unused:UNUSED_PAD src0_sel:BYTE_0 src1_sel:DWORD
	v_lshrrev_b16 v169, 8, v168
	v_or_b32_sdwa v14, v136, v14 dst_sel:DWORD dst_unused:UNUSED_PAD src0_sel:WORD_0 src1_sel:DWORD
	v_sub_nc_u16 v169, v169, v170
	v_lshrrev_b32_e32 v170, 24, v15
	v_lshlrev_b16 v147, 8, v169
	v_sub_nc_u16 v148, v148, v170
	v_lshrrev_b32_e32 v170, 16, v168
	v_sub_nc_u16 v168, v168, v15
	v_lshrrev_b32_e32 v15, 16, v15
	;; [unrolled: 15-line block ×3, first 2 shown]
	v_lshlrev_b16 v149, 8, v149
	v_or_b32_sdwa v148, v170, v148 dst_sel:DWORD dst_unused:UNUSED_PAD src0_sel:BYTE_0 src1_sel:DWORD
	v_sub_nc_u16 v16, v172, v16
	v_and_b32_e32 v172, 0x3030303, v150
	v_bfe_u32 v150, v150, 24, 2
	v_or_b32_sdwa v16, v16, v149 dst_sel:WORD_1 dst_unused:UNUSED_PAD src0_sel:BYTE_0 src1_sel:DWORD
	v_lshrrev_b16 v173, 8, v172
	v_or_b32_sdwa v16, v148, v16 dst_sel:DWORD dst_unused:UNUSED_PAD src0_sel:WORD_0 src1_sel:DWORD
	v_sub_nc_u16 v173, v173, v174
	v_lshrrev_b32_e32 v174, 24, v17
	v_dot4c_i32_i8 v133, v16, v137
	v_lshlrev_b16 v149, 8, v173
	v_sub_nc_u16 v150, v150, v174
	v_lshrrev_b32_e32 v174, 16, v172
	v_sub_nc_u16 v172, v172, v17
	v_lshrrev_b32_e32 v17, 16, v17
	v_lshlrev_b16 v150, 8, v150
	v_or_b32_sdwa v149, v172, v149 dst_sel:DWORD dst_unused:UNUSED_PAD src0_sel:BYTE_0 src1_sel:DWORD
	v_sub_nc_u16 v17, v174, v17
	v_and_b32_e32 v174, 0x3030303, v4
	v_bfe_u32 v4, v4, 24, 2
	v_or_b32_sdwa v17, v17, v150 dst_sel:WORD_1 dst_unused:UNUSED_PAD src0_sel:BYTE_0 src1_sel:DWORD
	v_lshrrev_b16 v175, 8, v174
	v_or_b32_sdwa v17, v149, v17 dst_sel:DWORD dst_unused:UNUSED_PAD src0_sel:WORD_0 src1_sel:DWORD
	v_sub_nc_u16 v175, v175, v176
	v_lshrrev_b32_e32 v176, 24, v18
	v_dot4c_i32_i8 v133, v17, v138
	v_lshlrev_b16 v150, 8, v175
	v_sub_nc_u16 v4, v4, v176
	v_lshrrev_b32_e32 v176, 16, v174
	v_sub_nc_u16 v174, v174, v18
	v_lshrrev_b32_e32 v18, 16, v18
	v_lshlrev_b16 v4, 8, v4
	v_or_b32_sdwa v150, v174, v150 dst_sel:DWORD dst_unused:UNUSED_PAD src0_sel:BYTE_0 src1_sel:DWORD
	v_sub_nc_u16 v18, v176, v18
	v_and_b32_e32 v176, 0x3030303, v5
	v_bfe_u32 v5, v5, 24, 2
	v_or_b32_sdwa v4, v18, v4 dst_sel:WORD_1 dst_unused:UNUSED_PAD src0_sel:BYTE_0 src1_sel:DWORD
	v_lshrrev_b16 v177, 8, v176
	v_or_b32_sdwa v4, v150, v4 dst_sel:DWORD dst_unused:UNUSED_PAD src0_sel:WORD_0 src1_sel:DWORD
	v_sub_nc_u16 v177, v177, v178
	v_lshrrev_b32_e32 v178, 24, v19
	v_lshlrev_b16 v18, 8, v177
	v_sub_nc_u16 v5, v5, v178
	v_lshrrev_b32_e32 v178, 16, v176
	v_sub_nc_u16 v176, v176, v19
	v_lshrrev_b32_e32 v19, 16, v19
	v_lshlrev_b16 v5, 8, v5
	v_or_b32_sdwa v18, v176, v18 dst_sel:DWORD dst_unused:UNUSED_PAD src0_sel:BYTE_0 src1_sel:DWORD
	v_sub_nc_u16 v19, v178, v19
	v_and_b32_e32 v178, 0x3030303, v153
	v_bfe_u32 v153, v153, 24, 2
	v_or_b32_sdwa v5, v19, v5 dst_sel:WORD_1 dst_unused:UNUSED_PAD src0_sel:BYTE_0 src1_sel:DWORD
	v_lshrrev_b16 v179, 8, v178
	v_or_b32_sdwa v5, v18, v5 dst_sel:DWORD dst_unused:UNUSED_PAD src0_sel:WORD_0 src1_sel:DWORD
	v_sub_nc_u16 v179, v179, v180
	v_lshrrev_b32_e32 v180, 24, v8
	;; [unrolled: 15-line block ×5, first 2 shown]
	v_dot4c_i32_i8 v133, v18, v139
	v_lshlrev_b16 v151, 8, v185
	v_sub_nc_u16 v152, v152, v186
	v_lshrrev_b32_e32 v186, 16, v184
	v_sub_nc_u16 v184, v184, v142
	v_lshrrev_b32_e32 v142, 16, v142
	v_lshlrev_b16 v152, 8, v152
	v_or_b32_sdwa v151, v184, v151 dst_sel:DWORD dst_unused:UNUSED_PAD src0_sel:BYTE_0 src1_sel:DWORD
	v_sub_nc_u16 v142, v186, v142
	v_and_b32_e32 v186, 0x3030303, v6
	v_bfe_u32 v6, v6, 24, 2
	v_or_b32_sdwa v142, v142, v152 dst_sel:WORD_1 dst_unused:UNUSED_PAD src0_sel:BYTE_0 src1_sel:DWORD
	v_lshrrev_b16 v187, 8, v186
	v_or_b32_sdwa v19, v151, v142 dst_sel:DWORD dst_unused:UNUSED_PAD src0_sel:WORD_0 src1_sel:DWORD
	v_sub_nc_u16 v187, v187, v188
	v_lshrrev_b32_e32 v188, 24, v20
	v_dot4c_i32_i8 v133, v19, v140
	v_lshlrev_b16 v152, 8, v187
	v_sub_nc_u16 v6, v6, v188
	v_lshrrev_b32_e32 v188, 16, v186
	v_sub_nc_u16 v186, v186, v20
	v_lshrrev_b32_e32 v20, 16, v20
	v_lshlrev_b16 v6, 8, v6
	v_or_b32_sdwa v152, v186, v152 dst_sel:DWORD dst_unused:UNUSED_PAD src0_sel:BYTE_0 src1_sel:DWORD
	v_sub_nc_u16 v20, v188, v20
	v_and_b32_e32 v188, 0x3030303, v7
	v_bfe_u32 v7, v7, 24, 2
	v_or_b32_sdwa v6, v20, v6 dst_sel:WORD_1 dst_unused:UNUSED_PAD src0_sel:BYTE_0 src1_sel:DWORD
	v_lshrrev_b16 v189, 8, v188
	v_or_b32_sdwa v6, v152, v6 dst_sel:DWORD dst_unused:UNUSED_PAD src0_sel:WORD_0 src1_sel:DWORD
	v_sub_nc_u16 v189, v189, v190
	v_lshrrev_b32_e32 v190, 24, v21
	v_lshlrev_b16 v20, 8, v189
	v_sub_nc_u16 v7, v7, v190
	v_lshrrev_b32_e32 v190, 16, v188
	v_sub_nc_u16 v188, v188, v21
	v_lshrrev_b32_e32 v21, 16, v21
	v_lshlrev_b16 v7, 8, v7
	v_or_b32_sdwa v20, v188, v20 dst_sel:DWORD dst_unused:UNUSED_PAD src0_sel:BYTE_0 src1_sel:DWORD
	v_sub_nc_u16 v21, v190, v21
	v_or_b32_sdwa v7, v21, v7 dst_sel:WORD_1 dst_unused:UNUSED_PAD src0_sel:BYTE_0 src1_sel:DWORD
	v_mov_b32_e32 v21, 0
	v_or_b32_sdwa v7, v20, v7 dst_sel:DWORD dst_unused:UNUSED_PAD src0_sel:WORD_0 src1_sel:DWORD
	v_mov_b32_e32 v20, 0
	v_dot4c_i32_i8 v21, v10, v137
	v_add_nc_u32_e32 v10, s19, v94
	v_dot4c_i32_i8 v20, v14, v137
	v_mov_b32_e32 v14, 0
	v_dot4c_i32_i8 v21, v11, v138
	v_dot4c_i32_i8 v20, v15, v138
	;; [unrolled: 1-line block ×3, first 2 shown]
	v_add_nc_u32_e32 v4, s19, v92
	ds_read_u16 v10, v10 offset:25330
	ds_read_u16 v4, v4 offset:27378
	v_dot4c_i32_i8 v14, v5, v138
	v_bfe_i32 v5, v143, 0, 8
	v_dot4c_i32_i8 v21, v12, v139
	v_lshrrev_b16 v12, 8, v130
	v_bfe_i32 v130, v130, 0, 8
	v_dot4c_i32_i8 v14, v6, v139
	v_mul_lo_u32 v5, v146, v5
	v_dot4c_i32_i8 v20, v8, v139
	v_dot4c_i32_i8 v21, v13, v140
	ds_read_b32 v16, v129
	v_dot4c_i32_i8 v14, v7, v140
	v_mul_lo_u32 v7, v158, v130
	v_dot4c_i32_i8 v20, v9, v140
	v_bfe_i32 v12, v12, 0, 8
	v_add_nc_u32_e32 v129, 4, v129
	s_mov_b32 s19, s5
	s_waitcnt lgkmcnt(2)
	v_lshrrev_b16 v11, 8, v10
	v_bfe_i32 v10, v10, 0, 8
	s_waitcnt lgkmcnt(1)
	v_lshrrev_b16 v15, 8, v4
	v_bfe_i32 v17, v4, 0, 8
	v_lshrrev_b16 v4, 8, v143
	v_bfe_i32 v11, v11, 0, 8
	v_bfe_i32 v15, v15, 0, 8
	v_mul_lo_u32 v6, v144, v17
	v_bfe_i32 v134, v4, 0, 8
	v_mul_lo_u32 v4, v163, v10
	v_mad_u64_u32 v[8:9], null, v21, v11, v[4:5]
	v_mad_u64_u32 v[9:10], null, v20, v134, v[5:6]
	;; [unrolled: 1-line block ×3, first 2 shown]
	s_waitcnt lgkmcnt(0)
	v_mul_f32_e32 v4, v16, v132
	v_mul_f32_e32 v5, v16, v145
	v_mad_u64_u32 v[11:12], null, v14, v12, v[7:8]
	v_mul_f32_e32 v6, v16, v131
	v_mul_f32_e32 v7, v16, v155
	v_cvt_f32_i32_e32 v8, v8
	v_cvt_f32_i32_e32 v9, v9
	;; [unrolled: 1-line block ×4, first 2 shown]
	v_fmac_f32_e32 v23, v4, v8
	v_fmac_f32_e32 v87, v5, v9
	;; [unrolled: 1-line block ×4, first 2 shown]
	s_cbranch_scc1 .LBB209_35
; %bb.36:                               ;   in Loop: Header=BB209_5 Depth=1
	s_barrier
	buffer_gl0_inv
	s_branch .LBB209_4
.LBB209_37:
	s_mul_i32 s0, s11, s8
	s_waitcnt vmcnt(0)
	v_cmp_gt_i32_e32 vcc_lo, s0, v22
	s_and_saveexec_b32 s0, vcc_lo
	s_cbranch_execz .LBB209_46
; %bb.38:
	v_add_nc_u32_e32 v1, s6, v0
	v_mul_lo_u32 v0, v22, s10
	s_mov_b32 s0, exec_lo
	v_cmpx_gt_u32_e64 s10, v1
	s_cbranch_execz .LBB209_40
; %bb.39:
	v_add_nc_u32_e32 v4, v0, v1
	v_mov_b32_e32 v5, 0
	v_cvt_f16_f32_e32 v2, v23
	v_lshlrev_b64 v[4:5], 1, v[4:5]
	v_add_co_u32 v4, vcc_lo, s12, v4
	v_add_co_ci_u32_e64 v5, null, s13, v5, vcc_lo
	global_store_short v[4:5], v2, off
.LBB209_40:
	s_or_b32 exec_lo, exec_lo, s0
	v_add_nc_u32_e32 v2, 32, v1
	s_mov_b32 s0, exec_lo
	v_cmpx_gt_u32_e64 s10, v2
	s_cbranch_execz .LBB209_42
; %bb.41:
	v_add_nc_u32_e32 v4, v0, v2
	v_mov_b32_e32 v5, 0
	v_cvt_f16_f32_e32 v2, v87
	v_lshlrev_b64 v[4:5], 1, v[4:5]
	v_add_co_u32 v4, vcc_lo, s12, v4
	v_add_co_ci_u32_e64 v5, null, s13, v5, vcc_lo
	global_store_short v[4:5], v2, off
.LBB209_42:
	s_or_b32 exec_lo, exec_lo, s0
	v_add_nc_u32_e32 v2, 64, v1
	;; [unrolled: 14-line block ×3, first 2 shown]
	v_cmp_gt_u32_e32 vcc_lo, s10, v1
	s_and_b32 exec_lo, exec_lo, vcc_lo
	s_cbranch_execz .LBB209_46
; %bb.45:
	v_add_nc_u32_e32 v0, v0, v1
	v_mov_b32_e32 v1, 0
	v_cvt_f16_f32_e32 v2, v3
	v_lshlrev_b64 v[0:1], 1, v[0:1]
	v_add_co_u32 v0, vcc_lo, s12, v0
	v_add_co_ci_u32_e64 v1, null, s13, v1, vcc_lo
	global_store_short v[0:1], v2, off
.LBB209_46:
	s_endpgm
	.section	.rodata,"a",@progbits
	.p2align	6, 0x0
	.amdhsa_kernel _ZL8moe_q3_KIN3c104HalfELb0EEvPKvS3_PT_PKiS7_S7_iiiiiii
		.amdhsa_group_segment_fixed_size 31776
		.amdhsa_private_segment_fixed_size 0
		.amdhsa_kernarg_size 76
		.amdhsa_user_sgpr_count 6
		.amdhsa_user_sgpr_private_segment_buffer 1
		.amdhsa_user_sgpr_dispatch_ptr 0
		.amdhsa_user_sgpr_queue_ptr 0
		.amdhsa_user_sgpr_kernarg_segment_ptr 1
		.amdhsa_user_sgpr_dispatch_id 0
		.amdhsa_user_sgpr_flat_scratch_init 0
		.amdhsa_user_sgpr_private_segment_size 0
		.amdhsa_wavefront_size32 1
		.amdhsa_uses_dynamic_stack 0
		.amdhsa_system_sgpr_private_segment_wavefront_offset 0
		.amdhsa_system_sgpr_workgroup_id_x 1
		.amdhsa_system_sgpr_workgroup_id_y 1
		.amdhsa_system_sgpr_workgroup_id_z 0
		.amdhsa_system_sgpr_workgroup_info 0
		.amdhsa_system_vgpr_workitem_id 1
		.amdhsa_next_free_vgpr 248
		.amdhsa_next_free_sgpr 26
		.amdhsa_reserve_vcc 1
		.amdhsa_reserve_flat_scratch 0
		.amdhsa_float_round_mode_32 0
		.amdhsa_float_round_mode_16_64 0
		.amdhsa_float_denorm_mode_32 3
		.amdhsa_float_denorm_mode_16_64 3
		.amdhsa_dx10_clamp 1
		.amdhsa_ieee_mode 1
		.amdhsa_fp16_overflow 0
		.amdhsa_workgroup_processor_mode 1
		.amdhsa_memory_ordered 1
		.amdhsa_forward_progress 1
		.amdhsa_shared_vgpr_count 0
		.amdhsa_exception_fp_ieee_invalid_op 0
		.amdhsa_exception_fp_denorm_src 0
		.amdhsa_exception_fp_ieee_div_zero 0
		.amdhsa_exception_fp_ieee_overflow 0
		.amdhsa_exception_fp_ieee_underflow 0
		.amdhsa_exception_fp_ieee_inexact 0
		.amdhsa_exception_int_div_zero 0
	.end_amdhsa_kernel
	.section	.text._ZL8moe_q3_KIN3c104HalfELb0EEvPKvS3_PT_PKiS7_S7_iiiiiii,"axG",@progbits,_ZL8moe_q3_KIN3c104HalfELb0EEvPKvS3_PT_PKiS7_S7_iiiiiii,comdat
.Lfunc_end209:
	.size	_ZL8moe_q3_KIN3c104HalfELb0EEvPKvS3_PT_PKiS7_S7_iiiiiii, .Lfunc_end209-_ZL8moe_q3_KIN3c104HalfELb0EEvPKvS3_PT_PKiS7_S7_iiiiiii
                                        ; -- End function
	.set _ZL8moe_q3_KIN3c104HalfELb0EEvPKvS3_PT_PKiS7_S7_iiiiiii.num_vgpr, 248
	.set _ZL8moe_q3_KIN3c104HalfELb0EEvPKvS3_PT_PKiS7_S7_iiiiiii.num_agpr, 0
	.set _ZL8moe_q3_KIN3c104HalfELb0EEvPKvS3_PT_PKiS7_S7_iiiiiii.numbered_sgpr, 26
	.set _ZL8moe_q3_KIN3c104HalfELb0EEvPKvS3_PT_PKiS7_S7_iiiiiii.num_named_barrier, 0
	.set _ZL8moe_q3_KIN3c104HalfELb0EEvPKvS3_PT_PKiS7_S7_iiiiiii.private_seg_size, 0
	.set _ZL8moe_q3_KIN3c104HalfELb0EEvPKvS3_PT_PKiS7_S7_iiiiiii.uses_vcc, 1
	.set _ZL8moe_q3_KIN3c104HalfELb0EEvPKvS3_PT_PKiS7_S7_iiiiiii.uses_flat_scratch, 0
	.set _ZL8moe_q3_KIN3c104HalfELb0EEvPKvS3_PT_PKiS7_S7_iiiiiii.has_dyn_sized_stack, 0
	.set _ZL8moe_q3_KIN3c104HalfELb0EEvPKvS3_PT_PKiS7_S7_iiiiiii.has_recursion, 0
	.set _ZL8moe_q3_KIN3c104HalfELb0EEvPKvS3_PT_PKiS7_S7_iiiiiii.has_indirect_call, 0
	.section	.AMDGPU.csdata,"",@progbits
; Kernel info:
; codeLenInByte = 26388
; TotalNumSgprs: 28
; NumVgprs: 248
; ScratchSize: 0
; MemoryBound: 0
; FloatMode: 240
; IeeeMode: 1
; LDSByteSize: 31776 bytes/workgroup (compile time only)
; SGPRBlocks: 0
; VGPRBlocks: 30
; NumSGPRsForWavesPerEU: 28
; NumVGPRsForWavesPerEU: 248
; Occupancy: 4
; WaveLimiterHint : 1
; COMPUTE_PGM_RSRC2:SCRATCH_EN: 0
; COMPUTE_PGM_RSRC2:USER_SGPR: 6
; COMPUTE_PGM_RSRC2:TRAP_HANDLER: 0
; COMPUTE_PGM_RSRC2:TGID_X_EN: 1
; COMPUTE_PGM_RSRC2:TGID_Y_EN: 1
; COMPUTE_PGM_RSRC2:TGID_Z_EN: 0
; COMPUTE_PGM_RSRC2:TIDIG_COMP_CNT: 1
	.section	.text._ZL8moe_q3_KIN3c104HalfELb1EEvPKvS3_PT_PKiS7_S7_iiiiiii,"axG",@progbits,_ZL8moe_q3_KIN3c104HalfELb1EEvPKvS3_PT_PKiS7_S7_iiiiiii,comdat
	.globl	_ZL8moe_q3_KIN3c104HalfELb1EEvPKvS3_PT_PKiS7_S7_iiiiiii ; -- Begin function _ZL8moe_q3_KIN3c104HalfELb1EEvPKvS3_PT_PKiS7_S7_iiiiiii
	.p2align	8
	.type	_ZL8moe_q3_KIN3c104HalfELb1EEvPKvS3_PT_PKiS7_S7_iiiiiii,@function
_ZL8moe_q3_KIN3c104HalfELb1EEvPKvS3_PT_PKiS7_S7_iiiiiii: ; @_ZL8moe_q3_KIN3c104HalfELb1EEvPKvS3_PT_PKiS7_S7_iiiiiii
; %bb.0:
	s_load_dwordx4 s[0:3], s[4:5], 0x18
	s_mov_b32 s8, s7
	s_mov_b32 s9, 0
	s_lshl_b64 s[10:11], s[8:9], 2
	s_waitcnt lgkmcnt(0)
	s_add_u32 s2, s2, s10
	s_addc_u32 s3, s3, s11
	s_load_dword s7, s[2:3], 0x0
	s_waitcnt lgkmcnt(0)
	s_cmpk_gt_u32 s7, 0xff
	s_cbranch_scc1 .LBB210_46
; %bb.1:
	s_load_dwordx2 s[2:3], s[4:5], 0x28
	s_waitcnt lgkmcnt(0)
	s_load_dword s3, s[2:3], 0x0
	s_lshl_b32 s2, s8, 3
	s_waitcnt lgkmcnt(0)
	s_cmp_gt_u32 s2, s3
	s_cbranch_scc1 .LBB210_46
; %bb.2:
	v_add_nc_u32_e32 v17, s2, v1
	v_mov_b32_e32 v18, 0
	s_lshl_b32 s6, s6, 7
	v_lshlrev_b64 v[2:3], 2, v[17:18]
	v_mov_b32_e32 v85, v18
	v_mov_b32_e32 v86, v18
	;; [unrolled: 1-line block ×3, first 2 shown]
	v_add_co_u32 v2, vcc_lo, s0, v2
	v_add_co_ci_u32_e64 v3, null, s1, v3, vcc_lo
	global_load_dword v39, v[2:3], off
	s_clause 0x1
	s_load_dwordx8 s[8:15], s[4:5], 0x30
	s_load_dwordx2 s[16:17], s[4:5], 0x10
	s_waitcnt lgkmcnt(0)
	s_cmpk_lt_i32 s9, 0x100
	s_cbranch_scc1 .LBB210_37
; %bb.3:
	s_load_dwordx4 s[0:3], s[4:5], 0x0
	s_ashr_i32 s4, s9, 31
	v_lshlrev_b32_e32 v21, 4, v1
	s_lshr_b32 s4, s4, 24
	v_lshrrev_b32_e32 v51, 1, v0
	s_ashr_i32 s5, s12, 31
	s_add_i32 s4, s9, s4
	s_lshr_b32 s5, s5, 27
	s_mul_i32 s15, s7, s8
	s_ashr_i32 s7, s4, 8
	s_add_i32 s4, s12, s5
	v_add_nc_u32_e32 v15, v51, v21
	s_mul_i32 s5, s7, s6
	s_ashr_i32 s18, s15, 31
	s_ashr_i32 s8, s4, 5
	s_mul_hi_i32 s4, s5, 0x6e
	s_mulk_i32 s5, 0x6e
	v_and_b32_e32 v15, 0x7f, v15
	v_lshrrev_b32_e32 v70, 3, v0
	v_and_b32_e32 v20, 15, v0
	s_waitcnt lgkmcnt(0)
	s_add_u32 s0, s0, s15
	s_addc_u32 s1, s1, s18
	s_add_u32 s12, s0, s5
	s_addc_u32 s15, s1, s4
	s_not_b32 s0, s6
	s_abs_i32 s1, s14
	s_add_i32 s0, s10, s0
	v_and_b32_e32 v59, 1, v0
	v_min_i32_e32 v22, s0, v15
	v_cvt_f32_u32_e32 v73, s1
	v_lshl_add_u32 v78, v1, 2, v70
	v_cmp_lt_u32_e32 vcc_lo, 7, v20
	v_lshlrev_b32_e32 v26, 2, v59
	v_ashrrev_i32_e32 v18, 31, v22
	v_and_b32_e32 v77, 3, v0
	v_rcp_iflag_f32_e32 v76, v73
	v_min_i32_e32 v79, s0, v78
	v_cndmask_b32_e64 v62, 0, 1, vcc_lo
	v_lshrrev_b32_e32 v18, 28, v18
	v_add_nc_u16 v74, v77, -2
	v_cmp_gt_u32_e32 vcc_lo, 2, v77
	v_ashrrev_i32_e32 v75, 31, v79
	v_mov_b32_e32 v81, 2
	v_add_nc_u32_e32 v18, v22, v18
	s_sub_i32 s4, 0, s1
	v_cndmask_b32_e32 v80, v74, v77, vcc_lo
	v_lshrrev_b32_e32 v82, 30, v75
	v_add_nc_u32_e32 v84, 0x60, v78
	v_ashrrev_i32_e32 v18, 4, v18
	v_add_nc_u32_e32 v2, 8, v1
	v_add_nc_u32_e32 v4, 16, v1
	v_add_nc_u32_e32 v7, 24, v1
	v_add_nc_u32_e32 v8, 32, v1
	v_lshlrev_b32_e32 v25, 2, v18
	v_min_i32_e32 v84, s0, v84
	v_lshlrev_b32_e32 v19, 2, v0
	v_min_i32_e32 v3, s0, v1
	v_add_nc_u32_e32 v9, 40, v1
	v_add3_u32 v25, v25, v26, 0x7380
	v_and_b32_e32 v26, 7, v0
	v_min_i32_e32 v5, s0, v2
	v_add_nc_u32_e32 v10, 48, v1
	s_waitcnt vmcnt(0)
	v_sub_nc_u32_e32 v87, 0, v39
	v_min_i32_e32 v6, s0, v4
	v_lshlrev_b32_e32 v63, 2, v26
	v_cmp_lt_u32_e32 vcc_lo, 3, v26
	v_mul_f32_e32 v26, 0x4f7ffffe, v76
	v_lshlrev_b32_sdwa v76, v81, v80 dst_sel:DWORD dst_unused:UNUSED_PAD src0_sel:DWORD src1_sel:BYTE_0
	v_add_nc_u32_e32 v80, v79, v82
	v_add_nc_u32_e32 v82, 64, v78
	;; [unrolled: 1-line block ×3, first 2 shown]
	v_cvt_u32_f32_e32 v26, v26
	v_min_i32_e32 v7, s0, v7
	v_and_b32_e32 v80, -4, v80
	v_min_i32_e32 v82, s0, v82
	v_add_nc_u32_e32 v12, 64, v1
	v_mul_lo_u32 v83, s4, v26
	v_min_i32_e32 v8, s0, v8
	v_add3_u32 v86, v80, v63, 0x6300
	v_ashrrev_i32_e32 v80, 31, v82
	v_add_nc_u32_e32 v13, 0x48, v1
	v_add_nc_u32_e32 v81, 32, v78
	v_mul_lo_u32 v78, v79, s7
	v_lshlrev_b32_e32 v108, 5, v79
	v_mul_hi_u32 v83, v26, v83
	v_lshrrev_b32_e32 v79, 30, v80
	v_ashrrev_i32_e32 v80, 31, v84
	v_mul_lo_u32 v43, v3, s7
	v_mad_u64_u32 v[2:3], null, 0x84, v3, v[19:20]
	v_min_i32_e32 v9, s0, v9
	v_add_nc_u32_e32 v14, 0x50, v1
	v_mad_u64_u32 v[3:4], null, 0x84, v5, v[19:20]
	v_min_i32_e32 v10, s0, v10
	v_add_nc_u32_e32 v16, 0x58, v1
	v_add_nc_u32_e32 v17, 0x60, v1
	v_max_i32_e32 v87, v39, v87
	v_add_nc_u32_e32 v26, v26, v83
	v_mul_lo_u32 v44, v5, s7
	v_mad_u64_u32 v[4:5], null, 0x84, v6, v[19:20]
	v_min_i32_e32 v11, s0, v11
	v_mul_lo_u32 v45, v6, s7
	v_mad_u64_u32 v[5:6], null, 0x84, v7, v[19:20]
	v_min_i32_e32 v12, s0, v12
	;; [unrolled: 3-line block ×3, first 2 shown]
	v_add_nc_u32_e32 v83, v82, v79
	v_lshrrev_b32_e32 v80, 30, v80
	v_mul_lo_u32 v47, v8, s7
	v_mad_u64_u32 v[7:8], null, 0x84, v9, v[19:20]
	v_min_i32_e32 v14, s0, v14
	v_mul_lo_u32 v48, v9, s7
	v_mad_u64_u32 v[8:9], null, 0x84, v10, v[19:20]
	v_min_i32_e32 v16, s0, v16
	v_min_i32_e32 v15, s0, v17
	v_add_nc_u32_e32 v17, 0x68, v1
	v_mul_hi_u32 v26, v87, v26
	v_lshrrev_b32_e32 v41, 4, v0
	v_mul_lo_u32 v49, v10, s7
	v_mad_u64_u32 v[9:10], null, 0x84, v11, v[19:20]
	v_mul_lo_u32 v50, v11, s7
	v_mad_u64_u32 v[10:11], null, 0x84, v12, v[19:20]
	;; [unrolled: 2-line block ×3, first 2 shown]
	v_and_b32_e32 v83, -4, v83
	v_add_nc_u32_e32 v88, v84, v80
	v_mul_lo_u32 v53, v13, s7
	v_mad_u64_u32 v[12:13], null, 0x84, v14, v[19:20]
	v_mul_lo_u32 v54, v14, s7
	v_mul_lo_u32 v55, v16, s7
	v_mad_u64_u32 v[13:14], null, 0x84, v16, v[19:20]
	v_min_i32_e32 v16, s0, v17
	v_add_nc_u32_e32 v17, 0x70, v1
	v_add_nc_u32_e32 v23, 0x78, v1
	v_lshl_add_u32 v24, v1, 1, v41
	v_min_i32_e32 v81, s0, v81
	v_add3_u32 v112, v83, v63, 0x6300
	v_and_b32_e32 v83, -4, v88
	v_mul_lo_u32 v88, v26, s1
	v_min_i32_e32 v17, s0, v17
	v_min_i32_e32 v23, s0, v23
	v_add_nc_u32_e32 v29, 32, v24
	v_ashrrev_i32_e32 v85, 31, v81
	v_mul_lo_u32 v56, v15, s7
	v_mad_u64_u32 v[14:15], null, 0x84, v15, v[19:20]
	v_mul_lo_u32 v57, v16, s7
	v_mad_u64_u32 v[15:16], null, 0x84, v16, v[19:20]
	;; [unrolled: 2-line block ×3, first 2 shown]
	v_lshlrev_b32_e32 v42, 2, v20
	v_min_i32_e32 v27, s0, v24
	v_add_nc_u32_e32 v28, 16, v24
	v_mad_u64_u32 v[17:18], null, 0x84, v23, v[19:20]
	v_min_i32_e32 v20, s0, v29
	v_add_nc_u32_e32 v29, 48, v24
	v_add_nc_u32_e32 v32, 64, v24
	;; [unrolled: 1-line block ×5, first 2 shown]
	v_lshrrev_b32_e32 v85, 30, v85
	v_sub_nc_u32_e32 v87, v87, v88
	v_mul_lo_u32 v60, v23, s7
	v_min_i32_e32 v23, s0, v28
	v_min_i32_e32 v29, s0, v29
	;; [unrolled: 1-line block ×6, first 2 shown]
	v_add_nc_u32_e32 v85, v81, v85
	v_mul_lo_u32 v79, v81, s7
	v_lshlrev_b32_e32 v110, 5, v81
	v_mul_lo_u32 v81, v84, s7
	v_add3_u32 v114, v83, v63, 0x6300
	v_lshlrev_b32_e32 v115, 5, v84
	v_add_nc_u32_e32 v84, 1, v26
	v_add_nc_u32_e32 v83, 0x7ba0, v21
	v_subrev_nc_u32_e32 v21, s1, v87
	v_cmp_le_u32_e64 s0, s1, v87
	v_and_b32_e32 v101, 28, v19
	v_lshrrev_b32_e32 v18, 31, v27
	v_lshrrev_b32_e32 v28, 31, v23
	;; [unrolled: 1-line block ×3, first 2 shown]
	v_cndmask_b32_e64 v26, v26, v84, s0
	v_cndmask_b32_e64 v21, v87, v21, s0
	v_add_nc_u32_e32 v84, v83, v19
	v_xor_b32_e32 v19, s14, v39
	v_add_lshl_u32 v18, v27, v18, 1
	v_add_nc_u32_e32 v87, 1, v26
	v_cmp_le_u32_e64 s0, s1, v21
	v_add_lshl_u32 v28, v23, v28, 1
	v_ashrrev_i32_e32 v19, 31, v19
	v_lshrrev_b32_e32 v31, 31, v29
	v_lshrrev_b32_e32 v34, 31, v32
	v_cndmask_b32_e64 v21, v26, v87, s0
	v_lshrrev_b32_e32 v36, 31, v33
	v_lshrrev_b32_e32 v37, 31, v35
	;; [unrolled: 1-line block ×3, first 2 shown]
	v_and_b32_e32 v18, -4, v18
	v_xor_b32_e32 v21, v21, v19
	v_and_b32_e32 v28, -4, v28
	v_add_lshl_u32 v30, v20, v30, 1
	v_add_lshl_u32 v31, v29, v31, 1
	;; [unrolled: 1-line block ×6, first 2 shown]
	v_add_nc_u32_e32 v96, 32, v0
	v_add_nc_u32_e32 v97, 64, v0
	;; [unrolled: 1-line block ×3, first 2 shown]
	v_sub_nc_u32_e32 v19, v21, v19
	v_mul_lo_u32 v61, v22, s7
	v_lshlrev_b32_e32 v22, 3, v22
	v_mul_lo_u32 v64, v27, s7
	v_add3_u32 v18, v18, v42, 0x4200
	v_lshlrev_b32_e32 v27, 6, v27
	v_mul_lo_u32 v65, v23, s7
	v_add3_u32 v28, v28, v42, 0x4200
	v_lshlrev_b32_e32 v23, 6, v23
	v_and_b32_e32 v30, -4, v30
	v_and_b32_e32 v31, -4, v31
	;; [unrolled: 1-line block ×7, first 2 shown]
	v_lshlrev_b32_e32 v26, 5, v0
	v_and_b32_e32 v21, 0x1fc, v98
	v_and_b32_e32 v88, 0x1fc, v97
	;; [unrolled: 1-line block ×4, first 2 shown]
	v_mul_lo_u32 v99, v19, s8
	v_mul_lo_u32 v66, v20, s7
	v_add3_u32 v30, v30, v42, 0x4200
	v_lshlrev_b32_e32 v20, 6, v20
	v_mul_lo_u32 v67, v29, s7
	v_add3_u32 v31, v31, v42, 0x4200
	v_lshlrev_b32_e32 v29, 6, v29
	;; [unrolled: 3-line block ×6, first 2 shown]
	v_lshlrev_b32_e32 v73, 1, v0
	v_add3_u32 v85, v85, v63, 0x6300
	v_mul_lo_u32 v80, v82, s7
	v_lshlrev_b32_e32 v113, 5, v82
	v_and_b32_e32 v82, 31, v0
	v_lshl_add_u32 v1, v1, 7, 0x77a0
	v_mul_u32_u24_e32 v102, 33, v0
	v_lshlrev_b32_e32 v116, 4, v0
	v_lshlrev_b32_e32 v117, 4, v96
	v_lshrrev_b32_e32 v118, 1, v96
	v_lshlrev_b32_e32 v119, 1, v96
	v_lshrrev_b32_e32 v120, 4, v96
	;; [unrolled: 2-line block ×3, first 2 shown]
	v_add_nc_u32_e32 v87, v26, v21
	v_add_nc_u32_e32 v88, v26, v88
	;; [unrolled: 1-line block ×4, first 2 shown]
	v_lshlrev_b32_e32 v21, 1, v97
	v_add_nc_u32_e32 v91, v25, v22
	v_lshrrev_b32_e32 v22, 4, v97
	v_add_nc_u32_e32 v92, v18, v27
	v_lshlrev_b32_e32 v18, 4, v98
	v_add_nc_u32_e32 v93, v28, v23
	v_lshrrev_b32_e32 v23, 1, v98
	v_lshlrev_b32_e32 v25, 1, v98
	v_lshrrev_b32_e32 v26, 4, v98
	v_cndmask_b32_e64 v74, 0, 1, vcc_lo
	v_cmp_gt_u32_e32 vcc_lo, 4, v0
	v_cmp_gt_i32_e64 s0, s11, v19
	v_add_co_u32 v19, s1, s2, v101
	v_mov_b32_e32 v40, 0
	v_and_b32_e32 v75, 4, v73
	v_lshlrev_b32_e32 v77, 1, v77
	v_lshl_add_u32 v82, v82, 2, v1
	v_add_nc_u32_e32 v94, v30, v20
	v_add_nc_u32_e32 v95, v31, v29
	v_lshrrev_b32_e32 v96, 3, v96
	v_lshrrev_b32_e32 v97, 3, v97
	;; [unrolled: 1-line block ×3, first 2 shown]
	v_add_nc_u32_e32 v100, v34, v32
	v_add_co_ci_u32_e64 v20, null, s3, 0, s1
	v_lshlrev_b32_e32 v101, 2, v102
	v_add_nc_u32_e32 v102, v36, v33
	v_ashrrev_i32_e32 v103, 31, v99
	v_add_nc_u32_e32 v104, v37, v35
	v_add_nc_u32_e32 v105, 0x6f00, v87
	;; [unrolled: 1-line block ×10, first 2 shown]
	v_lshlrev_b32_e32 v114, 2, v116
	v_lshlrev_b32_e32 v115, 2, v118
	;; [unrolled: 1-line block ×13, first 2 shown]
	v_mov_b32_e32 v86, 0
	v_mov_b32_e32 v85, 0
	v_mov_b32_e32 v18, 0
	s_mov_b32 s10, 0
	s_and_b32 s18, vcc_lo, s0
	s_branch .LBB210_5
.LBB210_4:                              ;   in Loop: Header=BB210_5 Depth=1
	s_add_i32 s10, s10, 2
	s_cmp_ge_i32 s10, s7
	s_cbranch_scc1 .LBB210_37
.LBB210_5:                              ; =>This Loop Header: Depth=1
                                        ;     Child Loop BB210_11 Depth 2
                                        ;     Child Loop BB210_19 Depth 2
	;; [unrolled: 1-line block ×4, first 2 shown]
	s_mul_i32 s1, s10, 0x6e
	s_mul_hi_u32 s5, s10, 0x6e
	s_add_u32 s4, s12, s1
	s_addc_u32 s5, s15, s5
	v_mad_u64_u32 v[21:22], null, 0x6e, v41, s[4:5]
	v_mad_i64_i32 v[23:24], null, 0x6e, v43, v[21:22]
	v_mad_i64_i32 v[25:26], null, 0x6e, v44, v[21:22]
	;; [unrolled: 1-line block ×4, first 2 shown]
	v_add_co_u32 v23, s1, v23, v42
	v_mad_i64_i32 v[31:32], null, 0x6e, v47, v[21:22]
	v_add_co_ci_u32_e64 v24, null, 0, v24, s1
	v_add_co_u32 v25, s1, v25, v42
	v_mad_i64_i32 v[33:34], null, 0x6e, v48, v[21:22]
	v_add_co_ci_u32_e64 v26, null, 0, v26, s1
	;; [unrolled: 3-line block ×4, first 2 shown]
	v_add_co_u32 v31, s1, v31, v42
	v_add_co_ci_u32_e64 v32, null, 0, v32, s1
	v_add_co_u32 v33, s1, v33, v42
	v_add_co_ci_u32_e64 v34, null, 0, v34, s1
	;; [unrolled: 2-line block ×3, first 2 shown]
	v_add_co_u32 v37, s1, v37, v42
	v_mad_i64_i32 v[127:128], null, 0x6e, v52, v[21:22]
	v_add_co_ci_u32_e64 v38, null, 0, v38, s1
	s_clause 0x7
	global_load_dword v135, v[23:24], off offset:32
	global_load_dword v136, v[25:26], off offset:32
	;; [unrolled: 1-line block ×8, first 2 shown]
	v_mad_i64_i32 v[23:24], null, 0x6e, v53, v[21:22]
	v_mad_i64_i32 v[27:28], null, 0x6e, v54, v[21:22]
	;; [unrolled: 1-line block ×3, first 2 shown]
	v_add_co_u32 v25, s1, v127, v42
	v_mad_i64_i32 v[31:32], null, 0x6e, v56, v[21:22]
	v_add_co_ci_u32_e64 v26, null, 0, v128, s1
	v_add_co_u32 v23, s1, v23, v42
	v_mad_i64_i32 v[33:34], null, 0x6e, v57, v[21:22]
	v_add_co_ci_u32_e64 v24, null, 0, v24, s1
	;; [unrolled: 3-line block ×4, first 2 shown]
	v_add_co_u32 v31, s1, v31, v42
	v_add_co_ci_u32_e64 v32, null, 0, v32, s1
	v_add_co_u32 v33, s1, v33, v42
	v_add_co_ci_u32_e64 v34, null, 0, v34, s1
	v_add_co_u32 v35, s1, v35, v42
	v_mad_u64_u32 v[37:38], null, 0x6e, v62, s[4:5]
	v_add_co_ci_u32_e64 v36, null, 0, v36, s1
	v_add_co_u32 v21, s1, v21, v42
	v_add_co_ci_u32_e64 v22, null, 0, v22, s1
	s_clause 0x7
	global_load_dword v143, v[25:26], off offset:32
	global_load_dword v144, v[23:24], off offset:32
	;; [unrolled: 1-line block ×8, first 2 shown]
	v_mad_u64_u32 v[31:32], null, 0x6e, v74, s[4:5]
	v_mad_i64_i32 v[127:128], null, 0x6e, v61, s[4:5]
	v_add_co_u32 v37, s1, v37, v63
	v_add_co_ci_u32_e64 v38, null, 0, v38, s1
	v_mad_i64_i32 v[129:130], null, 0x6e, v81, v[31:32]
	v_mad_i64_i32 v[133:134], null, 0x6e, v78, v[31:32]
	;; [unrolled: 1-line block ×3, first 2 shown]
	v_mad_u64_u32 v[21:22], null, 0x6e, v59, v[127:128]
	v_mad_i64_i32 v[31:32], null, 0x6e, v79, v[31:32]
	v_mad_i64_i32 v[23:24], null, 0x6e, v64, v[37:38]
	;; [unrolled: 1-line block ×9, first 2 shown]
	s_clause 0x9
	global_load_dword v151, v[129:130], off offset:104
	global_load_dword v152, v[131:132], off offset:104
	global_load_ushort v153, v[21:22], off offset:108
	global_load_dword v154, v[23:24], off
	global_load_dword v155, v[25:26], off
	;; [unrolled: 1-line block ×7, first 2 shown]
	v_add_co_u32 v21, s1, v133, v76
	v_add_co_ci_u32_e64 v22, null, 0, v134, s1
	v_add_co_u32 v23, s1, v31, v76
	v_add_co_ci_u32_e64 v24, null, 0, v32, s1
	;; [unrolled: 2-line block ×4, first 2 shown]
	s_clause 0x6
	global_load_dword v35, v[37:38], off
	global_load_dword v21, v[21:22], off offset:96
	global_load_dword v22, v[31:32], off offset:104
	;; [unrolled: 1-line block ×6, first 2 shown]
	s_lshl_b32 s4, s10, 8
	s_cmp_lt_i32 s4, s9
	s_waitcnt vmcnt(16)
	v_ashrrev_i32_e32 v31, v77, v151
	s_waitcnt vmcnt(15)
	v_ashrrev_i32_e32 v28, v77, v152
	s_waitcnt vmcnt(14)
	v_cvt_f32_f16_e32 v27, v153
	ds_write_b32 v2, v135
	ds_write_b32 v3, v136
	;; [unrolled: 1-line block ×17, first 2 shown]
	s_waitcnt vmcnt(13)
	v_not_b32_e32 v27, v154
	v_lshlrev_b32_e32 v31, 4, v31
	v_lshlrev_b32_e32 v28, 4, v28
	s_waitcnt vmcnt(12)
	v_not_b32_e32 v32, v155
	s_waitcnt vmcnt(11)
	v_not_b32_e32 v36, v156
	;; [unrolled: 2-line block ×5, first 2 shown]
	ds_write_b32 v92, v27
	ds_write_b32 v93, v32
	;; [unrolled: 1-line block ×5, first 2 shown]
	s_waitcnt vmcnt(7)
	v_not_b32_e32 v34, v34
	ds_write_b32 v102, v33
	ds_write_b32 v104, v34
	s_waitcnt vmcnt(6)
	v_not_b32_e32 v35, v35
	s_waitcnt vmcnt(5)
	v_ashrrev_i32_e32 v21, v75, v21
	s_waitcnt vmcnt(4)
	v_ashrrev_i32_e32 v22, v77, v22
	;; [unrolled: 2-line block ×6, first 2 shown]
	v_and_b32_e32 v21, 0xf0f0f0f, v21
	v_lshlrev_b32_e32 v22, 4, v22
	v_and_b32_e32 v23, 0xf0f0f0f, v23
	v_lshlrev_b32_e32 v24, 4, v24
	v_and_b32_e32 v25, 0xf0f0f0f, v25
	v_and_b32_e32 v26, 0xf0f0f0f, v26
	v_and_or_b32 v22, 0x30303030, v22, v23
	v_and_or_b32 v21, 0x30303030, v24, v21
	;; [unrolled: 1-line block ×4, first 2 shown]
	v_lshrrev_b32_e32 v27, 16, v22
	v_lshrrev_b32_e32 v25, 16, v21
	v_and_b32_e32 v26, 0x3f00, v21
	v_lshlrev_b16 v21, 8, v21
	v_lshrrev_b32_e32 v29, 16, v23
	v_and_b32_e32 v28, 0x3f00, v22
	v_lshlrev_b16 v22, 8, v22
	;; [unrolled: 3-line block ×3, first 2 shown]
	v_add_nc_u16 v21, 0xe000, v21
	v_and_b32_e32 v36, 0x3f00, v27
	v_lshlrev_b16 v27, 8, v27
	v_and_b32_e32 v37, 0x3f00, v29
	v_lshlrev_b16 v29, 8, v29
	v_add_nc_u16 v22, 0xe000, v22
	v_and_b32_e32 v38, 0x3f00, v31
	v_lshlrev_b16 v31, 8, v31
	v_add_nc_u16 v25, 0xe000, v25
	v_or_b32_sdwa v21, v26, v21 dst_sel:DWORD dst_unused:UNUSED_PAD src0_sel:DWORD src1_sel:BYTE_1
	v_add_nc_u16 v26, 0xe000, v27
	v_and_b32_e32 v30, 0x3f00, v23
	v_lshlrev_b16 v23, 8, v23
	v_add_nc_u16 v27, 0xe000, v29
	v_and_b32_e32 v32, 0x3f00, v24
	v_lshlrev_b16 v24, 8, v24
	v_or_b32_sdwa v22, v28, v22 dst_sel:DWORD dst_unused:UNUSED_PAD src0_sel:DWORD src1_sel:BYTE_1
	v_add_nc_u16 v28, 0xe000, v31
	v_or_b32_sdwa v25, v33, v25 dst_sel:DWORD dst_unused:UNUSED_PAD src0_sel:DWORD src1_sel:BYTE_1
	v_or_b32_sdwa v26, v36, v26 dst_sel:DWORD dst_unused:UNUSED_PAD src0_sel:DWORD src1_sel:BYTE_1
	v_add_nc_u16 v23, 0xe000, v23
	v_or_b32_sdwa v27, v37, v27 dst_sel:DWORD dst_unused:UNUSED_PAD src0_sel:DWORD src1_sel:BYTE_1
	v_add_nc_u16 v24, 0xe000, v24
	;; [unrolled: 2-line block ×3, first 2 shown]
	v_add_nc_u16 v26, 0xe000, v26
	v_or_b32_sdwa v23, v30, v23 dst_sel:DWORD dst_unused:UNUSED_PAD src0_sel:DWORD src1_sel:BYTE_1
	v_add_nc_u16 v27, 0xe000, v27
	v_or_b32_sdwa v24, v32, v24 dst_sel:DWORD dst_unused:UNUSED_PAD src0_sel:DWORD src1_sel:BYTE_1
	v_add_nc_u16 v28, 0xe000, v28
	v_add_nc_u16 v21, 0xe000, v21
	v_lshlrev_b32_e32 v25, 16, v25
	v_add_nc_u16 v22, 0xe000, v22
	v_lshlrev_b32_e32 v26, 16, v26
	;; [unrolled: 2-line block ×4, first 2 shown]
	v_or_b32_sdwa v21, v21, v25 dst_sel:DWORD dst_unused:UNUSED_PAD src0_sel:WORD_0 src1_sel:DWORD
	v_or_b32_sdwa v22, v22, v26 dst_sel:DWORD dst_unused:UNUSED_PAD src0_sel:WORD_0 src1_sel:DWORD
	;; [unrolled: 1-line block ×4, first 2 shown]
	ds_write_b32 v106, v35
	ds_write_b32 v108, v21
	;; [unrolled: 1-line block ×5, first 2 shown]
	s_cbranch_scc0 .LBB210_4
; %bb.6:                                ;   in Loop: Header=BB210_5 Depth=1
	s_lshl_b32 s5, s10, 3
	v_add_nc_u32_e32 v21, s5, v70
	v_cmp_gt_i32_e64 s1, s8, v21
	s_and_b32 s19, s0, s1
	s_and_saveexec_b32 s1, s19
	s_cbranch_execz .LBB210_8
; %bb.7:                                ;   in Loop: Header=BB210_5 Depth=1
	v_add_nc_u32_e32 v21, v99, v21
	v_mad_i64_i32 v[21:22], null, v21, 36, v[19:20]
	global_load_dword v21, v[21:22], off offset:4
	s_waitcnt vmcnt(0)
	ds_write_b32 v82, v21
.LBB210_8:                              ;   in Loop: Header=BB210_5 Depth=1
	s_or_b32 exec_lo, exec_lo, s1
	v_add_nc_u32_e32 v130, s5, v0
	v_cmp_gt_i32_e64 s1, s8, v130
	s_and_b32 s19, s18, s1
	s_and_saveexec_b32 s1, s19
	s_cbranch_execz .LBB210_10
; %bb.9:                                ;   in Loop: Header=BB210_5 Depth=1
	v_add_nc_u32_e32 v21, v99, v130
	v_mad_i64_i32 v[21:22], null, v21, 36, s[2:3]
	global_load_dword v21, v[21:22], off
	s_waitcnt vmcnt(0)
	v_cvt_f32_f16_e32 v21, v21
	ds_write_b32 v84, v21
.LBB210_10:                             ;   in Loop: Header=BB210_5 Depth=1
	s_or_b32 exec_lo, exec_lo, s1
	v_mov_b32_e32 v21, v83
	v_mov_b32_e32 v22, v1
	s_mov_b32 s21, -2
	s_mov_b32 s1, 0
	s_mov_b32 s19, 0
	s_waitcnt lgkmcnt(0)
	s_barrier
	buffer_gl0_inv
.LBB210_11:                             ;   Parent Loop BB210_5 Depth=1
                                        ; =>  This Inner Loop Header: Depth=2
	s_add_i32 s20, s21, 2
	s_and_b32 s23, s19, -16
	s_and_b32 s24, s20, 0x3ffffff8
	s_lshr_b32 s22, s20, 4
	v_lshlrev_b32_e32 v127, 2, v51
	v_lshl_add_u32 v23, s24, 2, v101
	s_add_i32 s21, s21, s23
	s_lshl_b32 s23, s22, 5
	s_lshl_b32 s22, s22, 2
	s_addk_i32 s23, 0x4200
	ds_read2_b32 v[29:30], v23 offset0:4 offset1:5
	ds_read2_b32 v[31:32], v23 offset0:6 offset1:7
	v_add3_u32 v27, s23, v127, v114
	v_add3_u32 v26, s23, v115, v116
	s_addk_i32 s22, 0x7380
	v_add3_u32 v25, s23, v123, v124
	v_add_nc_u32_e32 v24, s21, v109
	v_add_nc_u32_e32 v28, 0x1090, v23
	;; [unrolled: 1-line block ×5, first 2 shown]
	v_add3_u32 v143, s22, v117, v118
	ds_read2_b32 v[33:34], v27 offset0:4 offset1:5
	ds_read2_b32 v[35:36], v27 offset0:6 offset1:7
	;; [unrolled: 1-line block ×4, first 2 shown]
	ds_read2_b32 v[131:132], v28 offset1:1
	ds_read2_b32 v[133:134], v26 offset0:6 offset1:7
	ds_read2_b32 v[135:136], v135 offset1:1
	ds_read2_b32 v[137:138], v137 offset1:1
	;; [unrolled: 1-line block ×3, first 2 shown]
	ds_read2_b32 v[141:142], v25 offset0:6 offset1:7
	ds_read_u16 v28, v24 offset:2
	ds_read_b32 v24, v143
	s_add_i32 s19, s19, 2
	s_waitcnt lgkmcnt(13)
	v_ashrrev_i32_e32 v143, s20, v29
	s_waitcnt lgkmcnt(11)
	v_ashrrev_i32_e32 v147, s1, v33
	v_ashrrev_i32_e32 v148, s1, v34
	;; [unrolled: 1-line block ×3, first 2 shown]
	s_waitcnt lgkmcnt(10)
	v_ashrrev_i32_e32 v149, s1, v35
	v_and_b32_e32 v154, 0x3030303, v143
	v_lshlrev_b32_e32 v147, 2, v147
	v_bfe_u32 v143, v143, 24, 2
	v_lshlrev_b32_e32 v148, 2, v148
	v_ashrrev_i32_e32 v145, s20, v31
	v_lshrrev_b16 v155, 8, v154
	v_and_b32_e32 v147, 0x4040404, v147
	v_lshlrev_b32_e32 v149, 2, v149
	v_and_b32_e32 v148, 0x4040404, v148
	v_add3_u32 v31, s23, v119, v120
	v_ashrrev_i32_e32 v36, s1, v36
	v_lshrrev_b16 v156, 8, v147
	v_and_b32_e32 v149, 0x4040404, v149
	v_lshrrev_b16 v158, 8, v148
	ds_read2_b32 v[29:30], v31 offset0:4 offset1:5
	v_ashrrev_i32_e32 v146, s20, v32
	v_sub_nc_u16 v155, v155, v156
	v_lshrrev_b32_e32 v156, 24, v147
	v_lshrrev_b16 v160, 8, v149
	v_lshlrev_b32_e32 v36, 2, v36
	s_waitcnt lgkmcnt(10)
	v_ashrrev_i32_e32 v37, s1, v37
	s_waitcnt lgkmcnt(8)
	v_ashrrev_i32_e32 v131, s20, v131
	v_sub_nc_u16 v143, v143, v156
	v_lshrrev_b32_e32 v156, 16, v154
	v_sub_nc_u16 v154, v154, v147
	v_lshrrev_b32_e32 v147, 16, v147
	v_and_b32_e32 v36, 0x4040404, v36
	v_lshlrev_b32_e32 v37, 2, v37
	v_ashrrev_i32_e32 v38, s1, v38
	v_add_nc_u32_e32 v32, 0x3190, v23
	v_sub_nc_u16 v147, v156, v147
	v_and_b32_e32 v156, 0x3030303, v144
	v_bfe_u32 v144, v144, 24, 2
	v_lshrrev_b16 v162, 8, v36
	s_waitcnt lgkmcnt(0)
	v_ashrrev_i32_e32 v150, s1, v29
	v_ashrrev_i32_e32 v151, s1, v30
	v_lshrrev_b16 v157, 8, v156
	ds_read2_b32 v[29:30], v31 offset0:6 offset1:7
	v_and_b32_e32 v37, 0x4040404, v37
	v_add_nc_u32_e32 v34, 0x3198, v23
	v_ashrrev_i32_e32 v132, s20, v132
	v_sub_nc_u16 v157, v157, v158
	v_lshrrev_b32_e32 v158, 24, v148
	v_lshrrev_b16 v164, 8, v37
	v_lshlrev_b32_e32 v38, 2, v38
	v_ashrrev_i32_e32 v128, s1, v128
	v_ashrrev_i32_e32 v129, s1, v129
	v_sub_nc_u16 v144, v144, v158
	v_lshrrev_b32_e32 v158, 16, v156
	v_sub_nc_u16 v156, v156, v148
	v_lshrrev_b32_e32 v148, 16, v148
	v_and_b32_e32 v38, 0x4040404, v38
	v_lshlrev_b32_e32 v128, 2, v128
	v_lshlrev_b32_e32 v129, 2, v129
	v_ashrrev_i32_e32 v133, s1, v133
	v_sub_nc_u16 v148, v158, v148
	v_and_b32_e32 v158, 0x3030303, v145
	v_bfe_u32 v145, v145, 24, 2
	s_waitcnt lgkmcnt(0)
	v_ashrrev_i32_e32 v152, s1, v29
	v_add_nc_u32_e32 v29, s21, v105
	v_ashrrev_i32_e32 v153, s1, v30
	v_lshrrev_b16 v159, 8, v158
	v_lshrrev_b16 v166, 8, v38
	v_and_b32_e32 v128, 0x4040404, v128
	ds_read_u16 v30, v29 offset:2
	v_add3_u32 v29, s22, v125, v126
	v_sub_nc_u16 v159, v159, v160
	v_lshrrev_b32_e32 v160, 24, v149
	v_lshrrev_b16 v168, 8, v128
	v_and_b32_e32 v129, 0x4040404, v129
	ds_read_b32 v29, v29
	ds_read2_b32 v[32:33], v32 offset1:1
	ds_read2_b32 v[34:35], v34 offset1:1
	v_sub_nc_u16 v145, v145, v160
	v_lshrrev_b32_e32 v160, 16, v158
	v_sub_nc_u16 v158, v158, v149
	v_lshrrev_b32_e32 v149, 16, v149
	v_lshrrev_b16 v170, 8, v129
	v_ashrrev_i32_e32 v135, s20, v135
	v_lshlrev_b32_e32 v133, 2, v133
	v_ashrrev_i32_e32 v134, s1, v134
	v_sub_nc_u16 v149, v160, v149
	v_and_b32_e32 v160, 0x3030303, v146
	v_bfe_u32 v146, v146, 24, 2
	v_and_b32_e32 v133, 0x4040404, v133
	v_ashrrev_i32_e32 v136, s20, v136
	v_lshlrev_b32_e32 v134, 2, v134
	v_lshrrev_b16 v161, 8, v160
	v_ashrrev_i32_e32 v137, s20, v137
	v_lshrrev_b16 v172, 8, v133
	v_lshlrev_b32_e32 v150, 2, v150
	s_waitcnt lgkmcnt(1)
	v_ashrrev_i32_e32 v32, s20, v32
	v_sub_nc_u16 v161, v161, v162
	v_lshrrev_b32_e32 v162, 24, v36
	v_ashrrev_i32_e32 v33, s20, v33
	v_and_b32_e32 v134, 0x4040404, v134
	v_and_b32_e32 v150, 0x4040404, v150
	v_ashrrev_i32_e32 v138, s20, v138
	v_sub_nc_u16 v146, v146, v162
	v_lshrrev_b32_e32 v162, 16, v160
	v_sub_nc_u16 v160, v160, v36
	v_lshrrev_b32_e32 v36, 16, v36
	v_lshrrev_b16 v174, 8, v134
	v_lshrrev_b16 v176, 8, v150
	v_lshlrev_b32_e32 v151, 2, v151
	v_ashrrev_i32_e32 v139, s20, v139
	v_sub_nc_u16 v36, v162, v36
	v_and_b32_e32 v162, 0x3030303, v131
	v_bfe_u32 v131, v131, 24, 2
	v_and_b32_e32 v151, 0x4040404, v151
	v_lshlrev_b32_e32 v152, 2, v152
	v_ashrrev_i32_e32 v140, s20, v140
	v_lshrrev_b16 v163, 8, v162
	v_lshlrev_b32_e32 v153, 2, v153
	v_lshrrev_b16 v178, 8, v151
	v_and_b32_e32 v152, 0x4040404, v152
	v_ashrrev_i32_e32 v141, s1, v141
	v_sub_nc_u16 v163, v163, v164
	v_lshrrev_b32_e32 v164, 24, v37
	v_and_b32_e32 v153, 0x4040404, v153
	v_lshrrev_b16 v180, 8, v152
	s_waitcnt lgkmcnt(0)
	v_ashrrev_i32_e32 v34, s20, v34
	v_lshlrev_b32_e32 v141, 2, v141
	v_sub_nc_u16 v131, v131, v164
	v_lshrrev_b32_e32 v164, 16, v162
	v_sub_nc_u16 v162, v162, v37
	v_lshrrev_b32_e32 v37, 16, v37
	v_lshrrev_b16 v182, 8, v153
	v_and_b32_e32 v141, 0x4040404, v141
	v_ashrrev_i32_e32 v142, s1, v142
	v_ashrrev_i32_e32 v35, s20, v35
	v_sub_nc_u16 v37, v164, v37
	v_and_b32_e32 v164, 0x3030303, v132
	v_bfe_u32 v132, v132, 24, 2
	v_lshrrev_b16 v184, 8, v141
	v_lshlrev_b32_e32 v142, 2, v142
	v_lshlrev_b16 v143, 8, v143
	v_lshrrev_b16 v165, 8, v164
	v_lshlrev_b16 v145, 8, v145
	v_lshlrev_b16 v146, 8, v146
	v_and_b32_e32 v142, 0x4040404, v142
	v_lshlrev_b16 v131, 8, v131
	v_sub_nc_u16 v165, v165, v166
	v_lshrrev_b32_e32 v166, 24, v38
	v_lshlrev_b16 v155, 8, v155
	v_lshrrev_b16 v186, 8, v142
	v_or_b32_sdwa v143, v147, v143 dst_sel:WORD_1 dst_unused:UNUSED_PAD src0_sel:BYTE_0 src1_sel:DWORD
	v_lshlrev_b16 v147, 8, v157
	v_sub_nc_u16 v132, v132, v166
	v_lshrrev_b32_e32 v166, 16, v164
	v_sub_nc_u16 v164, v164, v38
	v_lshrrev_b32_e32 v38, 16, v38
	v_lshlrev_b16 v144, 8, v144
	v_lshlrev_b16 v132, 8, v132
	v_or_b32_sdwa v145, v149, v145 dst_sel:WORD_1 dst_unused:UNUSED_PAD src0_sel:BYTE_0 src1_sel:DWORD
	v_lshlrev_b16 v149, 8, v161
	v_sub_nc_u16 v38, v166, v38
	v_and_b32_e32 v166, 0x3030303, v32
	v_bfe_u32 v32, v32, 24, 2
	v_or_b32_sdwa v36, v36, v146 dst_sel:WORD_1 dst_unused:UNUSED_PAD src0_sel:BYTE_0 src1_sel:DWORD
	v_lshlrev_b16 v146, 8, v163
	v_or_b32_sdwa v37, v37, v131 dst_sel:WORD_1 dst_unused:UNUSED_PAD src0_sel:BYTE_0 src1_sel:DWORD
	v_lshrrev_b16 v167, 8, v166
	v_lshlrev_b16 v131, 8, v165
	v_or_b32_sdwa v38, v38, v132 dst_sel:WORD_1 dst_unused:UNUSED_PAD src0_sel:BYTE_0 src1_sel:DWORD
	v_or_b32_sdwa v154, v154, v155 dst_sel:DWORD dst_unused:UNUSED_PAD src0_sel:BYTE_0 src1_sel:DWORD
	v_or_b32_sdwa v147, v156, v147 dst_sel:DWORD dst_unused:UNUSED_PAD src0_sel:BYTE_0 src1_sel:DWORD
	v_sub_nc_u16 v167, v167, v168
	v_lshrrev_b32_e32 v168, 24, v128
	v_or_b32_sdwa v144, v148, v144 dst_sel:WORD_1 dst_unused:UNUSED_PAD src0_sel:BYTE_0 src1_sel:DWORD
	v_or_b32_sdwa v149, v160, v149 dst_sel:DWORD dst_unused:UNUSED_PAD src0_sel:BYTE_0 src1_sel:DWORD
	v_or_b32_sdwa v146, v162, v146 dst_sel:DWORD dst_unused:UNUSED_PAD src0_sel:BYTE_0 src1_sel:DWORD
	v_lshlrev_b16 v132, 8, v167
	v_sub_nc_u16 v32, v32, v168
	v_lshrrev_b32_e32 v168, 16, v166
	v_sub_nc_u16 v166, v166, v128
	v_lshrrev_b32_e32 v128, 16, v128
	v_or_b32_sdwa v131, v164, v131 dst_sel:DWORD dst_unused:UNUSED_PAD src0_sel:BYTE_0 src1_sel:DWORD
	v_lshlrev_b16 v32, 8, v32
	v_or_b32_sdwa v144, v147, v144 dst_sel:DWORD dst_unused:UNUSED_PAD src0_sel:WORD_0 src1_sel:DWORD
	v_or_b32_sdwa v132, v166, v132 dst_sel:DWORD dst_unused:UNUSED_PAD src0_sel:BYTE_0 src1_sel:DWORD
	v_sub_nc_u16 v128, v168, v128
	v_and_b32_e32 v168, 0x3030303, v33
	v_bfe_u32 v33, v33, 24, 2
	v_or_b32_sdwa v147, v149, v36 dst_sel:DWORD dst_unused:UNUSED_PAD src0_sel:WORD_0 src1_sel:DWORD
	v_or_b32_sdwa v36, v146, v37 dst_sel:DWORD dst_unused:UNUSED_PAD src0_sel:WORD_0 src1_sel:DWORD
	v_or_b32_sdwa v32, v128, v32 dst_sel:WORD_1 dst_unused:UNUSED_PAD src0_sel:BYTE_0 src1_sel:DWORD
	v_lshrrev_b16 v169, 8, v168
	v_or_b32_sdwa v37, v131, v38 dst_sel:DWORD dst_unused:UNUSED_PAD src0_sel:WORD_0 src1_sel:DWORD
	v_lshlrev_b16 v148, 8, v159
	v_or_b32_sdwa v143, v154, v143 dst_sel:DWORD dst_unused:UNUSED_PAD src0_sel:WORD_0 src1_sel:DWORD
	v_or_b32_sdwa v38, v132, v32 dst_sel:DWORD dst_unused:UNUSED_PAD src0_sel:WORD_0 src1_sel:DWORD
	v_sub_nc_u16 v169, v169, v170
	v_lshrrev_b32_e32 v170, 24, v129
	v_or_b32_sdwa v148, v158, v148 dst_sel:DWORD dst_unused:UNUSED_PAD src0_sel:BYTE_0 src1_sel:DWORD
	v_lshlrev_b16 v128, 8, v169
	v_sub_nc_u16 v33, v33, v170
	v_lshrrev_b32_e32 v170, 16, v168
	v_sub_nc_u16 v168, v168, v129
	v_lshrrev_b32_e32 v129, 16, v129
	v_or_b32_sdwa v145, v148, v145 dst_sel:DWORD dst_unused:UNUSED_PAD src0_sel:WORD_0 src1_sel:DWORD
	v_lshlrev_b16 v33, 8, v33
	v_or_b32_sdwa v128, v168, v128 dst_sel:DWORD dst_unused:UNUSED_PAD src0_sel:BYTE_0 src1_sel:DWORD
	v_sub_nc_u16 v129, v170, v129
	v_and_b32_e32 v170, 0x3030303, v135
	v_bfe_u32 v135, v135, 24, 2
	v_or_b32_sdwa v33, v129, v33 dst_sel:WORD_1 dst_unused:UNUSED_PAD src0_sel:BYTE_0 src1_sel:DWORD
	v_lshrrev_b16 v171, 8, v170
	v_or_b32_sdwa v131, v128, v33 dst_sel:DWORD dst_unused:UNUSED_PAD src0_sel:WORD_0 src1_sel:DWORD
	v_sub_nc_u16 v171, v171, v172
	v_lshrrev_b32_e32 v172, 24, v133
	v_lshlrev_b32_e32 v128, 2, v41
	v_lshlrev_b16 v129, 8, v171
	v_sub_nc_u16 v135, v135, v172
	v_lshrrev_b32_e32 v172, 16, v170
	v_sub_nc_u16 v170, v170, v133
	v_lshrrev_b32_e32 v133, 16, v133
	v_lshlrev_b16 v135, 8, v135
	v_or_b32_sdwa v129, v170, v129 dst_sel:DWORD dst_unused:UNUSED_PAD src0_sel:BYTE_0 src1_sel:DWORD
	v_sub_nc_u16 v133, v172, v133
	v_and_b32_e32 v172, 0x3030303, v136
	v_bfe_u32 v136, v136, 24, 2
	v_or_b32_sdwa v133, v133, v135 dst_sel:WORD_1 dst_unused:UNUSED_PAD src0_sel:BYTE_0 src1_sel:DWORD
	v_lshrrev_b16 v173, 8, v172
	v_or_b32_sdwa v132, v129, v133 dst_sel:DWORD dst_unused:UNUSED_PAD src0_sel:WORD_0 src1_sel:DWORD
	v_sub_nc_u16 v173, v173, v174
	v_lshrrev_b32_e32 v174, 24, v134
	v_lshlrev_b16 v135, 8, v173
	v_sub_nc_u16 v136, v136, v174
	v_lshrrev_b32_e32 v174, 16, v172
	v_sub_nc_u16 v172, v172, v134
	v_lshrrev_b32_e32 v134, 16, v134
	v_lshlrev_b16 v136, 8, v136
	v_or_b32_sdwa v135, v172, v135 dst_sel:DWORD dst_unused:UNUSED_PAD src0_sel:BYTE_0 src1_sel:DWORD
	v_sub_nc_u16 v134, v174, v134
	v_and_b32_e32 v174, 0x3030303, v137
	v_bfe_u32 v137, v137, 24, 2
	v_or_b32_sdwa v134, v134, v136 dst_sel:WORD_1 dst_unused:UNUSED_PAD src0_sel:BYTE_0 src1_sel:DWORD
	v_lshrrev_b16 v175, 8, v174
	v_or_b32_sdwa v135, v135, v134 dst_sel:DWORD dst_unused:UNUSED_PAD src0_sel:WORD_0 src1_sel:DWORD
	v_sub_nc_u16 v175, v175, v176
	v_lshrrev_b32_e32 v176, 24, v150
	;; [unrolled: 15-line block ×5, first 2 shown]
	v_mov_b32_e32 v139, 0
	v_lshlrev_b16 v152, 8, v181
	v_sub_nc_u16 v140, v140, v182
	v_lshrrev_b32_e32 v182, 16, v180
	v_sub_nc_u16 v180, v180, v153
	v_lshrrev_b32_e32 v153, 16, v153
	v_lshlrev_b16 v140, 8, v140
	v_or_b32_sdwa v152, v180, v152 dst_sel:DWORD dst_unused:UNUSED_PAD src0_sel:BYTE_0 src1_sel:DWORD
	v_sub_nc_u16 v153, v182, v153
	v_and_b32_e32 v182, 0x3030303, v34
	v_bfe_u32 v34, v34, 24, 2
	v_or_b32_sdwa v140, v153, v140 dst_sel:WORD_1 dst_unused:UNUSED_PAD src0_sel:BYTE_0 src1_sel:DWORD
	v_lshrrev_b16 v183, 8, v182
	v_or_b32_sdwa v137, v152, v140 dst_sel:DWORD dst_unused:UNUSED_PAD src0_sel:WORD_0 src1_sel:DWORD
	v_sub_nc_u16 v183, v183, v184
	v_lshrrev_b32_e32 v184, 24, v141
	v_mov_b32_e32 v140, 0
	v_lshlrev_b16 v153, 8, v183
	v_sub_nc_u16 v34, v34, v184
	v_lshrrev_b32_e32 v184, 16, v182
	v_sub_nc_u16 v182, v182, v141
	v_lshrrev_b32_e32 v141, 16, v141
	v_lshlrev_b16 v34, 8, v34
	v_or_b32_sdwa v153, v182, v153 dst_sel:DWORD dst_unused:UNUSED_PAD src0_sel:BYTE_0 src1_sel:DWORD
	v_sub_nc_u16 v141, v184, v141
	v_and_b32_e32 v184, 0x3030303, v35
	v_bfe_u32 v35, v35, 24, 2
	v_or_b32_sdwa v141, v141, v34 dst_sel:WORD_1 dst_unused:UNUSED_PAD src0_sel:BYTE_0 src1_sel:DWORD
	v_lshrrev_b16 v185, 8, v184
	v_or_b32_sdwa v136, v153, v141 dst_sel:DWORD dst_unused:UNUSED_PAD src0_sel:WORD_0 src1_sel:DWORD
	v_sub_nc_u16 v185, v185, v186
	v_lshrrev_b32_e32 v186, 24, v142
	v_mov_b32_e32 v141, 0
	v_lshlrev_b16 v34, 8, v185
	v_sub_nc_u16 v35, v35, v186
	v_lshrrev_b32_e32 v186, 16, v184
	v_sub_nc_u16 v184, v184, v142
	v_lshrrev_b32_e32 v142, 16, v142
	v_or_b32_sdwa v155, v184, v34 dst_sel:DWORD dst_unused:UNUSED_PAD src0_sel:BYTE_0 src1_sel:DWORD
	v_sub_nc_u16 v142, v186, v142
	v_lshlrev_b16 v34, 8, v35
	v_or_b32_sdwa v142, v142, v34 dst_sel:WORD_1 dst_unused:UNUSED_PAD src0_sel:BYTE_0 src1_sel:DWORD
	ds_read_b128 v[32:35], v22 offset:16
	v_or_b32_sdwa v138, v155, v142 dst_sel:DWORD dst_unused:UNUSED_PAD src0_sel:WORD_0 src1_sel:DWORD
	v_mov_b32_e32 v142, 0
	s_waitcnt lgkmcnt(0)
	v_dot4c_i32_i8 v139, v143, v32
	v_dot4c_i32_i8 v140, v36, v32
	;; [unrolled: 1-line block ×4, first 2 shown]
	v_lshlrev_b32_e32 v129, 2, v73
	v_dot4c_i32_i8 v139, v144, v33
	v_dot4c_i32_i8 v140, v37, v33
	;; [unrolled: 1-line block ×4, first 2 shown]
	v_add_nc_u32_e32 v143, 0x1080, v23
	v_dot4c_i32_i8 v139, v145, v34
	v_dot4c_i32_i8 v140, v132, v34
	;; [unrolled: 1-line block ×4, first 2 shown]
	v_add3_u32 v38, s22, v128, v129
	ds_read2_b32 v[36:37], v23 offset1:1
	ds_read2_b32 v[32:33], v23 offset0:2 offset1:3
	ds_read2_b32 v[131:132], v27 offset1:1
	v_dot4c_i32_i8 v139, v147, v35
	ds_read2_b32 v[133:134], v27 offset0:2 offset1:3
	v_dot4c_i32_i8 v140, v135, v35
	v_dot4c_i32_i8 v141, v138, v35
	ds_read2_b32 v[135:136], v26 offset0:2 offset1:3
	v_dot4c_i32_i8 v142, v137, v35
	ds_read2_b32 v[34:35], v25 offset0:2 offset1:3
	ds_read2_b32 v[137:138], v143 offset1:1
	ds_read2_b32 v[26:27], v26 offset1:1
	ds_read_b32 v38, v38
	s_waitcnt lgkmcnt(8)
	v_ashrrev_i32_e32 v36, s20, v36
	s_waitcnt lgkmcnt(7)
	v_ashrrev_i32_e32 v143, s20, v32
	v_ashrrev_i32_e32 v144, s20, v33
	s_waitcnt lgkmcnt(6)
	v_ashrrev_i32_e32 v131, s1, v131
	v_ashrrev_i32_e32 v132, s1, v132
	;; [unrolled: 1-line block ×3, first 2 shown]
	s_waitcnt lgkmcnt(3)
	v_ashrrev_i32_e32 v145, s1, v34
	v_ashrrev_i32_e32 v146, s1, v35
	s_waitcnt lgkmcnt(1)
	v_ashrrev_i32_e32 v147, s1, v26
	v_add_nc_u32_e32 v26, 0x1088, v23
	v_ashrrev_i32_e32 v148, s1, v27
	v_lshlrev_b32_e32 v132, 2, v132
	v_ashrrev_i32_e32 v133, s1, v133
	v_ashrrev_i32_e32 v134, s1, v134
	ds_read2_b32 v[26:27], v26 offset1:1
	v_ashrrev_i32_e32 v135, s1, v135
	v_and_b32_e32 v132, 0x4040404, v132
	v_lshlrev_b32_e32 v133, 2, v133
	v_lshlrev_b32_e32 v134, 2, v134
	v_ashrrev_i32_e32 v136, s1, v136
	v_lshlrev_b32_e32 v135, 2, v135
	v_lshrrev_b16 v161, 8, v132
	v_and_b32_e32 v133, 0x4040404, v133
	v_and_b32_e32 v134, 0x4040404, v134
	v_lshlrev_b32_e32 v136, 2, v136
	v_and_b32_e32 v135, 0x4040404, v135
	v_lshlrev_b32_e32 v145, 2, v145
	v_lshrrev_b16 v163, 8, v133
	v_lshrrev_b16 v165, 8, v134
	v_and_b32_e32 v136, 0x4040404, v136
	v_lshrrev_b16 v167, 8, v135
	v_and_b32_e32 v145, 0x4040404, v145
	v_lshlrev_b32_e32 v146, 2, v146
	v_ashrrev_i32_e32 v137, s20, v137
	s_waitcnt lgkmcnt(0)
	v_ashrrev_i32_e32 v149, s20, v26
	v_add_nc_u32_e32 v26, 0x2100, v23
	v_ashrrev_i32_e32 v150, s20, v27
	ds_read2_b32 v[26:27], v26 offset1:1
	ds_read2_b32 v[32:33], v31 offset1:1
	ds_read2_b32 v[34:35], v31 offset0:2 offset1:3
	v_add3_u32 v31, s22, v121, v122
	v_lshrrev_b16 v169, 8, v136
	v_lshrrev_b16 v171, 8, v145
	v_and_b32_e32 v146, 0x4040404, v146
	v_lshlrev_b32_e32 v147, 2, v147
	v_ashrrev_i32_e32 v138, s20, v138
	v_lshlrev_b32_e32 v148, 2, v148
	v_lshrrev_b16 v173, 8, v146
	v_and_b32_e32 v147, 0x4040404, v147
	v_and_b32_e32 v148, 0x4040404, v148
	v_lshrrev_b16 v175, 8, v147
	v_lshrrev_b16 v177, 8, v148
	s_waitcnt lgkmcnt(2)
	v_ashrrev_i32_e32 v151, s20, v26
	v_add_nc_u32_e32 v26, 0x2108, v23
	v_ashrrev_i32_e32 v152, s20, v27
	s_waitcnt lgkmcnt(1)
	v_ashrrev_i32_e32 v153, s1, v32
	v_ashrrev_i32_e32 v33, s1, v33
	s_waitcnt lgkmcnt(0)
	v_ashrrev_i32_e32 v34, s1, v34
	ds_read2_b32 v[26:27], v26 offset1:1
	v_ashrrev_i32_e32 v35, s1, v35
	v_lshlrev_b32_e32 v153, 2, v153
	v_lshlrev_b32_e32 v33, 2, v33
	;; [unrolled: 1-line block ×4, first 2 shown]
	v_and_b32_e32 v153, 0x4040404, v153
	v_and_b32_e32 v33, 0x4040404, v33
	;; [unrolled: 1-line block ×4, first 2 shown]
	v_lshrrev_b16 v179, 8, v153
	v_lshrrev_b16 v181, 8, v33
	;; [unrolled: 1-line block ×4, first 2 shown]
	s_waitcnt lgkmcnt(0)
	v_ashrrev_i32_e32 v154, s20, v26
	ds_read2_b32 v[25:26], v25 offset1:1
	ds_read_b32 v155, v31
	v_add_nc_u32_e32 v31, 0x3180, v23
	v_add_nc_u32_e32 v23, 0x3188, v23
	v_ashrrev_i32_e32 v27, s20, v27
	ds_read2_b32 v[31:32], v31 offset1:1
	s_waitcnt lgkmcnt(2)
	v_ashrrev_i32_e32 v156, s1, v25
	v_ashrrev_i32_e32 v157, s1, v26
	ds_read2_b32 v[25:26], v23 offset1:1
	s_add_i32 s1, s1, 1
	s_cmp_lt_u32 s20, 6
	v_lshlrev_b32_e32 v156, 2, v156
	v_lshlrev_b32_e32 v157, 2, v157
	s_waitcnt lgkmcnt(1)
	v_ashrrev_i32_e32 v31, s20, v31
	v_ashrrev_i32_e32 v32, s20, v32
	v_and_b32_e32 v156, 0x4040404, v156
	v_and_b32_e32 v157, 0x4040404, v157
	v_lshrrev_b16 v187, 8, v156
	v_lshrrev_b16 v189, 8, v157
	s_waitcnt lgkmcnt(0)
	v_ashrrev_i32_e32 v23, s20, v25
	v_ashrrev_i32_e32 v25, s20, v26
	v_lshlrev_b32_e32 v26, 2, v131
	v_and_b32_e32 v131, 0x3030303, v36
	v_bfe_u32 v36, v36, 24, 2
	v_and_b32_e32 v26, 0x4040404, v26
	v_lshrrev_b16 v158, 8, v131
	v_lshrrev_b16 v159, 8, v26
	v_sub_nc_u16 v158, v158, v159
	v_lshrrev_b32_e32 v159, 24, v26
	v_lshlrev_b16 v158, 8, v158
	v_sub_nc_u16 v36, v36, v159
	v_lshrrev_b32_e32 v159, 16, v131
	v_sub_nc_u16 v131, v131, v26
	v_lshrrev_b32_e32 v26, 16, v26
	v_lshlrev_b16 v36, 8, v36
	v_or_b32_sdwa v131, v131, v158 dst_sel:DWORD dst_unused:UNUSED_PAD src0_sel:BYTE_0 src1_sel:DWORD
	v_sub_nc_u16 v26, v159, v26
	v_and_b32_e32 v159, 0x3030303, v37
	v_bfe_u32 v37, v37, 24, 2
	v_or_b32_sdwa v26, v26, v36 dst_sel:WORD_1 dst_unused:UNUSED_PAD src0_sel:BYTE_0 src1_sel:DWORD
	v_lshrrev_b16 v160, 8, v159
	v_or_b32_sdwa v26, v131, v26 dst_sel:DWORD dst_unused:UNUSED_PAD src0_sel:WORD_0 src1_sel:DWORD
	v_sub_nc_u16 v160, v160, v161
	v_lshrrev_b32_e32 v161, 24, v132
	v_lshlrev_b16 v36, 8, v160
	v_sub_nc_u16 v37, v37, v161
	v_lshrrev_b32_e32 v161, 16, v159
	v_sub_nc_u16 v159, v159, v132
	v_lshrrev_b32_e32 v132, 16, v132
	v_lshlrev_b16 v37, 8, v37
	v_or_b32_sdwa v36, v159, v36 dst_sel:DWORD dst_unused:UNUSED_PAD src0_sel:BYTE_0 src1_sel:DWORD
	v_sub_nc_u16 v132, v161, v132
	v_and_b32_e32 v161, 0x3030303, v143
	v_bfe_u32 v143, v143, 24, 2
	v_or_b32_sdwa v37, v132, v37 dst_sel:WORD_1 dst_unused:UNUSED_PAD src0_sel:BYTE_0 src1_sel:DWORD
	v_lshrrev_b16 v162, 8, v161
	v_or_b32_sdwa v36, v36, v37 dst_sel:DWORD dst_unused:UNUSED_PAD src0_sel:WORD_0 src1_sel:DWORD
	v_sub_nc_u16 v162, v162, v163
	v_lshrrev_b32_e32 v163, 24, v133
	v_lshlrev_b16 v132, 8, v162
	v_sub_nc_u16 v143, v143, v163
	v_lshrrev_b32_e32 v163, 16, v161
	v_sub_nc_u16 v161, v161, v133
	v_lshrrev_b32_e32 v133, 16, v133
	v_lshlrev_b16 v143, 8, v143
	v_or_b32_sdwa v132, v161, v132 dst_sel:DWORD dst_unused:UNUSED_PAD src0_sel:BYTE_0 src1_sel:DWORD
	v_sub_nc_u16 v133, v163, v133
	v_and_b32_e32 v163, 0x3030303, v144
	v_bfe_u32 v144, v144, 24, 2
	v_or_b32_sdwa v133, v133, v143 dst_sel:WORD_1 dst_unused:UNUSED_PAD src0_sel:BYTE_0 src1_sel:DWORD
	v_lshrrev_b16 v164, 8, v163
	v_or_b32_sdwa v37, v132, v133 dst_sel:DWORD dst_unused:UNUSED_PAD src0_sel:WORD_0 src1_sel:DWORD
	v_sub_nc_u16 v164, v164, v165
	v_lshrrev_b32_e32 v165, 24, v134
	v_lshlrev_b16 v143, 8, v164
	v_sub_nc_u16 v144, v144, v165
	v_lshrrev_b32_e32 v165, 16, v163
	v_sub_nc_u16 v163, v163, v134
	v_lshrrev_b32_e32 v134, 16, v134
	v_lshlrev_b16 v144, 8, v144
	v_or_b32_sdwa v143, v163, v143 dst_sel:DWORD dst_unused:UNUSED_PAD src0_sel:BYTE_0 src1_sel:DWORD
	v_sub_nc_u16 v134, v165, v134
	v_and_b32_e32 v165, 0x3030303, v149
	v_bfe_u32 v149, v149, 24, 2
	v_or_b32_sdwa v134, v134, v144 dst_sel:WORD_1 dst_unused:UNUSED_PAD src0_sel:BYTE_0 src1_sel:DWORD
	v_lshrrev_b16 v166, 8, v165
	v_or_b32_sdwa v131, v143, v134 dst_sel:DWORD dst_unused:UNUSED_PAD src0_sel:WORD_0 src1_sel:DWORD
	v_sub_nc_u16 v166, v166, v167
	v_lshrrev_b32_e32 v167, 24, v135
	v_mov_b32_e32 v143, 0
	v_lshlrev_b16 v144, 8, v166
	v_sub_nc_u16 v149, v149, v167
	v_lshrrev_b32_e32 v167, 16, v165
	v_sub_nc_u16 v165, v165, v135
	v_lshrrev_b32_e32 v135, 16, v135
	v_lshlrev_b16 v149, 8, v149
	v_or_b32_sdwa v144, v165, v144 dst_sel:DWORD dst_unused:UNUSED_PAD src0_sel:BYTE_0 src1_sel:DWORD
	v_sub_nc_u16 v135, v167, v135
	v_and_b32_e32 v167, 0x3030303, v150
	v_bfe_u32 v150, v150, 24, 2
	v_or_b32_sdwa v135, v135, v149 dst_sel:WORD_1 dst_unused:UNUSED_PAD src0_sel:BYTE_0 src1_sel:DWORD
	v_lshrrev_b16 v168, 8, v167
	v_or_b32_sdwa v132, v144, v135 dst_sel:DWORD dst_unused:UNUSED_PAD src0_sel:WORD_0 src1_sel:DWORD
	v_sub_nc_u16 v168, v168, v169
	v_lshrrev_b32_e32 v169, 24, v136
	v_lshlrev_b16 v149, 8, v168
	v_sub_nc_u16 v150, v150, v169
	v_lshrrev_b32_e32 v169, 16, v167
	v_sub_nc_u16 v167, v167, v136
	v_lshrrev_b32_e32 v136, 16, v136
	v_lshlrev_b16 v150, 8, v150
	v_or_b32_sdwa v149, v167, v149 dst_sel:DWORD dst_unused:UNUSED_PAD src0_sel:BYTE_0 src1_sel:DWORD
	v_sub_nc_u16 v136, v169, v136
	v_and_b32_e32 v169, 0x3030303, v23
	v_bfe_u32 v23, v23, 24, 2
	v_or_b32_sdwa v136, v136, v150 dst_sel:WORD_1 dst_unused:UNUSED_PAD src0_sel:BYTE_0 src1_sel:DWORD
	v_lshrrev_b16 v170, 8, v169
	v_or_b32_sdwa v133, v149, v136 dst_sel:DWORD dst_unused:UNUSED_PAD src0_sel:WORD_0 src1_sel:DWORD
	v_sub_nc_u16 v170, v170, v171
	v_lshrrev_b32_e32 v171, 24, v145
	;; [unrolled: 15-line block ×11, first 2 shown]
	v_lshlrev_b16 v156, 8, v188
	v_sub_nc_u16 v32, v32, v189
	v_lshrrev_b32_e32 v189, 16, v187
	v_sub_nc_u16 v187, v187, v157
	v_lshrrev_b32_e32 v157, 16, v157
	v_lshlrev_b16 v32, 8, v32
	v_or_b32_sdwa v156, v187, v156 dst_sel:DWORD dst_unused:UNUSED_PAD src0_sel:BYTE_0 src1_sel:DWORD
	v_sub_nc_u16 v157, v189, v157
	v_or_b32_sdwa v32, v157, v32 dst_sel:WORD_1 dst_unused:UNUSED_PAD src0_sel:BYTE_0 src1_sel:DWORD
	v_or_b32_sdwa v144, v156, v32 dst_sel:DWORD dst_unused:UNUSED_PAD src0_sel:WORD_0 src1_sel:DWORD
	ds_read_b128 v[31:34], v22
	v_add_nc_u32_e32 v22, 32, v22
	s_waitcnt lgkmcnt(0)
	v_dot4c_i32_i8 v143, v26, v31
	v_mov_b32_e32 v26, 0
	v_dot4c_i32_i8 v143, v36, v32
	v_dot4c_i32_i8 v26, v134, v31
	v_mov_b32_e32 v134, 0
	v_dot4c_i32_i8 v143, v37, v33
	v_dot4c_i32_i8 v26, v135, v32
	;; [unrolled: 1-line block ×3, first 2 shown]
	v_mov_b32_e32 v136, 0
	v_lshrrev_b16 v37, 8, v28
	v_dot4c_i32_i8 v143, v131, v34
	v_dot4c_i32_i8 v26, v132, v33
	;; [unrolled: 1-line block ×4, first 2 shown]
	v_add_nc_u32_e32 v31, s21, v111
	ds_read_b32 v35, v21
	v_bfe_i32 v28, v28, 0, 8
	v_dot4c_i32_i8 v134, v138, v33
	v_dot4c_i32_i8 v136, v144, v32
	v_add_nc_u32_e32 v32, s21, v107
	ds_read_u16 v31, v31 offset:2
	ds_read_u16 v32, v32 offset:2
	v_dot4c_i32_i8 v136, v23, v33
	v_lshrrev_b16 v23, 8, v30
	v_bfe_i32 v30, v30, 0, 8
	v_dot4c_i32_i8 v26, v133, v34
	v_dot4c_i32_i8 v134, v27, v34
	;; [unrolled: 1-line block ×3, first 2 shown]
	v_add_nc_u32_e32 v21, 4, v21
	s_mov_b32 s21, s20
	v_mul_lo_u32 v25, v26, v28
	v_mul_lo_u32 v27, v136, v30
	s_waitcnt lgkmcnt(1)
	v_lshrrev_b16 v36, 8, v31
	v_bfe_i32 v31, v31, 0, 8
	s_waitcnt lgkmcnt(0)
	v_lshrrev_b16 v132, 8, v32
	v_bfe_i32 v32, v32, 0, 8
	v_bfe_i32 v33, v36, 0, 8
	;; [unrolled: 1-line block ×5, first 2 shown]
	v_mul_lo_u32 v23, v143, v31
	v_mul_lo_u32 v26, v134, v32
	v_mad_u64_u32 v[30:31], null, v139, v33, v[23:24]
	v_mad_u64_u32 v[31:32], null, v140, v36, v[25:26]
	;; [unrolled: 1-line block ×4, first 2 shown]
	v_mul_f32_e32 v23, v35, v38
	v_mul_f32_e32 v24, v35, v24
	;; [unrolled: 1-line block ×4, first 2 shown]
	v_cvt_f32_i32_e32 v29, v30
	v_cvt_f32_i32_e32 v30, v31
	;; [unrolled: 1-line block ×4, first 2 shown]
	v_fmac_f32_e32 v40, v23, v29
	v_fmac_f32_e32 v86, v24, v30
	;; [unrolled: 1-line block ×4, first 2 shown]
	s_cbranch_scc1 .LBB210_11
; %bb.12:                               ;   in Loop: Header=BB210_5 Depth=1
	s_or_b32 s1, s4, 0x80
	s_cmp_ge_i32 s1, s9
	s_barrier
	buffer_gl0_inv
	s_cbranch_scc1 .LBB210_4
; %bb.13:                               ;   in Loop: Header=BB210_5 Depth=1
	v_add_nc_u32_e32 v21, s5, v96
	v_cmp_gt_i32_e64 s1, s8, v21
	s_and_b32 s19, s0, s1
	s_and_saveexec_b32 s1, s19
	s_cbranch_execz .LBB210_15
; %bb.14:                               ;   in Loop: Header=BB210_5 Depth=1
	v_add_nc_u32_e32 v21, v99, v21
	v_mad_i64_i32 v[21:22], null, v21, 36, v[19:20]
	global_load_dword v21, v[21:22], off offset:4
	s_waitcnt vmcnt(0)
	ds_write_b32 v82, v21
.LBB210_15:                             ;   in Loop: Header=BB210_5 Depth=1
	s_or_b32 exec_lo, exec_lo, s1
	s_and_saveexec_b32 s19, vcc_lo
	s_cbranch_execz .LBB210_18
; %bb.16:                               ;   in Loop: Header=BB210_5 Depth=1
	v_or_b32_e32 v21, 4, v130
	v_cmp_gt_i32_e64 s1, s8, v21
	s_and_b32 s1, s0, s1
	s_and_b32 exec_lo, exec_lo, s1
	s_cbranch_execz .LBB210_18
; %bb.17:                               ;   in Loop: Header=BB210_5 Depth=1
	v_ashrrev_i32_e32 v21, 31, v130
	v_add_co_u32 v22, s1, v99, v130
	v_add_co_ci_u32_e64 v23, null, v103, v21, s1
	v_mad_u64_u32 v[21:22], null, v22, 36, s[2:3]
	v_mad_i32_i24 v22, v23, 36, v22
	global_load_dword v21, v[21:22], off offset:144
	s_waitcnt vmcnt(0)
	v_cvt_f32_f16_e32 v21, v21
	ds_write_b32 v84, v21
.LBB210_18:                             ;   in Loop: Header=BB210_5 Depth=1
	s_or_b32 exec_lo, exec_lo, s19
	v_mov_b32_e32 v131, v1
	v_mov_b32_e32 v132, v83
	s_mov_b32 s1, 8
	s_mov_b32 s21, 6
	;; [unrolled: 1-line block ×3, first 2 shown]
	s_waitcnt lgkmcnt(0)
	s_barrier
	buffer_gl0_inv
.LBB210_19:                             ;   Parent Loop BB210_5 Depth=1
                                        ; =>  This Inner Loop Header: Depth=2
	s_add_i32 s20, s21, 2
	s_add_i32 s22, s21, -6
	s_lshr_b32 s23, s20, 4
	s_and_b32 s24, s20, 0x3ffffff8
	s_lshl_b32 s25, s23, 5
	v_lshl_add_u32 v133, s24, 2, v101
	s_add_i32 s24, s25, 0x4200
	s_lshl_b32 s23, s23, 2
	v_add3_u32 v25, s24, v127, v114
	v_add3_u32 v26, s24, v115, v116
	;; [unrolled: 1-line block ×3, first 2 shown]
	v_add_nc_u32_e32 v38, 0x1080, v133
	ds_read2_b32 v[35:36], v133 offset1:1
	ds_read2_b32 v[33:34], v133 offset0:2 offset1:3
	ds_read2_b32 v[21:22], v133 offset0:4 offset1:5
	;; [unrolled: 1-line block ×3, first 2 shown]
	ds_read2_b32 v[135:136], v25 offset1:1
	ds_read2_b32 v[137:138], v25 offset0:2 offset1:3
	ds_read2_b32 v[139:140], v26 offset1:1
	ds_read2_b32 v[141:142], v26 offset0:2 offset1:3
	ds_read2_b32 v[148:149], v134 offset0:2 offset1:3
	;; [unrolled: 1-line block ×5, first 2 shown]
	ds_read2_b32 v[150:151], v38 offset1:1
	ds_read2_b32 v[25:26], v26 offset0:6 offset1:7
	v_add_nc_u32_e32 v37, 0x2100, v133
	s_addk_i32 s23, 0x7380
	v_add_nc_u32_e32 v154, 0x2118, v133
	s_waitcnt lgkmcnt(13)
	v_ashrrev_i32_e32 v158, s22, v35
	v_ashrrev_i32_e32 v159, s22, v36
	s_waitcnt lgkmcnt(12)
	v_ashrrev_i32_e32 v160, s22, v33
	v_ashrrev_i32_e32 v161, s22, v34
	s_waitcnt lgkmcnt(9)
	v_ashrrev_i32_e32 v162, s19, v135
	v_and_b32_e32 v174, 0x3030303, v158
	v_ashrrev_i32_e32 v163, s19, v136
	v_bfe_u32 v158, v158, 24, 2
	ds_read2_b32 v[33:34], v134 offset0:4 offset1:5
	ds_read2_b32 v[152:153], v37 offset1:1
	ds_read2_b32 v[35:36], v134 offset1:1
	v_lshlrev_b32_e32 v162, 2, v162
	v_lshrrev_b16 v175, 8, v174
	v_lshlrev_b32_e32 v163, 2, v163
	s_waitcnt lgkmcnt(11)
	v_ashrrev_i32_e32 v164, s19, v137
	v_add3_u32 v37, s24, v123, v124
	v_and_b32_e32 v162, 0x4040404, v162
	v_ashrrev_i32_e32 v165, s19, v138
	v_and_b32_e32 v163, 0x4040404, v163
	v_lshlrev_b32_e32 v164, 2, v164
	s_waitcnt lgkmcnt(10)
	v_ashrrev_i32_e32 v146, s19, v140
	v_lshrrev_b16 v176, 8, v162
	s_waitcnt lgkmcnt(9)
	v_ashrrev_i32_e32 v145, s19, v141
	v_lshrrev_b16 v178, 8, v163
	v_and_b32_e32 v164, 0x4040404, v164
	v_ashrrev_i32_e32 v144, s19, v142
	v_sub_nc_u16 v175, v175, v176
	v_lshrrev_b32_e32 v176, 24, v162
	s_waitcnt lgkmcnt(8)
	v_ashrrev_i32_e32 v141, s19, v148
	v_lshrrev_b16 v180, 8, v164
	s_waitcnt lgkmcnt(0)
	v_ashrrev_i32_e32 v143, s19, v35
	v_add_nc_u32_e32 v35, 0x3180, v133
	v_sub_nc_u16 v158, v158, v176
	v_lshrrev_b32_e32 v176, 16, v174
	v_sub_nc_u16 v174, v174, v162
	v_lshrrev_b32_e32 v162, 16, v162
	v_ashrrev_i32_e32 v142, s19, v36
	v_ashrrev_i32_e32 v140, s19, v149
	ds_read2_b32 v[148:149], v35 offset1:1
	ds_read2_b32 v[35:36], v37 offset1:1
	v_lshlrev_b32_e32 v165, 2, v165
	v_sub_nc_u16 v162, v176, v162
	v_and_b32_e32 v176, 0x3030303, v159
	v_bfe_u32 v159, v159, 24, 2
	v_ashrrev_i32_e32 v147, s19, v139
	v_and_b32_e32 v165, 0x4040404, v165
	v_ashrrev_i32_e32 v166, s22, v150
	v_lshrrev_b16 v177, 8, v176
	v_add_nc_u32_e32 v150, 0x1088, v133
	v_lshlrev_b32_e32 v147, 2, v147
	v_lshrrev_b16 v182, 8, v165
	v_ashrrev_i32_e32 v167, s22, v151
	v_sub_nc_u16 v177, v177, v178
	v_lshrrev_b32_e32 v178, 24, v163
	v_and_b32_e32 v147, 0x4040404, v147
	v_lshlrev_b32_e32 v146, 2, v146
	v_lshlrev_b32_e32 v145, 2, v145
	;; [unrolled: 1-line block ×3, first 2 shown]
	v_sub_nc_u16 v159, v159, v178
	v_lshrrev_b32_e32 v178, 16, v176
	v_sub_nc_u16 v176, v176, v163
	v_lshrrev_b32_e32 v163, 16, v163
	s_waitcnt lgkmcnt(0)
	v_ashrrev_i32_e32 v139, s19, v35
	v_ashrrev_i32_e32 v137, s19, v36
	ds_read2_b32 v[135:136], v37 offset0:2 offset1:3
	ds_read2_b32 v[35:36], v37 offset0:4 offset1:5
	;; [unrolled: 1-line block ×3, first 2 shown]
	v_lshrrev_b16 v184, 8, v147
	v_sub_nc_u16 v163, v178, v163
	v_and_b32_e32 v178, 0x3030303, v160
	v_bfe_u32 v160, v160, 24, 2
	ds_read2_b32 v[150:151], v150 offset1:1
	v_and_b32_e32 v146, 0x4040404, v146
	v_and_b32_e32 v145, 0x4040404, v145
	v_lshrrev_b16 v179, 8, v178
	v_and_b32_e32 v144, 0x4040404, v144
	v_ashrrev_i32_e32 v170, s22, v152
	v_lshrrev_b16 v186, 8, v146
	v_lshrrev_b16 v188, 8, v145
	v_sub_nc_u16 v179, v179, v180
	v_lshrrev_b32_e32 v180, 24, v164
	v_lshrrev_b16 v190, 8, v144
	v_lshlrev_b32_e32 v143, 2, v143
	v_add_nc_u32_e32 v152, 0x2110, v133
	s_waitcnt lgkmcnt(3)
	v_ashrrev_i32_e32 v138, s19, v135
	v_sub_nc_u16 v160, v160, v180
	v_lshrrev_b32_e32 v180, 16, v178
	v_sub_nc_u16 v178, v178, v164
	v_lshrrev_b32_e32 v164, 16, v164
	v_add3_u32 v135, s23, v128, v129
	v_and_b32_e32 v143, 0x4040404, v143
	s_waitcnt lgkmcnt(0)
	v_ashrrev_i32_e32 v168, s22, v150
	v_ashrrev_i32_e32 v169, s22, v151
	v_sub_nc_u16 v164, v180, v164
	v_and_b32_e32 v180, 0x3030303, v161
	v_bfe_u32 v161, v161, 24, 2
	ds_read_b32 v135, v135
	v_lshrrev_b16 v192, 8, v143
	v_add_nc_u32_e32 v150, 0x2108, v133
	v_lshrrev_b16 v181, 8, v180
	v_ashrrev_i32_e32 v171, s22, v153
	v_lshlrev_b32_e32 v142, 2, v142
	ds_read2_b32 v[150:151], v150 offset1:1
	ds_read2_b32 v[152:153], v152 offset1:1
	;; [unrolled: 1-line block ×3, first 2 shown]
	ds_read2_b32 v[156:157], v134 offset0:6 offset1:7
	v_sub_nc_u16 v181, v181, v182
	v_lshrrev_b32_e32 v182, 24, v165
	v_and_b32_e32 v142, 0x4040404, v142
	v_lshlrev_b32_e32 v141, 2, v141
	v_lshlrev_b32_e32 v140, 2, v140
	v_ashrrev_i32_e32 v172, s22, v148
	v_sub_nc_u16 v161, v161, v182
	v_lshrrev_b32_e32 v182, 16, v180
	v_sub_nc_u16 v180, v180, v165
	v_lshrrev_b32_e32 v165, 16, v165
	v_lshrrev_b16 v194, 8, v142
	v_and_b32_e32 v141, 0x4040404, v141
	v_and_b32_e32 v140, 0x4040404, v140
	v_lshlrev_b32_e32 v139, 2, v139
	v_sub_nc_u16 v165, v182, v165
	v_and_b32_e32 v182, 0x3030303, v166
	v_bfe_u32 v166, v166, 24, 2
	s_waitcnt lgkmcnt(3)
	v_ashrrev_i32_e32 v150, s22, v150
	v_lshrrev_b16 v196, 8, v141
	v_ashrrev_i32_e32 v151, s22, v151
	v_lshrrev_b16 v183, 8, v182
	v_lshrrev_b16 v198, 8, v140
	v_and_b32_e32 v139, 0x4040404, v139
	v_add3_u32 v134, s23, v121, v122
	v_add_nc_u32_e32 v148, 0x3188, v133
	v_sub_nc_u16 v183, v183, v184
	v_lshrrev_b32_e32 v184, 24, v147
	v_lshrrev_b16 v200, 8, v139
	ds_read_b32 v134, v134
	v_ashrrev_i32_e32 v173, s22, v149
	ds_read2_b32 v[148:149], v148 offset1:1
	v_sub_nc_u16 v166, v166, v184
	v_lshrrev_b32_e32 v184, 16, v182
	v_sub_nc_u16 v182, v182, v147
	v_lshrrev_b32_e32 v147, 16, v147
	v_lshlrev_b32_e32 v137, 2, v137
	v_lshlrev_b32_e32 v138, 2, v138
	v_ashrrev_i32_e32 v136, s19, v136
	v_lshlrev_b16 v158, 8, v158
	v_sub_nc_u16 v147, v184, v147
	v_and_b32_e32 v184, 0x3030303, v167
	v_bfe_u32 v167, v167, 24, 2
	v_and_b32_e32 v137, 0x4040404, v137
	v_and_b32_e32 v138, 0x4040404, v138
	v_lshlrev_b32_e32 v136, 2, v136
	v_lshrrev_b16 v185, 8, v184
	v_lshlrev_b16 v159, 8, v159
	v_lshrrev_b16 v202, 8, v137
	v_lshrrev_b16 v204, 8, v138
	v_and_b32_e32 v136, 0x4040404, v136
	v_sub_nc_u16 v185, v185, v186
	v_lshrrev_b32_e32 v186, 24, v146
	s_waitcnt lgkmcnt(0)
	v_ashrrev_i32_e32 v148, s22, v148
	v_ashrrev_i32_e32 v149, s22, v149
	v_lshrrev_b16 v206, 8, v136
	v_lshlrev_b16 v160, 8, v160
	v_sub_nc_u16 v167, v167, v186
	v_lshrrev_b32_e32 v186, 16, v184
	v_sub_nc_u16 v184, v184, v146
	v_lshrrev_b32_e32 v146, 16, v146
	v_lshlrev_b16 v161, 8, v161
	v_lshlrev_b16 v175, 8, v175
	v_or_b32_sdwa v158, v162, v158 dst_sel:WORD_1 dst_unused:UNUSED_PAD src0_sel:BYTE_0 src1_sel:DWORD
	v_lshlrev_b16 v162, 8, v177
	v_sub_nc_u16 v146, v186, v146
	v_and_b32_e32 v186, 0x3030303, v168
	v_bfe_u32 v168, v168, 24, 2
	v_or_b32_sdwa v159, v163, v159 dst_sel:WORD_1 dst_unused:UNUSED_PAD src0_sel:BYTE_0 src1_sel:DWORD
	v_lshlrev_b16 v163, 8, v179
	v_or_b32_sdwa v160, v164, v160 dst_sel:WORD_1 dst_unused:UNUSED_PAD src0_sel:BYTE_0 src1_sel:DWORD
	v_lshrrev_b16 v187, 8, v186
	v_lshlrev_b16 v164, 8, v181
	v_or_b32_sdwa v161, v165, v161 dst_sel:WORD_1 dst_unused:UNUSED_PAD src0_sel:BYTE_0 src1_sel:DWORD
	v_lshlrev_b16 v165, 8, v183
	v_lshlrev_b16 v166, 8, v166
	v_sub_nc_u16 v187, v187, v188
	v_lshrrev_b32_e32 v188, 24, v145
	v_or_b32_sdwa v174, v174, v175 dst_sel:DWORD dst_unused:UNUSED_PAD src0_sel:BYTE_0 src1_sel:DWORD
	v_or_b32_sdwa v162, v176, v162 dst_sel:DWORD dst_unused:UNUSED_PAD src0_sel:BYTE_0 src1_sel:DWORD
	;; [unrolled: 1-line block ×4, first 2 shown]
	v_sub_nc_u16 v168, v168, v188
	v_lshrrev_b32_e32 v188, 16, v186
	v_sub_nc_u16 v186, v186, v145
	v_lshrrev_b32_e32 v145, 16, v145
	v_or_b32_sdwa v165, v182, v165 dst_sel:DWORD dst_unused:UNUSED_PAD src0_sel:BYTE_0 src1_sel:DWORD
	v_or_b32_sdwa v147, v147, v166 dst_sel:WORD_1 dst_unused:UNUSED_PAD src0_sel:BYTE_0 src1_sel:DWORD
	v_lshlrev_b16 v166, 8, v185
	v_lshlrev_b16 v167, 8, v167
	v_sub_nc_u16 v145, v188, v145
	v_and_b32_e32 v188, 0x3030303, v169
	v_bfe_u32 v169, v169, 24, 2
	v_or_b32_sdwa v147, v165, v147 dst_sel:DWORD dst_unused:UNUSED_PAD src0_sel:WORD_0 src1_sel:DWORD
	v_or_b32_sdwa v166, v184, v166 dst_sel:DWORD dst_unused:UNUSED_PAD src0_sel:BYTE_0 src1_sel:DWORD
	v_or_b32_sdwa v146, v146, v167 dst_sel:WORD_1 dst_unused:UNUSED_PAD src0_sel:BYTE_0 src1_sel:DWORD
	v_lshrrev_b16 v189, 8, v188
	v_ashrrev_i32_e32 v27, s19, v27
	v_ashrrev_i32_e32 v28, s19, v28
	v_lshlrev_b16 v167, 8, v187
	v_or_b32_sdwa v146, v166, v146 dst_sel:DWORD dst_unused:UNUSED_PAD src0_sel:WORD_0 src1_sel:DWORD
	v_sub_nc_u16 v189, v189, v190
	v_lshrrev_b32_e32 v190, 24, v144
	v_mov_b32_e32 v166, 0
	v_lshlrev_b32_e32 v27, 2, v27
	v_lshlrev_b32_e32 v28, 2, v28
	v_lshlrev_b16 v168, 8, v168
	v_sub_nc_u16 v169, v169, v190
	v_lshrrev_b32_e32 v190, 16, v188
	v_sub_nc_u16 v188, v188, v144
	v_lshrrev_b32_e32 v144, 16, v144
	v_and_b32_e32 v27, 0x4040404, v27
	v_lshlrev_b16 v169, 8, v169
	v_and_b32_e32 v28, 0x4040404, v28
	v_or_b32_sdwa v167, v186, v167 dst_sel:DWORD dst_unused:UNUSED_PAD src0_sel:BYTE_0 src1_sel:DWORD
	v_sub_nc_u16 v144, v190, v144
	v_and_b32_e32 v190, 0x3030303, v170
	v_bfe_u32 v170, v170, 24, 2
	v_or_b32_sdwa v145, v145, v168 dst_sel:WORD_1 dst_unused:UNUSED_PAD src0_sel:BYTE_0 src1_sel:DWORD
	v_ashrrev_i32_e32 v29, s19, v29
	v_or_b32_sdwa v144, v144, v169 dst_sel:WORD_1 dst_unused:UNUSED_PAD src0_sel:BYTE_0 src1_sel:DWORD
	v_lshrrev_b16 v191, 8, v190
	s_and_b32 s24, s1, -16
	v_or_b32_sdwa v145, v167, v145 dst_sel:DWORD dst_unused:UNUSED_PAD src0_sel:WORD_0 src1_sel:DWORD
	v_lshlrev_b32_e32 v29, 2, v29
	s_add_i32 s21, s21, s24
	v_sub_nc_u16 v191, v191, v192
	v_lshrrev_b32_e32 v192, 24, v143
	v_lshlrev_b16 v168, 8, v189
	v_and_b32_e32 v29, 0x4040404, v29
	v_ashrrev_i32_e32 v30, s19, v30
	v_lshlrev_b16 v169, 8, v191
	v_sub_nc_u16 v170, v170, v192
	v_lshrrev_b32_e32 v192, 16, v190
	v_sub_nc_u16 v190, v190, v143
	v_lshrrev_b32_e32 v143, 16, v143
	v_or_b32_sdwa v168, v188, v168 dst_sel:DWORD dst_unused:UNUSED_PAD src0_sel:BYTE_0 src1_sel:DWORD
	v_lshlrev_b16 v170, 8, v170
	v_lshrrev_b16 v167, 8, v29
	v_or_b32_sdwa v169, v190, v169 dst_sel:DWORD dst_unused:UNUSED_PAD src0_sel:BYTE_0 src1_sel:DWORD
	v_sub_nc_u16 v143, v192, v143
	v_and_b32_e32 v192, 0x3030303, v171
	v_bfe_u32 v171, v171, 24, 2
	v_or_b32_sdwa v144, v168, v144 dst_sel:DWORD dst_unused:UNUSED_PAD src0_sel:WORD_0 src1_sel:DWORD
	v_lshlrev_b32_e32 v30, 2, v30
	v_or_b32_sdwa v143, v143, v170 dst_sel:WORD_1 dst_unused:UNUSED_PAD src0_sel:BYTE_0 src1_sel:DWORD
	v_lshrrev_b16 v193, 8, v192
	v_ashrrev_i32_e32 v31, s19, v31
	v_ashrrev_i32_e32 v32, s19, v32
	v_and_b32_e32 v30, 0x4040404, v30
	v_ashrrev_i32_e32 v33, s19, v33
	v_sub_nc_u16 v193, v193, v194
	v_lshrrev_b32_e32 v194, 24, v142
	v_lshlrev_b32_e32 v31, 2, v31
	v_lshlrev_b32_e32 v32, 2, v32
	v_ashrrev_i32_e32 v152, s22, v152
	v_lshlrev_b16 v170, 8, v193
	v_sub_nc_u16 v171, v171, v194
	v_lshrrev_b32_e32 v194, 16, v192
	v_sub_nc_u16 v192, v192, v142
	v_lshrrev_b32_e32 v142, 16, v142
	v_and_b32_e32 v31, 0x4040404, v31
	v_lshlrev_b16 v171, 8, v171
	v_and_b32_e32 v32, 0x4040404, v32
	v_or_b32_sdwa v170, v192, v170 dst_sel:DWORD dst_unused:UNUSED_PAD src0_sel:BYTE_0 src1_sel:DWORD
	v_sub_nc_u16 v142, v194, v142
	v_and_b32_e32 v194, 0x3030303, v150
	v_bfe_u32 v150, v150, 24, 2
	v_lshlrev_b32_e32 v33, 2, v33
	v_ashrrev_i32_e32 v34, s19, v34
	v_or_b32_sdwa v142, v142, v171 dst_sel:WORD_1 dst_unused:UNUSED_PAD src0_sel:BYTE_0 src1_sel:DWORD
	v_lshrrev_b16 v195, 8, v194
	v_ashrrev_i32_e32 v153, s22, v153
	v_and_b32_e32 v33, 0x4040404, v33
	v_lshlrev_b32_e32 v34, 2, v34
	v_ashrrev_i32_e32 v35, s19, v35
	v_sub_nc_u16 v195, v195, v196
	v_lshrrev_b32_e32 v196, 24, v141
	v_lshrrev_b16 v175, 8, v33
	v_and_b32_e32 v34, 0x4040404, v34
	v_lshlrev_b32_e32 v35, 2, v35
	v_lshlrev_b16 v171, 8, v195
	v_sub_nc_u16 v150, v150, v196
	v_lshrrev_b32_e32 v196, 16, v194
	v_sub_nc_u16 v194, v194, v141
	v_lshrrev_b32_e32 v141, 16, v141
	v_lshrrev_b16 v177, 8, v34
	v_lshlrev_b16 v150, 8, v150
	v_and_b32_e32 v35, 0x4040404, v35
	v_or_b32_sdwa v171, v194, v171 dst_sel:DWORD dst_unused:UNUSED_PAD src0_sel:BYTE_0 src1_sel:DWORD
	v_sub_nc_u16 v141, v196, v141
	v_and_b32_e32 v196, 0x3030303, v151
	v_bfe_u32 v151, v151, 24, 2
	v_lshrrev_b16 v179, 8, v35
	v_ashrrev_i32_e32 v36, s19, v36
	v_or_b32_sdwa v141, v141, v150 dst_sel:WORD_1 dst_unused:UNUSED_PAD src0_sel:BYTE_0 src1_sel:DWORD
	v_lshrrev_b16 v197, 8, v196
	v_ashrrev_i32_e32 v25, s19, v25
	v_ashrrev_i32_e32 v26, s19, v26
	v_lshlrev_b32_e32 v36, 2, v36
	v_ashrrev_i32_e32 v154, s22, v154
	v_sub_nc_u16 v197, v197, v198
	v_lshrrev_b32_e32 v198, 24, v140
	v_lshlrev_b32_e32 v25, 2, v25
	v_and_b32_e32 v36, 0x4040404, v36
	v_lshlrev_b32_e32 v26, 2, v26
	v_lshlrev_b16 v150, 8, v197
	v_sub_nc_u16 v151, v151, v198
	v_lshrrev_b32_e32 v198, 16, v196
	v_sub_nc_u16 v196, v196, v140
	v_lshrrev_b32_e32 v140, 16, v140
	v_lshrrev_b16 v181, 8, v36
	v_lshlrev_b16 v151, 8, v151
	v_and_b32_e32 v25, 0x4040404, v25
	v_or_b32_sdwa v150, v196, v150 dst_sel:DWORD dst_unused:UNUSED_PAD src0_sel:BYTE_0 src1_sel:DWORD
	v_sub_nc_u16 v140, v198, v140
	v_and_b32_e32 v198, 0x3030303, v172
	v_bfe_u32 v172, v172, 24, 2
	v_lshrrev_b16 v183, 8, v25
	v_and_b32_e32 v26, 0x4040404, v26
	v_or_b32_sdwa v140, v140, v151 dst_sel:WORD_1 dst_unused:UNUSED_PAD src0_sel:BYTE_0 src1_sel:DWORD
	v_lshrrev_b16 v199, 8, v198
	v_ashrrev_i32_e32 v155, s22, v155
	v_ashrrev_i32_e32 v37, s19, v37
	v_lshrrev_b16 v185, 8, v26
	v_or_b32_sdwa v150, v150, v140 dst_sel:DWORD dst_unused:UNUSED_PAD src0_sel:WORD_0 src1_sel:DWORD
	v_sub_nc_u16 v199, v199, v200
	v_lshrrev_b32_e32 v200, 24, v139
	v_lshlrev_b32_e32 v37, 2, v37
	v_ashrrev_i32_e32 v38, s19, v38
	s_add_i32 s1, s1, 2
	v_lshlrev_b16 v151, 8, v199
	v_sub_nc_u16 v172, v172, v200
	v_lshrrev_b32_e32 v200, 16, v198
	v_sub_nc_u16 v198, v198, v139
	v_lshrrev_b32_e32 v139, 16, v139
	v_and_b32_e32 v37, 0x4040404, v37
	v_lshlrev_b16 v172, 8, v172
	v_lshlrev_b32_e32 v38, 2, v38
	v_or_b32_sdwa v151, v198, v151 dst_sel:DWORD dst_unused:UNUSED_PAD src0_sel:BYTE_0 src1_sel:DWORD
	v_sub_nc_u16 v139, v200, v139
	v_and_b32_e32 v200, 0x3030303, v173
	v_bfe_u32 v173, v173, 24, 2
	v_lshrrev_b16 v191, 8, v37
	v_and_b32_e32 v38, 0x4040404, v38
	v_or_b32_sdwa v139, v139, v172 dst_sel:WORD_1 dst_unused:UNUSED_PAD src0_sel:BYTE_0 src1_sel:DWORD
	v_lshrrev_b16 v201, 8, v200
	v_lshrrev_b16 v193, 8, v38
	v_or_b32_sdwa v151, v151, v139 dst_sel:DWORD dst_unused:UNUSED_PAD src0_sel:WORD_0 src1_sel:DWORD
	v_sub_nc_u16 v201, v201, v202
	v_lshrrev_b32_e32 v202, 24, v137
	v_lshlrev_b16 v172, 8, v201
	v_sub_nc_u16 v173, v173, v202
	v_lshrrev_b32_e32 v202, 16, v200
	v_sub_nc_u16 v200, v200, v137
	v_lshrrev_b32_e32 v137, 16, v137
	v_lshlrev_b16 v173, 8, v173
	v_or_b32_sdwa v172, v200, v172 dst_sel:DWORD dst_unused:UNUSED_PAD src0_sel:BYTE_0 src1_sel:DWORD
	v_sub_nc_u16 v137, v202, v137
	v_and_b32_e32 v202, 0x3030303, v148
	v_bfe_u32 v148, v148, 24, 2
	v_or_b32_sdwa v137, v137, v173 dst_sel:WORD_1 dst_unused:UNUSED_PAD src0_sel:BYTE_0 src1_sel:DWORD
	v_lshrrev_b16 v203, 8, v202
	v_sub_nc_u16 v203, v203, v204
	v_lshrrev_b32_e32 v204, 24, v138
	v_lshlrev_b16 v173, 8, v203
	v_sub_nc_u16 v148, v148, v204
	v_lshrrev_b32_e32 v204, 16, v202
	v_sub_nc_u16 v202, v202, v138
	v_lshrrev_b32_e32 v138, 16, v138
	v_lshlrev_b16 v148, 8, v148
	v_or_b32_sdwa v173, v202, v173 dst_sel:DWORD dst_unused:UNUSED_PAD src0_sel:BYTE_0 src1_sel:DWORD
	v_sub_nc_u16 v138, v204, v138
	v_and_b32_e32 v204, 0x3030303, v149
	v_bfe_u32 v149, v149, 24, 2
	v_or_b32_sdwa v138, v138, v148 dst_sel:WORD_1 dst_unused:UNUSED_PAD src0_sel:BYTE_0 src1_sel:DWORD
	v_lshrrev_b16 v205, 8, v204
	v_or_b32_sdwa v165, v173, v138 dst_sel:DWORD dst_unused:UNUSED_PAD src0_sel:WORD_0 src1_sel:DWORD
	v_sub_nc_u16 v205, v205, v206
	v_lshrrev_b32_e32 v206, 24, v136
	v_lshrrev_b16 v173, 8, v32
	v_lshlrev_b16 v148, 8, v205
	v_sub_nc_u16 v149, v149, v206
	v_lshrrev_b32_e32 v206, 16, v204
	v_sub_nc_u16 v204, v204, v136
	v_lshrrev_b32_e32 v136, 16, v136
	v_lshlrev_b16 v149, 8, v149
	v_or_b32_sdwa v148, v204, v148 dst_sel:DWORD dst_unused:UNUSED_PAD src0_sel:BYTE_0 src1_sel:DWORD
	v_sub_nc_u16 v136, v206, v136
	v_or_b32_sdwa v136, v136, v149 dst_sel:WORD_1 dst_unused:UNUSED_PAD src0_sel:BYTE_0 src1_sel:DWORD
	v_or_b32_sdwa v149, v174, v158 dst_sel:DWORD dst_unused:UNUSED_PAD src0_sel:WORD_0 src1_sel:DWORD
	v_or_b32_sdwa v158, v162, v159 dst_sel:DWORD dst_unused:UNUSED_PAD src0_sel:WORD_0 src1_sel:DWORD
	v_or_b32_sdwa v159, v163, v160 dst_sel:DWORD dst_unused:UNUSED_PAD src0_sel:WORD_0 src1_sel:DWORD
	v_or_b32_sdwa v160, v164, v161 dst_sel:DWORD dst_unused:UNUSED_PAD src0_sel:WORD_0 src1_sel:DWORD
	v_or_b32_sdwa v161, v169, v143 dst_sel:DWORD dst_unused:UNUSED_PAD src0_sel:WORD_0 src1_sel:DWORD
	v_or_b32_sdwa v162, v170, v142 dst_sel:DWORD dst_unused:UNUSED_PAD src0_sel:WORD_0 src1_sel:DWORD
	v_or_b32_sdwa v163, v171, v141 dst_sel:DWORD dst_unused:UNUSED_PAD src0_sel:WORD_0 src1_sel:DWORD
	v_or_b32_sdwa v164, v172, v137 dst_sel:DWORD dst_unused:UNUSED_PAD src0_sel:WORD_0 src1_sel:DWORD
	v_or_b32_sdwa v148, v148, v136 dst_sel:DWORD dst_unused:UNUSED_PAD src0_sel:WORD_0 src1_sel:DWORD
	ds_read_b128 v[136:139], v131
	ds_read_b128 v[140:143], v131 offset:16
	v_lshrrev_b16 v169, 8, v30
	v_lshrrev_b16 v171, 8, v31
	v_add_nc_u32_e32 v131, 32, v131
	s_waitcnt lgkmcnt(1)
	v_dot4c_i32_i8 v166, v149, v136
	v_mov_b32_e32 v149, 0
	v_dot4c_i32_i8 v166, v158, v137
	v_dot4c_i32_i8 v149, v147, v136
	v_mov_b32_e32 v147, 0
	v_dot4c_i32_i8 v166, v159, v138
	v_dot4c_i32_i8 v149, v146, v137
	;; [unrolled: 1-line block ×3, first 2 shown]
	v_mov_b32_e32 v161, 0
	v_dot4c_i32_i8 v166, v160, v139
	v_dot4c_i32_i8 v149, v145, v138
	;; [unrolled: 1-line block ×4, first 2 shown]
	v_ashrrev_i32_e32 v136, s22, v21
	v_lshrrev_b16 v162, 8, v27
	v_add_nc_u32_e32 v21, s21, v89
	v_dot4c_i32_i8 v147, v163, v138
	v_dot4c_i32_i8 v161, v164, v137
	v_and_b32_e32 v159, 0x3030303, v136
	v_bfe_u32 v136, v136, 24, 2
	v_ashrrev_i32_e32 v137, s22, v22
	v_lshrrev_b16 v164, 8, v28
	v_dot4c_i32_i8 v161, v165, v138
	v_lshrrev_b16 v160, 8, v159
	v_ashrrev_i32_e32 v138, s22, v23
	ds_read_u16 v146, v21 offset:26370
	v_add3_u32 v21, s23, v117, v118
	v_dot4c_i32_i8 v161, v148, v139
	v_sub_nc_u16 v160, v160, v162
	v_lshrrev_b32_e32 v162, 24, v27
	v_add_nc_u32_e32 v23, 0x1098, v133
	ds_read_b32 v148, v21
	v_add_nc_u32_e32 v21, 0x1090, v133
	v_dot4c_i32_i8 v149, v144, v139
	v_sub_nc_u16 v136, v136, v162
	v_lshrrev_b32_e32 v162, 16, v159
	v_sub_nc_u16 v159, v159, v27
	v_lshrrev_b32_e32 v27, 16, v27
	v_dot4c_i32_i8 v147, v150, v139
	v_ashrrev_i32_e32 v139, s22, v24
	ds_read2_b32 v[21:22], v21 offset1:1
	ds_read2_b32 v[23:24], v23 offset1:1
	v_ashrrev_i32_e32 v144, s19, v156
	v_sub_nc_u16 v27, v162, v27
	v_and_b32_e32 v162, 0x3030303, v137
	v_bfe_u32 v137, v137, 24, 2
	v_ashrrev_i32_e32 v145, s19, v157
	v_lshlrev_b32_e32 v144, 2, v144
	v_lshlrev_b16 v160, 8, v160
	v_lshrrev_b16 v163, 8, v162
	v_lshlrev_b16 v136, 8, v136
	v_lshlrev_b32_e32 v145, 2, v145
	v_and_b32_e32 v144, 0x4040404, v144
	v_or_b32_sdwa v159, v159, v160 dst_sel:DWORD dst_unused:UNUSED_PAD src0_sel:BYTE_0 src1_sel:DWORD
	v_sub_nc_u16 v163, v163, v164
	v_lshrrev_b32_e32 v164, 24, v28
	v_and_b32_e32 v145, 0x4040404, v145
	v_lshrrev_b16 v187, 8, v144
	v_or_b32_sdwa v27, v27, v136 dst_sel:WORD_1 dst_unused:UNUSED_PAD src0_sel:BYTE_0 src1_sel:DWORD
	v_lshlrev_b16 v136, 8, v163
	v_sub_nc_u16 v137, v137, v164
	v_lshrrev_b32_e32 v164, 16, v162
	v_sub_nc_u16 v162, v162, v28
	v_lshrrev_b32_e32 v28, 16, v28
	s_waitcnt lgkmcnt(1)
	v_ashrrev_i32_e32 v150, s22, v21
	v_ashrrev_i32_e32 v151, s22, v22
	v_add_nc_u32_e32 v22, s21, v87
	s_waitcnt lgkmcnt(0)
	v_ashrrev_i32_e32 v156, s22, v23
	v_sub_nc_u16 v28, v164, v28
	v_and_b32_e32 v164, 0x3030303, v138
	v_bfe_u32 v138, v138, 24, 2
	v_add_nc_u32_e32 v21, 0x3190, v133
	v_add_nc_u32_e32 v23, 0x3198, v133
	ds_read_u16 v133, v22 offset:28418
	v_lshrrev_b16 v165, 8, v164
	v_add3_u32 v22, s23, v125, v126
	v_ashrrev_i32_e32 v157, s22, v24
	ds_read_b32 v158, v22
	ds_read2_b32 v[21:22], v21 offset1:1
	ds_read2_b32 v[23:24], v23 offset1:1
	v_sub_nc_u16 v165, v165, v167
	v_lshrrev_b32_e32 v167, 24, v29
	v_lshrrev_b16 v189, 8, v145
	v_or_b32_sdwa v27, v159, v27 dst_sel:DWORD dst_unused:UNUSED_PAD src0_sel:WORD_0 src1_sel:DWORD
	v_lshlrev_b16 v137, 8, v137
	v_or_b32_sdwa v136, v162, v136 dst_sel:DWORD dst_unused:UNUSED_PAD src0_sel:BYTE_0 src1_sel:DWORD
	v_sub_nc_u16 v138, v138, v167
	v_lshrrev_b32_e32 v167, 16, v164
	v_sub_nc_u16 v164, v164, v29
	v_lshrrev_b32_e32 v29, 16, v29
	v_or_b32_sdwa v28, v28, v137 dst_sel:WORD_1 dst_unused:UNUSED_PAD src0_sel:BYTE_0 src1_sel:DWORD
	v_lshlrev_b16 v137, 8, v165
	v_lshlrev_b16 v138, 8, v138
	s_add_i32 s19, s19, 1
	v_sub_nc_u16 v29, v167, v29
	v_and_b32_e32 v167, 0x3030303, v139
	v_bfe_u32 v139, v139, 24, 2
	v_or_b32_sdwa v28, v136, v28 dst_sel:DWORD dst_unused:UNUSED_PAD src0_sel:WORD_0 src1_sel:DWORD
	s_waitcnt lgkmcnt(1)
	v_ashrrev_i32_e32 v21, s22, v21
	v_ashrrev_i32_e32 v22, s22, v22
	v_lshrrev_b16 v168, 8, v167
	s_waitcnt lgkmcnt(0)
	v_ashrrev_i32_e32 v23, s22, v23
	v_ashrrev_i32_e32 v24, s22, v24
	v_mov_b32_e32 v136, 0
	v_or_b32_sdwa v137, v164, v137 dst_sel:DWORD dst_unused:UNUSED_PAD src0_sel:BYTE_0 src1_sel:DWORD
	v_sub_nc_u16 v168, v168, v169
	v_lshrrev_b32_e32 v169, 24, v30
	v_or_b32_sdwa v29, v29, v138 dst_sel:WORD_1 dst_unused:UNUSED_PAD src0_sel:BYTE_0 src1_sel:DWORD
	s_cmp_lt_u32 s20, 14
	v_lshlrev_b16 v138, 8, v168
	v_sub_nc_u16 v139, v139, v169
	v_lshrrev_b32_e32 v169, 16, v167
	v_sub_nc_u16 v167, v167, v30
	v_lshrrev_b32_e32 v30, 16, v30
	v_or_b32_sdwa v29, v137, v29 dst_sel:DWORD dst_unused:UNUSED_PAD src0_sel:WORD_0 src1_sel:DWORD
	v_lshlrev_b16 v139, 8, v139
	v_or_b32_sdwa v138, v167, v138 dst_sel:DWORD dst_unused:UNUSED_PAD src0_sel:BYTE_0 src1_sel:DWORD
	v_sub_nc_u16 v30, v169, v30
	v_and_b32_e32 v169, 0x3030303, v150
	v_bfe_u32 v150, v150, 24, 2
	v_or_b32_sdwa v30, v30, v139 dst_sel:WORD_1 dst_unused:UNUSED_PAD src0_sel:BYTE_0 src1_sel:DWORD
	v_lshrrev_b16 v170, 8, v169
	v_or_b32_sdwa v30, v138, v30 dst_sel:DWORD dst_unused:UNUSED_PAD src0_sel:WORD_0 src1_sel:DWORD
	v_sub_nc_u16 v170, v170, v171
	v_lshrrev_b32_e32 v171, 24, v31
	v_lshlrev_b16 v139, 8, v170
	v_sub_nc_u16 v150, v150, v171
	v_lshrrev_b32_e32 v171, 16, v169
	v_sub_nc_u16 v169, v169, v31
	v_lshrrev_b32_e32 v31, 16, v31
	v_lshlrev_b16 v150, 8, v150
	v_or_b32_sdwa v139, v169, v139 dst_sel:DWORD dst_unused:UNUSED_PAD src0_sel:BYTE_0 src1_sel:DWORD
	v_sub_nc_u16 v31, v171, v31
	v_and_b32_e32 v171, 0x3030303, v151
	v_bfe_u32 v151, v151, 24, 2
	v_or_b32_sdwa v31, v31, v150 dst_sel:WORD_1 dst_unused:UNUSED_PAD src0_sel:BYTE_0 src1_sel:DWORD
	v_lshrrev_b16 v172, 8, v171
	v_or_b32_sdwa v31, v139, v31 dst_sel:DWORD dst_unused:UNUSED_PAD src0_sel:WORD_0 src1_sel:DWORD
	v_sub_nc_u16 v172, v172, v173
	v_lshrrev_b32_e32 v173, 24, v32
	v_lshlrev_b16 v150, 8, v172
	v_sub_nc_u16 v151, v151, v173
	v_lshrrev_b32_e32 v173, 16, v171
	v_sub_nc_u16 v171, v171, v32
	v_lshrrev_b32_e32 v32, 16, v32
	;; [unrolled: 15-line block ×3, first 2 shown]
	v_lshlrev_b16 v152, 8, v152
	v_or_b32_sdwa v151, v173, v151 dst_sel:DWORD dst_unused:UNUSED_PAD src0_sel:BYTE_0 src1_sel:DWORD
	v_sub_nc_u16 v33, v175, v33
	v_and_b32_e32 v175, 0x3030303, v153
	v_bfe_u32 v153, v153, 24, 2
	v_or_b32_sdwa v33, v33, v152 dst_sel:WORD_1 dst_unused:UNUSED_PAD src0_sel:BYTE_0 src1_sel:DWORD
	v_lshrrev_b16 v176, 8, v175
	v_or_b32_sdwa v33, v151, v33 dst_sel:DWORD dst_unused:UNUSED_PAD src0_sel:WORD_0 src1_sel:DWORD
	v_sub_nc_u16 v176, v176, v177
	v_lshrrev_b32_e32 v177, 24, v34
	v_dot4c_i32_i8 v136, v33, v140
	v_lshlrev_b16 v152, 8, v176
	v_sub_nc_u16 v153, v153, v177
	v_lshrrev_b32_e32 v177, 16, v175
	v_sub_nc_u16 v175, v175, v34
	v_lshrrev_b32_e32 v34, 16, v34
	v_lshlrev_b16 v153, 8, v153
	v_or_b32_sdwa v152, v175, v152 dst_sel:DWORD dst_unused:UNUSED_PAD src0_sel:BYTE_0 src1_sel:DWORD
	v_sub_nc_u16 v34, v177, v34
	v_and_b32_e32 v177, 0x3030303, v21
	v_bfe_u32 v21, v21, 24, 2
	v_or_b32_sdwa v34, v34, v153 dst_sel:WORD_1 dst_unused:UNUSED_PAD src0_sel:BYTE_0 src1_sel:DWORD
	v_lshrrev_b16 v178, 8, v177
	v_or_b32_sdwa v34, v152, v34 dst_sel:DWORD dst_unused:UNUSED_PAD src0_sel:WORD_0 src1_sel:DWORD
	v_sub_nc_u16 v178, v178, v179
	v_lshrrev_b32_e32 v179, 24, v35
	v_dot4c_i32_i8 v136, v34, v141
	v_lshlrev_b16 v153, 8, v178
	v_sub_nc_u16 v21, v21, v179
	v_lshrrev_b32_e32 v179, 16, v177
	v_sub_nc_u16 v177, v177, v35
	v_lshrrev_b32_e32 v35, 16, v35
	v_lshlrev_b16 v21, 8, v21
	v_or_b32_sdwa v153, v177, v153 dst_sel:DWORD dst_unused:UNUSED_PAD src0_sel:BYTE_0 src1_sel:DWORD
	v_sub_nc_u16 v35, v179, v35
	v_and_b32_e32 v179, 0x3030303, v22
	v_bfe_u32 v22, v22, 24, 2
	v_or_b32_sdwa v21, v35, v21 dst_sel:WORD_1 dst_unused:UNUSED_PAD src0_sel:BYTE_0 src1_sel:DWORD
	v_lshrrev_b16 v180, 8, v179
	v_or_b32_sdwa v21, v153, v21 dst_sel:DWORD dst_unused:UNUSED_PAD src0_sel:WORD_0 src1_sel:DWORD
	v_sub_nc_u16 v180, v180, v181
	v_lshrrev_b32_e32 v181, 24, v36
	v_lshlrev_b16 v35, 8, v180
	v_sub_nc_u16 v22, v22, v181
	v_lshrrev_b32_e32 v181, 16, v179
	v_sub_nc_u16 v179, v179, v36
	v_lshrrev_b32_e32 v36, 16, v36
	v_lshlrev_b16 v22, 8, v22
	v_or_b32_sdwa v35, v179, v35 dst_sel:DWORD dst_unused:UNUSED_PAD src0_sel:BYTE_0 src1_sel:DWORD
	v_sub_nc_u16 v36, v181, v36
	v_and_b32_e32 v181, 0x3030303, v156
	v_bfe_u32 v156, v156, 24, 2
	v_or_b32_sdwa v22, v36, v22 dst_sel:WORD_1 dst_unused:UNUSED_PAD src0_sel:BYTE_0 src1_sel:DWORD
	v_lshrrev_b16 v182, 8, v181
	v_or_b32_sdwa v22, v35, v22 dst_sel:DWORD dst_unused:UNUSED_PAD src0_sel:WORD_0 src1_sel:DWORD
	v_sub_nc_u16 v182, v182, v183
	v_lshrrev_b32_e32 v183, 24, v25
	;; [unrolled: 15-line block ×5, first 2 shown]
	v_dot4c_i32_i8 v136, v35, v142
	v_lshlrev_b16 v154, 8, v188
	v_sub_nc_u16 v155, v155, v189
	v_lshrrev_b32_e32 v189, 16, v187
	v_sub_nc_u16 v187, v187, v145
	v_lshrrev_b32_e32 v145, 16, v145
	v_lshlrev_b16 v155, 8, v155
	v_or_b32_sdwa v154, v187, v154 dst_sel:DWORD dst_unused:UNUSED_PAD src0_sel:BYTE_0 src1_sel:DWORD
	v_sub_nc_u16 v145, v189, v145
	v_and_b32_e32 v189, 0x3030303, v23
	v_bfe_u32 v23, v23, 24, 2
	v_or_b32_sdwa v145, v145, v155 dst_sel:WORD_1 dst_unused:UNUSED_PAD src0_sel:BYTE_0 src1_sel:DWORD
	v_lshrrev_b16 v190, 8, v189
	v_or_b32_sdwa v36, v154, v145 dst_sel:DWORD dst_unused:UNUSED_PAD src0_sel:WORD_0 src1_sel:DWORD
	v_sub_nc_u16 v190, v190, v191
	v_lshrrev_b32_e32 v191, 24, v37
	v_dot4c_i32_i8 v136, v36, v143
	v_lshlrev_b16 v155, 8, v190
	v_sub_nc_u16 v23, v23, v191
	v_lshrrev_b32_e32 v191, 16, v189
	v_sub_nc_u16 v189, v189, v37
	v_lshrrev_b32_e32 v37, 16, v37
	v_lshlrev_b16 v23, 8, v23
	v_or_b32_sdwa v155, v189, v155 dst_sel:DWORD dst_unused:UNUSED_PAD src0_sel:BYTE_0 src1_sel:DWORD
	v_sub_nc_u16 v37, v191, v37
	v_and_b32_e32 v191, 0x3030303, v24
	v_bfe_u32 v24, v24, 24, 2
	v_or_b32_sdwa v23, v37, v23 dst_sel:WORD_1 dst_unused:UNUSED_PAD src0_sel:BYTE_0 src1_sel:DWORD
	v_lshrrev_b16 v192, 8, v191
	v_or_b32_sdwa v23, v155, v23 dst_sel:DWORD dst_unused:UNUSED_PAD src0_sel:WORD_0 src1_sel:DWORD
	v_sub_nc_u16 v192, v192, v193
	v_lshrrev_b32_e32 v193, 24, v38
	v_lshlrev_b16 v37, 8, v192
	v_sub_nc_u16 v24, v24, v193
	v_lshrrev_b32_e32 v193, 16, v191
	v_sub_nc_u16 v191, v191, v38
	v_lshrrev_b32_e32 v38, 16, v38
	v_lshlrev_b16 v24, 8, v24
	v_or_b32_sdwa v37, v191, v37 dst_sel:DWORD dst_unused:UNUSED_PAD src0_sel:BYTE_0 src1_sel:DWORD
	v_sub_nc_u16 v38, v193, v38
	v_or_b32_sdwa v24, v38, v24 dst_sel:WORD_1 dst_unused:UNUSED_PAD src0_sel:BYTE_0 src1_sel:DWORD
	v_mov_b32_e32 v38, 0
	v_or_b32_sdwa v24, v37, v24 dst_sel:DWORD dst_unused:UNUSED_PAD src0_sel:WORD_0 src1_sel:DWORD
	v_mov_b32_e32 v37, 0
	v_dot4c_i32_i8 v38, v27, v140
	v_add_nc_u32_e32 v27, s21, v90
	v_dot4c_i32_i8 v37, v31, v140
	v_mov_b32_e32 v31, 0
	v_dot4c_i32_i8 v38, v28, v141
	v_dot4c_i32_i8 v37, v32, v141
	;; [unrolled: 1-line block ×3, first 2 shown]
	v_add_nc_u32_e32 v21, s21, v88
	ds_read_u16 v27, v27 offset:25346
	ds_read_u16 v21, v21 offset:27394
	v_dot4c_i32_i8 v31, v22, v141
	v_bfe_i32 v22, v146, 0, 8
	v_dot4c_i32_i8 v38, v29, v142
	v_lshrrev_b16 v29, 8, v133
	v_bfe_i32 v133, v133, 0, 8
	v_dot4c_i32_i8 v31, v23, v142
	v_mul_lo_u32 v22, v149, v22
	v_dot4c_i32_i8 v37, v25, v142
	v_dot4c_i32_i8 v38, v30, v143
	ds_read_b32 v33, v132
	v_dot4c_i32_i8 v31, v24, v143
	v_mul_lo_u32 v24, v161, v133
	v_dot4c_i32_i8 v37, v26, v143
	v_bfe_i32 v29, v29, 0, 8
	v_add_nc_u32_e32 v132, 4, v132
	s_mov_b32 s21, s20
	s_waitcnt lgkmcnt(2)
	v_lshrrev_b16 v28, 8, v27
	v_bfe_i32 v27, v27, 0, 8
	s_waitcnt lgkmcnt(1)
	v_lshrrev_b16 v32, 8, v21
	v_bfe_i32 v34, v21, 0, 8
	v_lshrrev_b16 v21, 8, v146
	v_bfe_i32 v28, v28, 0, 8
	v_bfe_i32 v32, v32, 0, 8
	v_mul_lo_u32 v23, v147, v34
	v_bfe_i32 v137, v21, 0, 8
	v_mul_lo_u32 v21, v166, v27
	v_mad_u64_u32 v[25:26], null, v38, v28, v[21:22]
	v_mad_u64_u32 v[26:27], null, v37, v137, v[22:23]
	;; [unrolled: 1-line block ×3, first 2 shown]
	s_waitcnt lgkmcnt(0)
	v_mul_f32_e32 v21, v33, v135
	v_mul_f32_e32 v22, v33, v148
	v_mad_u64_u32 v[28:29], null, v31, v29, v[24:25]
	v_mul_f32_e32 v23, v33, v134
	v_mul_f32_e32 v24, v33, v158
	v_cvt_f32_i32_e32 v25, v25
	v_cvt_f32_i32_e32 v26, v26
	;; [unrolled: 1-line block ×4, first 2 shown]
	v_fmac_f32_e32 v40, v21, v25
	v_fmac_f32_e32 v86, v22, v26
	;; [unrolled: 1-line block ×4, first 2 shown]
	s_cbranch_scc1 .LBB210_19
; %bb.20:                               ;   in Loop: Header=BB210_5 Depth=1
	s_or_b32 s1, s4, 0x100
	s_cmp_ge_i32 s1, s9
	s_barrier
	buffer_gl0_inv
	s_cbranch_scc1 .LBB210_4
; %bb.21:                               ;   in Loop: Header=BB210_5 Depth=1
	v_add_nc_u32_e32 v21, s5, v97
	v_cmp_gt_i32_e64 s1, s8, v21
	s_and_b32 s19, s0, s1
	s_and_saveexec_b32 s1, s19
	s_cbranch_execz .LBB210_23
; %bb.22:                               ;   in Loop: Header=BB210_5 Depth=1
	v_add_nc_u32_e32 v21, v99, v21
	v_mad_i64_i32 v[21:22], null, v21, 36, v[19:20]
	global_load_dword v21, v[21:22], off offset:4
	s_waitcnt vmcnt(0)
	ds_write_b32 v82, v21
.LBB210_23:                             ;   in Loop: Header=BB210_5 Depth=1
	s_or_b32 exec_lo, exec_lo, s1
	s_and_saveexec_b32 s19, vcc_lo
	s_cbranch_execz .LBB210_26
; %bb.24:                               ;   in Loop: Header=BB210_5 Depth=1
	v_or_b32_e32 v21, 8, v130
	v_cmp_gt_i32_e64 s1, s8, v21
	s_and_b32 s1, s0, s1
	s_and_b32 exec_lo, exec_lo, s1
	s_cbranch_execz .LBB210_26
; %bb.25:                               ;   in Loop: Header=BB210_5 Depth=1
	v_ashrrev_i32_e32 v21, 31, v130
	v_add_co_u32 v22, s1, v99, v130
	v_add_co_ci_u32_e64 v23, null, v103, v21, s1
	v_mad_u64_u32 v[21:22], null, v22, 36, s[2:3]
	v_mad_i32_i24 v22, v23, 36, v22
	global_load_dword v21, v[21:22], off offset:288
	s_waitcnt vmcnt(0)
	v_cvt_f32_f16_e32 v21, v21
	ds_write_b32 v84, v21
.LBB210_26:                             ;   in Loop: Header=BB210_5 Depth=1
	s_or_b32 exec_lo, exec_lo, s19
	v_mov_b32_e32 v131, v1
	v_mov_b32_e32 v132, v83
	s_mov_b32 s1, 16
	s_mov_b32 s21, 14
	;; [unrolled: 1-line block ×3, first 2 shown]
	s_waitcnt lgkmcnt(0)
	s_barrier
	buffer_gl0_inv
.LBB210_27:                             ;   Parent Loop BB210_5 Depth=1
                                        ; =>  This Inner Loop Header: Depth=2
	s_add_i32 s20, s21, 2
	s_add_i32 s22, s21, -14
	s_lshr_b32 s23, s20, 4
	s_and_b32 s24, s20, 0x3ffffff8
	s_lshl_b32 s25, s23, 5
	v_lshl_add_u32 v133, s24, 2, v101
	s_add_i32 s24, s25, 0x4200
	s_lshl_b32 s23, s23, 2
	v_add3_u32 v25, s24, v127, v114
	v_add3_u32 v26, s24, v115, v116
	;; [unrolled: 1-line block ×3, first 2 shown]
	v_add_nc_u32_e32 v38, 0x1080, v133
	ds_read2_b32 v[35:36], v133 offset1:1
	ds_read2_b32 v[33:34], v133 offset0:2 offset1:3
	ds_read2_b32 v[21:22], v133 offset0:4 offset1:5
	;; [unrolled: 1-line block ×3, first 2 shown]
	ds_read2_b32 v[135:136], v25 offset1:1
	ds_read2_b32 v[137:138], v25 offset0:2 offset1:3
	ds_read2_b32 v[139:140], v26 offset1:1
	ds_read2_b32 v[141:142], v26 offset0:2 offset1:3
	ds_read2_b32 v[148:149], v134 offset0:2 offset1:3
	ds_read2_b32 v[27:28], v25 offset0:4 offset1:5
	ds_read2_b32 v[29:30], v25 offset0:6 offset1:7
	ds_read2_b32 v[31:32], v26 offset0:4 offset1:5
	ds_read2_b32 v[150:151], v38 offset1:1
	ds_read2_b32 v[25:26], v26 offset0:6 offset1:7
	v_add_nc_u32_e32 v37, 0x2100, v133
	s_addk_i32 s23, 0x7380
	v_add_nc_u32_e32 v154, 0x2118, v133
	s_waitcnt lgkmcnt(13)
	v_ashrrev_i32_e32 v158, s22, v35
	v_ashrrev_i32_e32 v159, s22, v36
	s_waitcnt lgkmcnt(12)
	v_ashrrev_i32_e32 v160, s22, v33
	v_ashrrev_i32_e32 v161, s22, v34
	s_waitcnt lgkmcnt(9)
	v_ashrrev_i32_e32 v162, s19, v135
	v_and_b32_e32 v174, 0x3030303, v158
	v_ashrrev_i32_e32 v163, s19, v136
	v_bfe_u32 v158, v158, 24, 2
	ds_read2_b32 v[33:34], v134 offset0:4 offset1:5
	ds_read2_b32 v[152:153], v37 offset1:1
	ds_read2_b32 v[35:36], v134 offset1:1
	v_lshlrev_b32_e32 v162, 2, v162
	v_lshrrev_b16 v175, 8, v174
	v_lshlrev_b32_e32 v163, 2, v163
	s_waitcnt lgkmcnt(11)
	v_ashrrev_i32_e32 v164, s19, v137
	v_add3_u32 v37, s24, v123, v124
	v_and_b32_e32 v162, 0x4040404, v162
	v_ashrrev_i32_e32 v165, s19, v138
	v_and_b32_e32 v163, 0x4040404, v163
	v_lshlrev_b32_e32 v164, 2, v164
	s_waitcnt lgkmcnt(10)
	v_ashrrev_i32_e32 v146, s19, v140
	v_lshrrev_b16 v176, 8, v162
	s_waitcnt lgkmcnt(9)
	v_ashrrev_i32_e32 v145, s19, v141
	v_lshrrev_b16 v178, 8, v163
	v_and_b32_e32 v164, 0x4040404, v164
	v_ashrrev_i32_e32 v144, s19, v142
	v_sub_nc_u16 v175, v175, v176
	v_lshrrev_b32_e32 v176, 24, v162
	s_waitcnt lgkmcnt(8)
	v_ashrrev_i32_e32 v141, s19, v148
	v_lshrrev_b16 v180, 8, v164
	s_waitcnt lgkmcnt(0)
	v_ashrrev_i32_e32 v143, s19, v35
	v_add_nc_u32_e32 v35, 0x3180, v133
	v_sub_nc_u16 v158, v158, v176
	v_lshrrev_b32_e32 v176, 16, v174
	v_sub_nc_u16 v174, v174, v162
	v_lshrrev_b32_e32 v162, 16, v162
	v_ashrrev_i32_e32 v142, s19, v36
	v_ashrrev_i32_e32 v140, s19, v149
	ds_read2_b32 v[148:149], v35 offset1:1
	ds_read2_b32 v[35:36], v37 offset1:1
	v_lshlrev_b32_e32 v165, 2, v165
	v_sub_nc_u16 v162, v176, v162
	v_and_b32_e32 v176, 0x3030303, v159
	v_bfe_u32 v159, v159, 24, 2
	v_ashrrev_i32_e32 v147, s19, v139
	v_and_b32_e32 v165, 0x4040404, v165
	v_ashrrev_i32_e32 v166, s22, v150
	v_lshrrev_b16 v177, 8, v176
	v_add_nc_u32_e32 v150, 0x1088, v133
	v_lshlrev_b32_e32 v147, 2, v147
	v_lshrrev_b16 v182, 8, v165
	v_ashrrev_i32_e32 v167, s22, v151
	v_sub_nc_u16 v177, v177, v178
	v_lshrrev_b32_e32 v178, 24, v163
	v_and_b32_e32 v147, 0x4040404, v147
	v_lshlrev_b32_e32 v146, 2, v146
	v_lshlrev_b32_e32 v145, 2, v145
	;; [unrolled: 1-line block ×3, first 2 shown]
	v_sub_nc_u16 v159, v159, v178
	v_lshrrev_b32_e32 v178, 16, v176
	v_sub_nc_u16 v176, v176, v163
	v_lshrrev_b32_e32 v163, 16, v163
	s_waitcnt lgkmcnt(0)
	v_ashrrev_i32_e32 v139, s19, v35
	v_ashrrev_i32_e32 v137, s19, v36
	ds_read2_b32 v[135:136], v37 offset0:2 offset1:3
	ds_read2_b32 v[35:36], v37 offset0:4 offset1:5
	;; [unrolled: 1-line block ×3, first 2 shown]
	v_lshrrev_b16 v184, 8, v147
	v_sub_nc_u16 v163, v178, v163
	v_and_b32_e32 v178, 0x3030303, v160
	v_bfe_u32 v160, v160, 24, 2
	ds_read2_b32 v[150:151], v150 offset1:1
	v_and_b32_e32 v146, 0x4040404, v146
	v_and_b32_e32 v145, 0x4040404, v145
	v_lshrrev_b16 v179, 8, v178
	v_and_b32_e32 v144, 0x4040404, v144
	v_ashrrev_i32_e32 v170, s22, v152
	v_lshrrev_b16 v186, 8, v146
	v_lshrrev_b16 v188, 8, v145
	v_sub_nc_u16 v179, v179, v180
	v_lshrrev_b32_e32 v180, 24, v164
	v_lshrrev_b16 v190, 8, v144
	v_lshlrev_b32_e32 v143, 2, v143
	v_add_nc_u32_e32 v152, 0x2110, v133
	s_waitcnt lgkmcnt(3)
	v_ashrrev_i32_e32 v138, s19, v135
	v_sub_nc_u16 v160, v160, v180
	v_lshrrev_b32_e32 v180, 16, v178
	v_sub_nc_u16 v178, v178, v164
	v_lshrrev_b32_e32 v164, 16, v164
	v_add3_u32 v135, s23, v128, v129
	v_and_b32_e32 v143, 0x4040404, v143
	s_waitcnt lgkmcnt(0)
	v_ashrrev_i32_e32 v168, s22, v150
	v_ashrrev_i32_e32 v169, s22, v151
	v_sub_nc_u16 v164, v180, v164
	v_and_b32_e32 v180, 0x3030303, v161
	v_bfe_u32 v161, v161, 24, 2
	ds_read_b32 v135, v135
	v_lshrrev_b16 v192, 8, v143
	v_add_nc_u32_e32 v150, 0x2108, v133
	v_lshrrev_b16 v181, 8, v180
	v_ashrrev_i32_e32 v171, s22, v153
	v_lshlrev_b32_e32 v142, 2, v142
	ds_read2_b32 v[150:151], v150 offset1:1
	ds_read2_b32 v[152:153], v152 offset1:1
	;; [unrolled: 1-line block ×3, first 2 shown]
	ds_read2_b32 v[156:157], v134 offset0:6 offset1:7
	v_sub_nc_u16 v181, v181, v182
	v_lshrrev_b32_e32 v182, 24, v165
	v_and_b32_e32 v142, 0x4040404, v142
	v_lshlrev_b32_e32 v141, 2, v141
	v_lshlrev_b32_e32 v140, 2, v140
	v_ashrrev_i32_e32 v172, s22, v148
	v_sub_nc_u16 v161, v161, v182
	v_lshrrev_b32_e32 v182, 16, v180
	v_sub_nc_u16 v180, v180, v165
	v_lshrrev_b32_e32 v165, 16, v165
	v_lshrrev_b16 v194, 8, v142
	v_and_b32_e32 v141, 0x4040404, v141
	v_and_b32_e32 v140, 0x4040404, v140
	v_lshlrev_b32_e32 v139, 2, v139
	v_sub_nc_u16 v165, v182, v165
	v_and_b32_e32 v182, 0x3030303, v166
	v_bfe_u32 v166, v166, 24, 2
	s_waitcnt lgkmcnt(3)
	v_ashrrev_i32_e32 v150, s22, v150
	v_lshrrev_b16 v196, 8, v141
	v_ashrrev_i32_e32 v151, s22, v151
	v_lshrrev_b16 v183, 8, v182
	v_lshrrev_b16 v198, 8, v140
	v_and_b32_e32 v139, 0x4040404, v139
	v_add3_u32 v134, s23, v121, v122
	v_add_nc_u32_e32 v148, 0x3188, v133
	v_sub_nc_u16 v183, v183, v184
	v_lshrrev_b32_e32 v184, 24, v147
	v_lshrrev_b16 v200, 8, v139
	ds_read_b32 v134, v134
	v_ashrrev_i32_e32 v173, s22, v149
	ds_read2_b32 v[148:149], v148 offset1:1
	v_sub_nc_u16 v166, v166, v184
	v_lshrrev_b32_e32 v184, 16, v182
	v_sub_nc_u16 v182, v182, v147
	v_lshrrev_b32_e32 v147, 16, v147
	v_lshlrev_b32_e32 v137, 2, v137
	v_lshlrev_b32_e32 v138, 2, v138
	v_ashrrev_i32_e32 v136, s19, v136
	v_lshlrev_b16 v158, 8, v158
	v_sub_nc_u16 v147, v184, v147
	v_and_b32_e32 v184, 0x3030303, v167
	v_bfe_u32 v167, v167, 24, 2
	v_and_b32_e32 v137, 0x4040404, v137
	v_and_b32_e32 v138, 0x4040404, v138
	v_lshlrev_b32_e32 v136, 2, v136
	v_lshrrev_b16 v185, 8, v184
	v_lshlrev_b16 v159, 8, v159
	v_lshrrev_b16 v202, 8, v137
	v_lshrrev_b16 v204, 8, v138
	v_and_b32_e32 v136, 0x4040404, v136
	v_sub_nc_u16 v185, v185, v186
	v_lshrrev_b32_e32 v186, 24, v146
	s_waitcnt lgkmcnt(0)
	v_ashrrev_i32_e32 v148, s22, v148
	v_ashrrev_i32_e32 v149, s22, v149
	v_lshrrev_b16 v206, 8, v136
	v_lshlrev_b16 v160, 8, v160
	v_sub_nc_u16 v167, v167, v186
	v_lshrrev_b32_e32 v186, 16, v184
	v_sub_nc_u16 v184, v184, v146
	v_lshrrev_b32_e32 v146, 16, v146
	v_lshlrev_b16 v161, 8, v161
	v_lshlrev_b16 v175, 8, v175
	v_or_b32_sdwa v158, v162, v158 dst_sel:WORD_1 dst_unused:UNUSED_PAD src0_sel:BYTE_0 src1_sel:DWORD
	v_lshlrev_b16 v162, 8, v177
	v_sub_nc_u16 v146, v186, v146
	v_and_b32_e32 v186, 0x3030303, v168
	v_bfe_u32 v168, v168, 24, 2
	v_or_b32_sdwa v159, v163, v159 dst_sel:WORD_1 dst_unused:UNUSED_PAD src0_sel:BYTE_0 src1_sel:DWORD
	v_lshlrev_b16 v163, 8, v179
	v_or_b32_sdwa v160, v164, v160 dst_sel:WORD_1 dst_unused:UNUSED_PAD src0_sel:BYTE_0 src1_sel:DWORD
	v_lshrrev_b16 v187, 8, v186
	v_lshlrev_b16 v164, 8, v181
	v_or_b32_sdwa v161, v165, v161 dst_sel:WORD_1 dst_unused:UNUSED_PAD src0_sel:BYTE_0 src1_sel:DWORD
	v_lshlrev_b16 v165, 8, v183
	v_lshlrev_b16 v166, 8, v166
	v_sub_nc_u16 v187, v187, v188
	v_lshrrev_b32_e32 v188, 24, v145
	v_or_b32_sdwa v174, v174, v175 dst_sel:DWORD dst_unused:UNUSED_PAD src0_sel:BYTE_0 src1_sel:DWORD
	v_or_b32_sdwa v162, v176, v162 dst_sel:DWORD dst_unused:UNUSED_PAD src0_sel:BYTE_0 src1_sel:DWORD
	;; [unrolled: 1-line block ×4, first 2 shown]
	v_sub_nc_u16 v168, v168, v188
	v_lshrrev_b32_e32 v188, 16, v186
	v_sub_nc_u16 v186, v186, v145
	v_lshrrev_b32_e32 v145, 16, v145
	v_or_b32_sdwa v165, v182, v165 dst_sel:DWORD dst_unused:UNUSED_PAD src0_sel:BYTE_0 src1_sel:DWORD
	v_or_b32_sdwa v147, v147, v166 dst_sel:WORD_1 dst_unused:UNUSED_PAD src0_sel:BYTE_0 src1_sel:DWORD
	v_lshlrev_b16 v166, 8, v185
	v_lshlrev_b16 v167, 8, v167
	v_sub_nc_u16 v145, v188, v145
	v_and_b32_e32 v188, 0x3030303, v169
	v_bfe_u32 v169, v169, 24, 2
	v_or_b32_sdwa v147, v165, v147 dst_sel:DWORD dst_unused:UNUSED_PAD src0_sel:WORD_0 src1_sel:DWORD
	v_or_b32_sdwa v166, v184, v166 dst_sel:DWORD dst_unused:UNUSED_PAD src0_sel:BYTE_0 src1_sel:DWORD
	v_or_b32_sdwa v146, v146, v167 dst_sel:WORD_1 dst_unused:UNUSED_PAD src0_sel:BYTE_0 src1_sel:DWORD
	v_lshrrev_b16 v189, 8, v188
	v_ashrrev_i32_e32 v27, s19, v27
	v_ashrrev_i32_e32 v28, s19, v28
	v_lshlrev_b16 v167, 8, v187
	v_or_b32_sdwa v146, v166, v146 dst_sel:DWORD dst_unused:UNUSED_PAD src0_sel:WORD_0 src1_sel:DWORD
	v_sub_nc_u16 v189, v189, v190
	v_lshrrev_b32_e32 v190, 24, v144
	v_mov_b32_e32 v166, 0
	v_lshlrev_b32_e32 v27, 2, v27
	v_lshlrev_b32_e32 v28, 2, v28
	v_lshlrev_b16 v168, 8, v168
	v_sub_nc_u16 v169, v169, v190
	v_lshrrev_b32_e32 v190, 16, v188
	v_sub_nc_u16 v188, v188, v144
	v_lshrrev_b32_e32 v144, 16, v144
	v_and_b32_e32 v27, 0x4040404, v27
	v_lshlrev_b16 v169, 8, v169
	v_and_b32_e32 v28, 0x4040404, v28
	v_or_b32_sdwa v167, v186, v167 dst_sel:DWORD dst_unused:UNUSED_PAD src0_sel:BYTE_0 src1_sel:DWORD
	v_sub_nc_u16 v144, v190, v144
	v_and_b32_e32 v190, 0x3030303, v170
	v_bfe_u32 v170, v170, 24, 2
	v_or_b32_sdwa v145, v145, v168 dst_sel:WORD_1 dst_unused:UNUSED_PAD src0_sel:BYTE_0 src1_sel:DWORD
	v_ashrrev_i32_e32 v29, s19, v29
	v_or_b32_sdwa v144, v144, v169 dst_sel:WORD_1 dst_unused:UNUSED_PAD src0_sel:BYTE_0 src1_sel:DWORD
	v_lshrrev_b16 v191, 8, v190
	s_and_b32 s24, s1, -16
	v_or_b32_sdwa v145, v167, v145 dst_sel:DWORD dst_unused:UNUSED_PAD src0_sel:WORD_0 src1_sel:DWORD
	v_lshlrev_b32_e32 v29, 2, v29
	s_add_i32 s21, s21, s24
	v_sub_nc_u16 v191, v191, v192
	v_lshrrev_b32_e32 v192, 24, v143
	v_lshlrev_b16 v168, 8, v189
	v_and_b32_e32 v29, 0x4040404, v29
	v_ashrrev_i32_e32 v30, s19, v30
	v_lshlrev_b16 v169, 8, v191
	v_sub_nc_u16 v170, v170, v192
	v_lshrrev_b32_e32 v192, 16, v190
	v_sub_nc_u16 v190, v190, v143
	v_lshrrev_b32_e32 v143, 16, v143
	v_or_b32_sdwa v168, v188, v168 dst_sel:DWORD dst_unused:UNUSED_PAD src0_sel:BYTE_0 src1_sel:DWORD
	v_lshlrev_b16 v170, 8, v170
	v_lshrrev_b16 v167, 8, v29
	v_or_b32_sdwa v169, v190, v169 dst_sel:DWORD dst_unused:UNUSED_PAD src0_sel:BYTE_0 src1_sel:DWORD
	v_sub_nc_u16 v143, v192, v143
	v_and_b32_e32 v192, 0x3030303, v171
	v_bfe_u32 v171, v171, 24, 2
	v_or_b32_sdwa v144, v168, v144 dst_sel:DWORD dst_unused:UNUSED_PAD src0_sel:WORD_0 src1_sel:DWORD
	v_lshlrev_b32_e32 v30, 2, v30
	v_or_b32_sdwa v143, v143, v170 dst_sel:WORD_1 dst_unused:UNUSED_PAD src0_sel:BYTE_0 src1_sel:DWORD
	v_lshrrev_b16 v193, 8, v192
	v_ashrrev_i32_e32 v31, s19, v31
	v_ashrrev_i32_e32 v32, s19, v32
	v_and_b32_e32 v30, 0x4040404, v30
	v_ashrrev_i32_e32 v33, s19, v33
	v_sub_nc_u16 v193, v193, v194
	v_lshrrev_b32_e32 v194, 24, v142
	v_lshlrev_b32_e32 v31, 2, v31
	v_lshlrev_b32_e32 v32, 2, v32
	v_ashrrev_i32_e32 v152, s22, v152
	v_lshlrev_b16 v170, 8, v193
	v_sub_nc_u16 v171, v171, v194
	v_lshrrev_b32_e32 v194, 16, v192
	v_sub_nc_u16 v192, v192, v142
	v_lshrrev_b32_e32 v142, 16, v142
	v_and_b32_e32 v31, 0x4040404, v31
	v_lshlrev_b16 v171, 8, v171
	v_and_b32_e32 v32, 0x4040404, v32
	v_or_b32_sdwa v170, v192, v170 dst_sel:DWORD dst_unused:UNUSED_PAD src0_sel:BYTE_0 src1_sel:DWORD
	v_sub_nc_u16 v142, v194, v142
	v_and_b32_e32 v194, 0x3030303, v150
	v_bfe_u32 v150, v150, 24, 2
	v_lshlrev_b32_e32 v33, 2, v33
	v_ashrrev_i32_e32 v34, s19, v34
	v_or_b32_sdwa v142, v142, v171 dst_sel:WORD_1 dst_unused:UNUSED_PAD src0_sel:BYTE_0 src1_sel:DWORD
	v_lshrrev_b16 v195, 8, v194
	v_ashrrev_i32_e32 v153, s22, v153
	v_and_b32_e32 v33, 0x4040404, v33
	v_lshlrev_b32_e32 v34, 2, v34
	v_ashrrev_i32_e32 v35, s19, v35
	v_sub_nc_u16 v195, v195, v196
	v_lshrrev_b32_e32 v196, 24, v141
	v_lshrrev_b16 v175, 8, v33
	v_and_b32_e32 v34, 0x4040404, v34
	v_lshlrev_b32_e32 v35, 2, v35
	v_lshlrev_b16 v171, 8, v195
	v_sub_nc_u16 v150, v150, v196
	v_lshrrev_b32_e32 v196, 16, v194
	v_sub_nc_u16 v194, v194, v141
	v_lshrrev_b32_e32 v141, 16, v141
	v_lshrrev_b16 v177, 8, v34
	v_lshlrev_b16 v150, 8, v150
	v_and_b32_e32 v35, 0x4040404, v35
	v_or_b32_sdwa v171, v194, v171 dst_sel:DWORD dst_unused:UNUSED_PAD src0_sel:BYTE_0 src1_sel:DWORD
	v_sub_nc_u16 v141, v196, v141
	v_and_b32_e32 v196, 0x3030303, v151
	v_bfe_u32 v151, v151, 24, 2
	v_lshrrev_b16 v179, 8, v35
	v_ashrrev_i32_e32 v36, s19, v36
	v_or_b32_sdwa v141, v141, v150 dst_sel:WORD_1 dst_unused:UNUSED_PAD src0_sel:BYTE_0 src1_sel:DWORD
	v_lshrrev_b16 v197, 8, v196
	v_ashrrev_i32_e32 v25, s19, v25
	v_ashrrev_i32_e32 v26, s19, v26
	v_lshlrev_b32_e32 v36, 2, v36
	v_ashrrev_i32_e32 v154, s22, v154
	v_sub_nc_u16 v197, v197, v198
	v_lshrrev_b32_e32 v198, 24, v140
	v_lshlrev_b32_e32 v25, 2, v25
	v_and_b32_e32 v36, 0x4040404, v36
	v_lshlrev_b32_e32 v26, 2, v26
	v_lshlrev_b16 v150, 8, v197
	v_sub_nc_u16 v151, v151, v198
	v_lshrrev_b32_e32 v198, 16, v196
	v_sub_nc_u16 v196, v196, v140
	v_lshrrev_b32_e32 v140, 16, v140
	v_lshrrev_b16 v181, 8, v36
	v_lshlrev_b16 v151, 8, v151
	v_and_b32_e32 v25, 0x4040404, v25
	v_or_b32_sdwa v150, v196, v150 dst_sel:DWORD dst_unused:UNUSED_PAD src0_sel:BYTE_0 src1_sel:DWORD
	v_sub_nc_u16 v140, v198, v140
	v_and_b32_e32 v198, 0x3030303, v172
	v_bfe_u32 v172, v172, 24, 2
	v_lshrrev_b16 v183, 8, v25
	v_and_b32_e32 v26, 0x4040404, v26
	v_or_b32_sdwa v140, v140, v151 dst_sel:WORD_1 dst_unused:UNUSED_PAD src0_sel:BYTE_0 src1_sel:DWORD
	v_lshrrev_b16 v199, 8, v198
	v_ashrrev_i32_e32 v155, s22, v155
	v_ashrrev_i32_e32 v37, s19, v37
	v_lshrrev_b16 v185, 8, v26
	v_or_b32_sdwa v150, v150, v140 dst_sel:DWORD dst_unused:UNUSED_PAD src0_sel:WORD_0 src1_sel:DWORD
	v_sub_nc_u16 v199, v199, v200
	v_lshrrev_b32_e32 v200, 24, v139
	v_lshlrev_b32_e32 v37, 2, v37
	v_ashrrev_i32_e32 v38, s19, v38
	s_add_i32 s1, s1, 2
	v_lshlrev_b16 v151, 8, v199
	v_sub_nc_u16 v172, v172, v200
	v_lshrrev_b32_e32 v200, 16, v198
	v_sub_nc_u16 v198, v198, v139
	v_lshrrev_b32_e32 v139, 16, v139
	v_and_b32_e32 v37, 0x4040404, v37
	v_lshlrev_b16 v172, 8, v172
	v_lshlrev_b32_e32 v38, 2, v38
	v_or_b32_sdwa v151, v198, v151 dst_sel:DWORD dst_unused:UNUSED_PAD src0_sel:BYTE_0 src1_sel:DWORD
	v_sub_nc_u16 v139, v200, v139
	v_and_b32_e32 v200, 0x3030303, v173
	v_bfe_u32 v173, v173, 24, 2
	v_lshrrev_b16 v191, 8, v37
	v_and_b32_e32 v38, 0x4040404, v38
	v_or_b32_sdwa v139, v139, v172 dst_sel:WORD_1 dst_unused:UNUSED_PAD src0_sel:BYTE_0 src1_sel:DWORD
	v_lshrrev_b16 v201, 8, v200
	v_lshrrev_b16 v193, 8, v38
	v_or_b32_sdwa v151, v151, v139 dst_sel:DWORD dst_unused:UNUSED_PAD src0_sel:WORD_0 src1_sel:DWORD
	v_sub_nc_u16 v201, v201, v202
	v_lshrrev_b32_e32 v202, 24, v137
	v_lshlrev_b16 v172, 8, v201
	v_sub_nc_u16 v173, v173, v202
	v_lshrrev_b32_e32 v202, 16, v200
	v_sub_nc_u16 v200, v200, v137
	v_lshrrev_b32_e32 v137, 16, v137
	v_lshlrev_b16 v173, 8, v173
	v_or_b32_sdwa v172, v200, v172 dst_sel:DWORD dst_unused:UNUSED_PAD src0_sel:BYTE_0 src1_sel:DWORD
	v_sub_nc_u16 v137, v202, v137
	v_and_b32_e32 v202, 0x3030303, v148
	v_bfe_u32 v148, v148, 24, 2
	v_or_b32_sdwa v137, v137, v173 dst_sel:WORD_1 dst_unused:UNUSED_PAD src0_sel:BYTE_0 src1_sel:DWORD
	v_lshrrev_b16 v203, 8, v202
	v_sub_nc_u16 v203, v203, v204
	v_lshrrev_b32_e32 v204, 24, v138
	v_lshlrev_b16 v173, 8, v203
	v_sub_nc_u16 v148, v148, v204
	v_lshrrev_b32_e32 v204, 16, v202
	v_sub_nc_u16 v202, v202, v138
	v_lshrrev_b32_e32 v138, 16, v138
	v_lshlrev_b16 v148, 8, v148
	v_or_b32_sdwa v173, v202, v173 dst_sel:DWORD dst_unused:UNUSED_PAD src0_sel:BYTE_0 src1_sel:DWORD
	v_sub_nc_u16 v138, v204, v138
	v_and_b32_e32 v204, 0x3030303, v149
	v_bfe_u32 v149, v149, 24, 2
	v_or_b32_sdwa v138, v138, v148 dst_sel:WORD_1 dst_unused:UNUSED_PAD src0_sel:BYTE_0 src1_sel:DWORD
	v_lshrrev_b16 v205, 8, v204
	v_or_b32_sdwa v165, v173, v138 dst_sel:DWORD dst_unused:UNUSED_PAD src0_sel:WORD_0 src1_sel:DWORD
	v_sub_nc_u16 v205, v205, v206
	v_lshrrev_b32_e32 v206, 24, v136
	v_lshrrev_b16 v173, 8, v32
	v_lshlrev_b16 v148, 8, v205
	v_sub_nc_u16 v149, v149, v206
	v_lshrrev_b32_e32 v206, 16, v204
	v_sub_nc_u16 v204, v204, v136
	v_lshrrev_b32_e32 v136, 16, v136
	v_lshlrev_b16 v149, 8, v149
	v_or_b32_sdwa v148, v204, v148 dst_sel:DWORD dst_unused:UNUSED_PAD src0_sel:BYTE_0 src1_sel:DWORD
	v_sub_nc_u16 v136, v206, v136
	v_or_b32_sdwa v136, v136, v149 dst_sel:WORD_1 dst_unused:UNUSED_PAD src0_sel:BYTE_0 src1_sel:DWORD
	v_or_b32_sdwa v149, v174, v158 dst_sel:DWORD dst_unused:UNUSED_PAD src0_sel:WORD_0 src1_sel:DWORD
	v_or_b32_sdwa v158, v162, v159 dst_sel:DWORD dst_unused:UNUSED_PAD src0_sel:WORD_0 src1_sel:DWORD
	;; [unrolled: 1-line block ×9, first 2 shown]
	ds_read_b128 v[136:139], v131
	ds_read_b128 v[140:143], v131 offset:16
	v_lshrrev_b16 v169, 8, v30
	v_lshrrev_b16 v171, 8, v31
	v_add_nc_u32_e32 v131, 32, v131
	s_waitcnt lgkmcnt(1)
	v_dot4c_i32_i8 v166, v149, v136
	v_mov_b32_e32 v149, 0
	v_dot4c_i32_i8 v166, v158, v137
	v_dot4c_i32_i8 v149, v147, v136
	v_mov_b32_e32 v147, 0
	v_dot4c_i32_i8 v166, v159, v138
	v_dot4c_i32_i8 v149, v146, v137
	;; [unrolled: 1-line block ×3, first 2 shown]
	v_mov_b32_e32 v161, 0
	v_dot4c_i32_i8 v166, v160, v139
	v_dot4c_i32_i8 v149, v145, v138
	;; [unrolled: 1-line block ×4, first 2 shown]
	v_ashrrev_i32_e32 v136, s22, v21
	v_lshrrev_b16 v162, 8, v27
	v_add_nc_u32_e32 v21, s21, v89
	v_dot4c_i32_i8 v147, v163, v138
	v_dot4c_i32_i8 v161, v164, v137
	v_and_b32_e32 v159, 0x3030303, v136
	v_bfe_u32 v136, v136, 24, 2
	v_ashrrev_i32_e32 v137, s22, v22
	v_lshrrev_b16 v164, 8, v28
	v_dot4c_i32_i8 v161, v165, v138
	v_lshrrev_b16 v160, 8, v159
	v_ashrrev_i32_e32 v138, s22, v23
	ds_read_u16 v146, v21 offset:26354
	v_add3_u32 v21, s23, v117, v118
	v_dot4c_i32_i8 v161, v148, v139
	v_sub_nc_u16 v160, v160, v162
	v_lshrrev_b32_e32 v162, 24, v27
	v_add_nc_u32_e32 v23, 0x1098, v133
	ds_read_b32 v148, v21
	v_add_nc_u32_e32 v21, 0x1090, v133
	v_dot4c_i32_i8 v149, v144, v139
	v_sub_nc_u16 v136, v136, v162
	v_lshrrev_b32_e32 v162, 16, v159
	v_sub_nc_u16 v159, v159, v27
	v_lshrrev_b32_e32 v27, 16, v27
	v_dot4c_i32_i8 v147, v150, v139
	v_ashrrev_i32_e32 v139, s22, v24
	ds_read2_b32 v[21:22], v21 offset1:1
	ds_read2_b32 v[23:24], v23 offset1:1
	v_ashrrev_i32_e32 v144, s19, v156
	v_sub_nc_u16 v27, v162, v27
	v_and_b32_e32 v162, 0x3030303, v137
	v_bfe_u32 v137, v137, 24, 2
	v_ashrrev_i32_e32 v145, s19, v157
	v_lshlrev_b32_e32 v144, 2, v144
	v_lshlrev_b16 v160, 8, v160
	v_lshrrev_b16 v163, 8, v162
	v_lshlrev_b16 v136, 8, v136
	v_lshlrev_b32_e32 v145, 2, v145
	v_and_b32_e32 v144, 0x4040404, v144
	v_or_b32_sdwa v159, v159, v160 dst_sel:DWORD dst_unused:UNUSED_PAD src0_sel:BYTE_0 src1_sel:DWORD
	v_sub_nc_u16 v163, v163, v164
	v_lshrrev_b32_e32 v164, 24, v28
	v_and_b32_e32 v145, 0x4040404, v145
	v_lshrrev_b16 v187, 8, v144
	v_or_b32_sdwa v27, v27, v136 dst_sel:WORD_1 dst_unused:UNUSED_PAD src0_sel:BYTE_0 src1_sel:DWORD
	v_lshlrev_b16 v136, 8, v163
	v_sub_nc_u16 v137, v137, v164
	v_lshrrev_b32_e32 v164, 16, v162
	v_sub_nc_u16 v162, v162, v28
	v_lshrrev_b32_e32 v28, 16, v28
	s_waitcnt lgkmcnt(1)
	v_ashrrev_i32_e32 v150, s22, v21
	v_ashrrev_i32_e32 v151, s22, v22
	v_add_nc_u32_e32 v22, s21, v87
	s_waitcnt lgkmcnt(0)
	v_ashrrev_i32_e32 v156, s22, v23
	v_sub_nc_u16 v28, v164, v28
	v_and_b32_e32 v164, 0x3030303, v138
	v_bfe_u32 v138, v138, 24, 2
	v_add_nc_u32_e32 v21, 0x3190, v133
	v_add_nc_u32_e32 v23, 0x3198, v133
	ds_read_u16 v133, v22 offset:28402
	v_lshrrev_b16 v165, 8, v164
	v_add3_u32 v22, s23, v125, v126
	v_ashrrev_i32_e32 v157, s22, v24
	ds_read_b32 v158, v22
	ds_read2_b32 v[21:22], v21 offset1:1
	ds_read2_b32 v[23:24], v23 offset1:1
	v_sub_nc_u16 v165, v165, v167
	v_lshrrev_b32_e32 v167, 24, v29
	v_lshrrev_b16 v189, 8, v145
	v_or_b32_sdwa v27, v159, v27 dst_sel:DWORD dst_unused:UNUSED_PAD src0_sel:WORD_0 src1_sel:DWORD
	v_lshlrev_b16 v137, 8, v137
	v_or_b32_sdwa v136, v162, v136 dst_sel:DWORD dst_unused:UNUSED_PAD src0_sel:BYTE_0 src1_sel:DWORD
	v_sub_nc_u16 v138, v138, v167
	v_lshrrev_b32_e32 v167, 16, v164
	v_sub_nc_u16 v164, v164, v29
	v_lshrrev_b32_e32 v29, 16, v29
	v_or_b32_sdwa v28, v28, v137 dst_sel:WORD_1 dst_unused:UNUSED_PAD src0_sel:BYTE_0 src1_sel:DWORD
	v_lshlrev_b16 v137, 8, v165
	v_lshlrev_b16 v138, 8, v138
	s_add_i32 s19, s19, 1
	v_sub_nc_u16 v29, v167, v29
	v_and_b32_e32 v167, 0x3030303, v139
	v_bfe_u32 v139, v139, 24, 2
	v_or_b32_sdwa v28, v136, v28 dst_sel:DWORD dst_unused:UNUSED_PAD src0_sel:WORD_0 src1_sel:DWORD
	s_waitcnt lgkmcnt(1)
	v_ashrrev_i32_e32 v21, s22, v21
	v_ashrrev_i32_e32 v22, s22, v22
	v_lshrrev_b16 v168, 8, v167
	s_waitcnt lgkmcnt(0)
	v_ashrrev_i32_e32 v23, s22, v23
	v_ashrrev_i32_e32 v24, s22, v24
	v_mov_b32_e32 v136, 0
	v_or_b32_sdwa v137, v164, v137 dst_sel:DWORD dst_unused:UNUSED_PAD src0_sel:BYTE_0 src1_sel:DWORD
	v_sub_nc_u16 v168, v168, v169
	v_lshrrev_b32_e32 v169, 24, v30
	v_or_b32_sdwa v29, v29, v138 dst_sel:WORD_1 dst_unused:UNUSED_PAD src0_sel:BYTE_0 src1_sel:DWORD
	s_cmp_lt_u32 s20, 22
	v_lshlrev_b16 v138, 8, v168
	v_sub_nc_u16 v139, v139, v169
	v_lshrrev_b32_e32 v169, 16, v167
	v_sub_nc_u16 v167, v167, v30
	v_lshrrev_b32_e32 v30, 16, v30
	v_or_b32_sdwa v29, v137, v29 dst_sel:DWORD dst_unused:UNUSED_PAD src0_sel:WORD_0 src1_sel:DWORD
	v_lshlrev_b16 v139, 8, v139
	v_or_b32_sdwa v138, v167, v138 dst_sel:DWORD dst_unused:UNUSED_PAD src0_sel:BYTE_0 src1_sel:DWORD
	v_sub_nc_u16 v30, v169, v30
	v_and_b32_e32 v169, 0x3030303, v150
	v_bfe_u32 v150, v150, 24, 2
	v_or_b32_sdwa v30, v30, v139 dst_sel:WORD_1 dst_unused:UNUSED_PAD src0_sel:BYTE_0 src1_sel:DWORD
	v_lshrrev_b16 v170, 8, v169
	v_or_b32_sdwa v30, v138, v30 dst_sel:DWORD dst_unused:UNUSED_PAD src0_sel:WORD_0 src1_sel:DWORD
	v_sub_nc_u16 v170, v170, v171
	v_lshrrev_b32_e32 v171, 24, v31
	v_lshlrev_b16 v139, 8, v170
	v_sub_nc_u16 v150, v150, v171
	v_lshrrev_b32_e32 v171, 16, v169
	v_sub_nc_u16 v169, v169, v31
	v_lshrrev_b32_e32 v31, 16, v31
	v_lshlrev_b16 v150, 8, v150
	v_or_b32_sdwa v139, v169, v139 dst_sel:DWORD dst_unused:UNUSED_PAD src0_sel:BYTE_0 src1_sel:DWORD
	v_sub_nc_u16 v31, v171, v31
	v_and_b32_e32 v171, 0x3030303, v151
	v_bfe_u32 v151, v151, 24, 2
	v_or_b32_sdwa v31, v31, v150 dst_sel:WORD_1 dst_unused:UNUSED_PAD src0_sel:BYTE_0 src1_sel:DWORD
	v_lshrrev_b16 v172, 8, v171
	v_or_b32_sdwa v31, v139, v31 dst_sel:DWORD dst_unused:UNUSED_PAD src0_sel:WORD_0 src1_sel:DWORD
	v_sub_nc_u16 v172, v172, v173
	v_lshrrev_b32_e32 v173, 24, v32
	v_lshlrev_b16 v150, 8, v172
	v_sub_nc_u16 v151, v151, v173
	v_lshrrev_b32_e32 v173, 16, v171
	v_sub_nc_u16 v171, v171, v32
	v_lshrrev_b32_e32 v32, 16, v32
	;; [unrolled: 15-line block ×3, first 2 shown]
	v_lshlrev_b16 v152, 8, v152
	v_or_b32_sdwa v151, v173, v151 dst_sel:DWORD dst_unused:UNUSED_PAD src0_sel:BYTE_0 src1_sel:DWORD
	v_sub_nc_u16 v33, v175, v33
	v_and_b32_e32 v175, 0x3030303, v153
	v_bfe_u32 v153, v153, 24, 2
	v_or_b32_sdwa v33, v33, v152 dst_sel:WORD_1 dst_unused:UNUSED_PAD src0_sel:BYTE_0 src1_sel:DWORD
	v_lshrrev_b16 v176, 8, v175
	v_or_b32_sdwa v33, v151, v33 dst_sel:DWORD dst_unused:UNUSED_PAD src0_sel:WORD_0 src1_sel:DWORD
	v_sub_nc_u16 v176, v176, v177
	v_lshrrev_b32_e32 v177, 24, v34
	v_dot4c_i32_i8 v136, v33, v140
	v_lshlrev_b16 v152, 8, v176
	v_sub_nc_u16 v153, v153, v177
	v_lshrrev_b32_e32 v177, 16, v175
	v_sub_nc_u16 v175, v175, v34
	v_lshrrev_b32_e32 v34, 16, v34
	v_lshlrev_b16 v153, 8, v153
	v_or_b32_sdwa v152, v175, v152 dst_sel:DWORD dst_unused:UNUSED_PAD src0_sel:BYTE_0 src1_sel:DWORD
	v_sub_nc_u16 v34, v177, v34
	v_and_b32_e32 v177, 0x3030303, v21
	v_bfe_u32 v21, v21, 24, 2
	v_or_b32_sdwa v34, v34, v153 dst_sel:WORD_1 dst_unused:UNUSED_PAD src0_sel:BYTE_0 src1_sel:DWORD
	v_lshrrev_b16 v178, 8, v177
	v_or_b32_sdwa v34, v152, v34 dst_sel:DWORD dst_unused:UNUSED_PAD src0_sel:WORD_0 src1_sel:DWORD
	v_sub_nc_u16 v178, v178, v179
	v_lshrrev_b32_e32 v179, 24, v35
	v_dot4c_i32_i8 v136, v34, v141
	v_lshlrev_b16 v153, 8, v178
	v_sub_nc_u16 v21, v21, v179
	v_lshrrev_b32_e32 v179, 16, v177
	v_sub_nc_u16 v177, v177, v35
	v_lshrrev_b32_e32 v35, 16, v35
	v_lshlrev_b16 v21, 8, v21
	v_or_b32_sdwa v153, v177, v153 dst_sel:DWORD dst_unused:UNUSED_PAD src0_sel:BYTE_0 src1_sel:DWORD
	v_sub_nc_u16 v35, v179, v35
	v_and_b32_e32 v179, 0x3030303, v22
	v_bfe_u32 v22, v22, 24, 2
	v_or_b32_sdwa v21, v35, v21 dst_sel:WORD_1 dst_unused:UNUSED_PAD src0_sel:BYTE_0 src1_sel:DWORD
	v_lshrrev_b16 v180, 8, v179
	v_or_b32_sdwa v21, v153, v21 dst_sel:DWORD dst_unused:UNUSED_PAD src0_sel:WORD_0 src1_sel:DWORD
	v_sub_nc_u16 v180, v180, v181
	v_lshrrev_b32_e32 v181, 24, v36
	v_lshlrev_b16 v35, 8, v180
	v_sub_nc_u16 v22, v22, v181
	v_lshrrev_b32_e32 v181, 16, v179
	v_sub_nc_u16 v179, v179, v36
	v_lshrrev_b32_e32 v36, 16, v36
	v_lshlrev_b16 v22, 8, v22
	v_or_b32_sdwa v35, v179, v35 dst_sel:DWORD dst_unused:UNUSED_PAD src0_sel:BYTE_0 src1_sel:DWORD
	v_sub_nc_u16 v36, v181, v36
	v_and_b32_e32 v181, 0x3030303, v156
	v_bfe_u32 v156, v156, 24, 2
	v_or_b32_sdwa v22, v36, v22 dst_sel:WORD_1 dst_unused:UNUSED_PAD src0_sel:BYTE_0 src1_sel:DWORD
	v_lshrrev_b16 v182, 8, v181
	v_or_b32_sdwa v22, v35, v22 dst_sel:DWORD dst_unused:UNUSED_PAD src0_sel:WORD_0 src1_sel:DWORD
	v_sub_nc_u16 v182, v182, v183
	v_lshrrev_b32_e32 v183, 24, v25
	;; [unrolled: 15-line block ×5, first 2 shown]
	v_dot4c_i32_i8 v136, v35, v142
	v_lshlrev_b16 v154, 8, v188
	v_sub_nc_u16 v155, v155, v189
	v_lshrrev_b32_e32 v189, 16, v187
	v_sub_nc_u16 v187, v187, v145
	v_lshrrev_b32_e32 v145, 16, v145
	v_lshlrev_b16 v155, 8, v155
	v_or_b32_sdwa v154, v187, v154 dst_sel:DWORD dst_unused:UNUSED_PAD src0_sel:BYTE_0 src1_sel:DWORD
	v_sub_nc_u16 v145, v189, v145
	v_and_b32_e32 v189, 0x3030303, v23
	v_bfe_u32 v23, v23, 24, 2
	v_or_b32_sdwa v145, v145, v155 dst_sel:WORD_1 dst_unused:UNUSED_PAD src0_sel:BYTE_0 src1_sel:DWORD
	v_lshrrev_b16 v190, 8, v189
	v_or_b32_sdwa v36, v154, v145 dst_sel:DWORD dst_unused:UNUSED_PAD src0_sel:WORD_0 src1_sel:DWORD
	v_sub_nc_u16 v190, v190, v191
	v_lshrrev_b32_e32 v191, 24, v37
	v_dot4c_i32_i8 v136, v36, v143
	v_lshlrev_b16 v155, 8, v190
	v_sub_nc_u16 v23, v23, v191
	v_lshrrev_b32_e32 v191, 16, v189
	v_sub_nc_u16 v189, v189, v37
	v_lshrrev_b32_e32 v37, 16, v37
	v_lshlrev_b16 v23, 8, v23
	v_or_b32_sdwa v155, v189, v155 dst_sel:DWORD dst_unused:UNUSED_PAD src0_sel:BYTE_0 src1_sel:DWORD
	v_sub_nc_u16 v37, v191, v37
	v_and_b32_e32 v191, 0x3030303, v24
	v_bfe_u32 v24, v24, 24, 2
	v_or_b32_sdwa v23, v37, v23 dst_sel:WORD_1 dst_unused:UNUSED_PAD src0_sel:BYTE_0 src1_sel:DWORD
	v_lshrrev_b16 v192, 8, v191
	v_or_b32_sdwa v23, v155, v23 dst_sel:DWORD dst_unused:UNUSED_PAD src0_sel:WORD_0 src1_sel:DWORD
	v_sub_nc_u16 v192, v192, v193
	v_lshrrev_b32_e32 v193, 24, v38
	v_lshlrev_b16 v37, 8, v192
	v_sub_nc_u16 v24, v24, v193
	v_lshrrev_b32_e32 v193, 16, v191
	v_sub_nc_u16 v191, v191, v38
	v_lshrrev_b32_e32 v38, 16, v38
	v_lshlrev_b16 v24, 8, v24
	v_or_b32_sdwa v37, v191, v37 dst_sel:DWORD dst_unused:UNUSED_PAD src0_sel:BYTE_0 src1_sel:DWORD
	v_sub_nc_u16 v38, v193, v38
	v_or_b32_sdwa v24, v38, v24 dst_sel:WORD_1 dst_unused:UNUSED_PAD src0_sel:BYTE_0 src1_sel:DWORD
	v_mov_b32_e32 v38, 0
	v_or_b32_sdwa v24, v37, v24 dst_sel:DWORD dst_unused:UNUSED_PAD src0_sel:WORD_0 src1_sel:DWORD
	v_mov_b32_e32 v37, 0
	v_dot4c_i32_i8 v38, v27, v140
	v_add_nc_u32_e32 v27, s21, v90
	v_dot4c_i32_i8 v37, v31, v140
	v_mov_b32_e32 v31, 0
	v_dot4c_i32_i8 v38, v28, v141
	v_dot4c_i32_i8 v37, v32, v141
	;; [unrolled: 1-line block ×3, first 2 shown]
	v_add_nc_u32_e32 v21, s21, v88
	ds_read_u16 v27, v27 offset:25330
	ds_read_u16 v21, v21 offset:27378
	v_dot4c_i32_i8 v31, v22, v141
	v_bfe_i32 v22, v146, 0, 8
	v_dot4c_i32_i8 v38, v29, v142
	v_lshrrev_b16 v29, 8, v133
	v_bfe_i32 v133, v133, 0, 8
	v_dot4c_i32_i8 v31, v23, v142
	v_mul_lo_u32 v22, v149, v22
	v_dot4c_i32_i8 v37, v25, v142
	v_dot4c_i32_i8 v38, v30, v143
	ds_read_b32 v33, v132
	v_dot4c_i32_i8 v31, v24, v143
	v_mul_lo_u32 v24, v161, v133
	v_dot4c_i32_i8 v37, v26, v143
	v_bfe_i32 v29, v29, 0, 8
	v_add_nc_u32_e32 v132, 4, v132
	s_mov_b32 s21, s20
	s_waitcnt lgkmcnt(2)
	v_lshrrev_b16 v28, 8, v27
	v_bfe_i32 v27, v27, 0, 8
	s_waitcnt lgkmcnt(1)
	v_lshrrev_b16 v32, 8, v21
	v_bfe_i32 v34, v21, 0, 8
	v_lshrrev_b16 v21, 8, v146
	v_bfe_i32 v28, v28, 0, 8
	v_bfe_i32 v32, v32, 0, 8
	v_mul_lo_u32 v23, v147, v34
	v_bfe_i32 v137, v21, 0, 8
	v_mul_lo_u32 v21, v166, v27
	v_mad_u64_u32 v[25:26], null, v38, v28, v[21:22]
	v_mad_u64_u32 v[26:27], null, v37, v137, v[22:23]
	;; [unrolled: 1-line block ×3, first 2 shown]
	s_waitcnt lgkmcnt(0)
	v_mul_f32_e32 v21, v33, v135
	v_mul_f32_e32 v22, v33, v148
	v_mad_u64_u32 v[28:29], null, v31, v29, v[24:25]
	v_mul_f32_e32 v23, v33, v134
	v_mul_f32_e32 v24, v33, v158
	v_cvt_f32_i32_e32 v25, v25
	v_cvt_f32_i32_e32 v26, v26
	;; [unrolled: 1-line block ×4, first 2 shown]
	v_fmac_f32_e32 v40, v21, v25
	v_fmac_f32_e32 v86, v22, v26
	v_fmac_f32_e32 v85, v23, v27
	v_fmac_f32_e32 v18, v24, v28
	s_cbranch_scc1 .LBB210_27
; %bb.28:                               ;   in Loop: Header=BB210_5 Depth=1
	s_or_b32 s1, s4, 0x180
	s_cmp_ge_i32 s1, s9
	s_barrier
	buffer_gl0_inv
	s_cbranch_scc1 .LBB210_4
; %bb.29:                               ;   in Loop: Header=BB210_5 Depth=1
	v_add_nc_u32_e32 v21, s5, v98
	v_cmp_gt_i32_e64 s1, s8, v21
	s_and_b32 s4, s0, s1
	s_and_saveexec_b32 s1, s4
	s_cbranch_execz .LBB210_31
; %bb.30:                               ;   in Loop: Header=BB210_5 Depth=1
	v_add_nc_u32_e32 v21, v99, v21
	v_mad_i64_i32 v[21:22], null, v21, 36, v[19:20]
	global_load_dword v21, v[21:22], off offset:4
	s_waitcnt vmcnt(0)
	ds_write_b32 v82, v21
.LBB210_31:                             ;   in Loop: Header=BB210_5 Depth=1
	s_or_b32 exec_lo, exec_lo, s1
	s_and_saveexec_b32 s4, vcc_lo
	s_cbranch_execz .LBB210_34
; %bb.32:                               ;   in Loop: Header=BB210_5 Depth=1
	v_or_b32_e32 v21, 12, v130
	v_cmp_gt_i32_e64 s1, s8, v21
	s_and_b32 s1, s0, s1
	s_and_b32 exec_lo, exec_lo, s1
	s_cbranch_execz .LBB210_34
; %bb.33:                               ;   in Loop: Header=BB210_5 Depth=1
	v_ashrrev_i32_e32 v21, 31, v130
	v_add_co_u32 v22, s1, v99, v130
	v_add_co_ci_u32_e64 v23, null, v103, v21, s1
	v_mad_u64_u32 v[21:22], null, v22, 36, s[2:3]
	v_mad_i32_i24 v22, v23, 36, v22
	global_load_dword v21, v[21:22], off offset:432
	s_waitcnt vmcnt(0)
	v_cvt_f32_f16_e32 v21, v21
	ds_write_b32 v84, v21
.LBB210_34:                             ;   in Loop: Header=BB210_5 Depth=1
	s_or_b32 exec_lo, exec_lo, s4
	v_mov_b32_e32 v130, v1
	v_mov_b32_e32 v131, v83
	s_mov_b32 s1, 24
	s_mov_b32 s19, 22
	;; [unrolled: 1-line block ×3, first 2 shown]
	s_waitcnt lgkmcnt(0)
	s_barrier
	buffer_gl0_inv
.LBB210_35:                             ;   Parent Loop BB210_5 Depth=1
                                        ; =>  This Inner Loop Header: Depth=2
	s_add_i32 s5, s19, 2
	s_sub_i32 s20, s19, 22
	s_lshr_b32 s21, s5, 4
	s_and_b32 s22, s5, 0x3ffffff8
	s_lshl_b32 s23, s21, 5
	v_lshl_add_u32 v132, s22, 2, v101
	s_add_i32 s22, s23, 0x4200
	s_lshl_b32 s21, s21, 2
	v_add3_u32 v25, s22, v127, v114
	v_add3_u32 v26, s22, v115, v116
	;; [unrolled: 1-line block ×3, first 2 shown]
	v_add_nc_u32_e32 v38, 0x1080, v132
	ds_read2_b32 v[35:36], v132 offset1:1
	ds_read2_b32 v[33:34], v132 offset0:2 offset1:3
	ds_read2_b32 v[21:22], v132 offset0:4 offset1:5
	;; [unrolled: 1-line block ×3, first 2 shown]
	ds_read2_b32 v[134:135], v25 offset1:1
	ds_read2_b32 v[136:137], v25 offset0:2 offset1:3
	ds_read2_b32 v[138:139], v26 offset1:1
	ds_read2_b32 v[140:141], v26 offset0:2 offset1:3
	ds_read2_b32 v[147:148], v133 offset0:2 offset1:3
	;; [unrolled: 1-line block ×5, first 2 shown]
	ds_read2_b32 v[149:150], v38 offset1:1
	ds_read2_b32 v[25:26], v26 offset0:6 offset1:7
	v_add_nc_u32_e32 v37, 0x2100, v132
	s_addk_i32 s21, 0x7380
	v_add_nc_u32_e32 v153, 0x2118, v132
	s_waitcnt lgkmcnt(13)
	v_ashrrev_i32_e32 v157, s20, v35
	v_ashrrev_i32_e32 v158, s20, v36
	s_waitcnt lgkmcnt(12)
	v_ashrrev_i32_e32 v159, s20, v33
	v_ashrrev_i32_e32 v160, s20, v34
	s_waitcnt lgkmcnt(9)
	v_ashrrev_i32_e32 v161, s4, v134
	v_and_b32_e32 v173, 0x3030303, v157
	v_ashrrev_i32_e32 v162, s4, v135
	v_bfe_u32 v157, v157, 24, 2
	ds_read2_b32 v[33:34], v133 offset0:4 offset1:5
	ds_read2_b32 v[151:152], v37 offset1:1
	ds_read2_b32 v[35:36], v133 offset1:1
	v_lshlrev_b32_e32 v161, 2, v161
	v_lshrrev_b16 v174, 8, v173
	v_lshlrev_b32_e32 v162, 2, v162
	s_waitcnt lgkmcnt(11)
	v_ashrrev_i32_e32 v163, s4, v136
	v_add3_u32 v37, s22, v123, v124
	v_and_b32_e32 v161, 0x4040404, v161
	v_ashrrev_i32_e32 v164, s4, v137
	v_and_b32_e32 v162, 0x4040404, v162
	v_lshlrev_b32_e32 v163, 2, v163
	s_waitcnt lgkmcnt(10)
	v_ashrrev_i32_e32 v145, s4, v139
	v_lshrrev_b16 v175, 8, v161
	s_waitcnt lgkmcnt(9)
	v_ashrrev_i32_e32 v144, s4, v140
	v_lshrrev_b16 v177, 8, v162
	v_and_b32_e32 v163, 0x4040404, v163
	v_ashrrev_i32_e32 v143, s4, v141
	v_sub_nc_u16 v174, v174, v175
	v_lshrrev_b32_e32 v175, 24, v161
	s_waitcnt lgkmcnt(8)
	v_ashrrev_i32_e32 v140, s4, v147
	v_lshrrev_b16 v179, 8, v163
	s_waitcnt lgkmcnt(0)
	v_ashrrev_i32_e32 v142, s4, v35
	v_add_nc_u32_e32 v35, 0x3180, v132
	v_sub_nc_u16 v157, v157, v175
	v_lshrrev_b32_e32 v175, 16, v173
	v_sub_nc_u16 v173, v173, v161
	v_lshrrev_b32_e32 v161, 16, v161
	v_ashrrev_i32_e32 v141, s4, v36
	v_ashrrev_i32_e32 v139, s4, v148
	ds_read2_b32 v[147:148], v35 offset1:1
	ds_read2_b32 v[35:36], v37 offset1:1
	v_lshlrev_b32_e32 v164, 2, v164
	v_sub_nc_u16 v161, v175, v161
	v_and_b32_e32 v175, 0x3030303, v158
	v_bfe_u32 v158, v158, 24, 2
	v_ashrrev_i32_e32 v146, s4, v138
	v_and_b32_e32 v164, 0x4040404, v164
	v_ashrrev_i32_e32 v165, s20, v149
	v_lshrrev_b16 v176, 8, v175
	v_add_nc_u32_e32 v149, 0x1088, v132
	v_lshlrev_b32_e32 v146, 2, v146
	v_lshrrev_b16 v181, 8, v164
	v_ashrrev_i32_e32 v166, s20, v150
	v_sub_nc_u16 v176, v176, v177
	v_lshrrev_b32_e32 v177, 24, v162
	v_and_b32_e32 v146, 0x4040404, v146
	v_lshlrev_b32_e32 v145, 2, v145
	v_lshlrev_b32_e32 v144, 2, v144
	;; [unrolled: 1-line block ×3, first 2 shown]
	v_sub_nc_u16 v158, v158, v177
	v_lshrrev_b32_e32 v177, 16, v175
	v_sub_nc_u16 v175, v175, v162
	v_lshrrev_b32_e32 v162, 16, v162
	s_waitcnt lgkmcnt(0)
	v_ashrrev_i32_e32 v138, s4, v35
	v_ashrrev_i32_e32 v136, s4, v36
	ds_read2_b32 v[134:135], v37 offset0:2 offset1:3
	ds_read2_b32 v[35:36], v37 offset0:4 offset1:5
	;; [unrolled: 1-line block ×3, first 2 shown]
	v_lshrrev_b16 v183, 8, v146
	v_sub_nc_u16 v162, v177, v162
	v_and_b32_e32 v177, 0x3030303, v159
	v_bfe_u32 v159, v159, 24, 2
	ds_read2_b32 v[149:150], v149 offset1:1
	v_and_b32_e32 v145, 0x4040404, v145
	v_and_b32_e32 v144, 0x4040404, v144
	v_lshrrev_b16 v178, 8, v177
	v_and_b32_e32 v143, 0x4040404, v143
	v_ashrrev_i32_e32 v169, s20, v151
	v_lshrrev_b16 v185, 8, v145
	v_lshrrev_b16 v187, 8, v144
	v_sub_nc_u16 v178, v178, v179
	v_lshrrev_b32_e32 v179, 24, v163
	v_lshrrev_b16 v189, 8, v143
	v_lshlrev_b32_e32 v142, 2, v142
	v_add_nc_u32_e32 v151, 0x2110, v132
	s_waitcnt lgkmcnt(3)
	v_ashrrev_i32_e32 v137, s4, v134
	v_sub_nc_u16 v159, v159, v179
	v_lshrrev_b32_e32 v179, 16, v177
	v_sub_nc_u16 v177, v177, v163
	v_lshrrev_b32_e32 v163, 16, v163
	v_add3_u32 v134, s21, v128, v129
	v_and_b32_e32 v142, 0x4040404, v142
	s_waitcnt lgkmcnt(0)
	v_ashrrev_i32_e32 v167, s20, v149
	v_ashrrev_i32_e32 v168, s20, v150
	v_sub_nc_u16 v163, v179, v163
	v_and_b32_e32 v179, 0x3030303, v160
	v_bfe_u32 v160, v160, 24, 2
	ds_read_b32 v134, v134
	v_lshrrev_b16 v191, 8, v142
	v_add_nc_u32_e32 v149, 0x2108, v132
	v_lshrrev_b16 v180, 8, v179
	v_ashrrev_i32_e32 v170, s20, v152
	v_lshlrev_b32_e32 v141, 2, v141
	ds_read2_b32 v[149:150], v149 offset1:1
	ds_read2_b32 v[151:152], v151 offset1:1
	;; [unrolled: 1-line block ×3, first 2 shown]
	ds_read2_b32 v[155:156], v133 offset0:6 offset1:7
	v_sub_nc_u16 v180, v180, v181
	v_lshrrev_b32_e32 v181, 24, v164
	v_and_b32_e32 v141, 0x4040404, v141
	v_lshlrev_b32_e32 v140, 2, v140
	v_lshlrev_b32_e32 v139, 2, v139
	v_ashrrev_i32_e32 v171, s20, v147
	v_sub_nc_u16 v160, v160, v181
	v_lshrrev_b32_e32 v181, 16, v179
	v_sub_nc_u16 v179, v179, v164
	v_lshrrev_b32_e32 v164, 16, v164
	v_lshrrev_b16 v193, 8, v141
	v_and_b32_e32 v140, 0x4040404, v140
	v_and_b32_e32 v139, 0x4040404, v139
	v_lshlrev_b32_e32 v138, 2, v138
	v_sub_nc_u16 v164, v181, v164
	v_and_b32_e32 v181, 0x3030303, v165
	v_bfe_u32 v165, v165, 24, 2
	s_waitcnt lgkmcnt(3)
	v_ashrrev_i32_e32 v149, s20, v149
	v_lshrrev_b16 v195, 8, v140
	v_ashrrev_i32_e32 v150, s20, v150
	v_lshrrev_b16 v182, 8, v181
	v_lshrrev_b16 v197, 8, v139
	v_and_b32_e32 v138, 0x4040404, v138
	v_add3_u32 v133, s21, v121, v122
	v_add_nc_u32_e32 v147, 0x3188, v132
	v_sub_nc_u16 v182, v182, v183
	v_lshrrev_b32_e32 v183, 24, v146
	v_lshrrev_b16 v199, 8, v138
	ds_read_b32 v133, v133
	v_ashrrev_i32_e32 v172, s20, v148
	ds_read2_b32 v[147:148], v147 offset1:1
	v_sub_nc_u16 v165, v165, v183
	v_lshrrev_b32_e32 v183, 16, v181
	v_sub_nc_u16 v181, v181, v146
	v_lshrrev_b32_e32 v146, 16, v146
	v_lshlrev_b32_e32 v136, 2, v136
	v_lshlrev_b32_e32 v137, 2, v137
	v_ashrrev_i32_e32 v135, s4, v135
	v_lshlrev_b16 v157, 8, v157
	v_sub_nc_u16 v146, v183, v146
	v_and_b32_e32 v183, 0x3030303, v166
	v_bfe_u32 v166, v166, 24, 2
	v_and_b32_e32 v136, 0x4040404, v136
	v_and_b32_e32 v137, 0x4040404, v137
	v_lshlrev_b32_e32 v135, 2, v135
	v_lshrrev_b16 v184, 8, v183
	v_lshlrev_b16 v158, 8, v158
	v_lshrrev_b16 v201, 8, v136
	v_lshrrev_b16 v203, 8, v137
	v_and_b32_e32 v135, 0x4040404, v135
	v_sub_nc_u16 v184, v184, v185
	v_lshrrev_b32_e32 v185, 24, v145
	s_waitcnt lgkmcnt(0)
	v_ashrrev_i32_e32 v147, s20, v147
	v_ashrrev_i32_e32 v148, s20, v148
	v_lshrrev_b16 v205, 8, v135
	v_lshlrev_b16 v159, 8, v159
	v_sub_nc_u16 v166, v166, v185
	v_lshrrev_b32_e32 v185, 16, v183
	v_sub_nc_u16 v183, v183, v145
	v_lshrrev_b32_e32 v145, 16, v145
	v_lshlrev_b16 v160, 8, v160
	v_lshlrev_b16 v174, 8, v174
	v_or_b32_sdwa v157, v161, v157 dst_sel:WORD_1 dst_unused:UNUSED_PAD src0_sel:BYTE_0 src1_sel:DWORD
	v_lshlrev_b16 v161, 8, v176
	v_sub_nc_u16 v145, v185, v145
	v_and_b32_e32 v185, 0x3030303, v167
	v_bfe_u32 v167, v167, 24, 2
	v_or_b32_sdwa v158, v162, v158 dst_sel:WORD_1 dst_unused:UNUSED_PAD src0_sel:BYTE_0 src1_sel:DWORD
	v_lshlrev_b16 v162, 8, v178
	v_or_b32_sdwa v159, v163, v159 dst_sel:WORD_1 dst_unused:UNUSED_PAD src0_sel:BYTE_0 src1_sel:DWORD
	v_lshrrev_b16 v186, 8, v185
	v_lshlrev_b16 v163, 8, v180
	v_or_b32_sdwa v160, v164, v160 dst_sel:WORD_1 dst_unused:UNUSED_PAD src0_sel:BYTE_0 src1_sel:DWORD
	v_lshlrev_b16 v164, 8, v182
	v_lshlrev_b16 v165, 8, v165
	v_sub_nc_u16 v186, v186, v187
	v_lshrrev_b32_e32 v187, 24, v144
	v_or_b32_sdwa v173, v173, v174 dst_sel:DWORD dst_unused:UNUSED_PAD src0_sel:BYTE_0 src1_sel:DWORD
	v_or_b32_sdwa v161, v175, v161 dst_sel:DWORD dst_unused:UNUSED_PAD src0_sel:BYTE_0 src1_sel:DWORD
	;; [unrolled: 1-line block ×4, first 2 shown]
	v_sub_nc_u16 v167, v167, v187
	v_lshrrev_b32_e32 v187, 16, v185
	v_sub_nc_u16 v185, v185, v144
	v_lshrrev_b32_e32 v144, 16, v144
	v_or_b32_sdwa v164, v181, v164 dst_sel:DWORD dst_unused:UNUSED_PAD src0_sel:BYTE_0 src1_sel:DWORD
	v_or_b32_sdwa v146, v146, v165 dst_sel:WORD_1 dst_unused:UNUSED_PAD src0_sel:BYTE_0 src1_sel:DWORD
	v_lshlrev_b16 v165, 8, v184
	v_lshlrev_b16 v166, 8, v166
	v_sub_nc_u16 v144, v187, v144
	v_and_b32_e32 v187, 0x3030303, v168
	v_bfe_u32 v168, v168, 24, 2
	v_or_b32_sdwa v146, v164, v146 dst_sel:DWORD dst_unused:UNUSED_PAD src0_sel:WORD_0 src1_sel:DWORD
	v_or_b32_sdwa v165, v183, v165 dst_sel:DWORD dst_unused:UNUSED_PAD src0_sel:BYTE_0 src1_sel:DWORD
	v_or_b32_sdwa v145, v145, v166 dst_sel:WORD_1 dst_unused:UNUSED_PAD src0_sel:BYTE_0 src1_sel:DWORD
	v_lshrrev_b16 v188, 8, v187
	v_ashrrev_i32_e32 v27, s4, v27
	v_ashrrev_i32_e32 v28, s4, v28
	v_lshlrev_b16 v166, 8, v186
	v_or_b32_sdwa v145, v165, v145 dst_sel:DWORD dst_unused:UNUSED_PAD src0_sel:WORD_0 src1_sel:DWORD
	v_sub_nc_u16 v188, v188, v189
	v_lshrrev_b32_e32 v189, 24, v143
	v_mov_b32_e32 v165, 0
	v_lshlrev_b32_e32 v27, 2, v27
	v_lshlrev_b32_e32 v28, 2, v28
	v_lshlrev_b16 v167, 8, v167
	v_sub_nc_u16 v168, v168, v189
	v_lshrrev_b32_e32 v189, 16, v187
	v_sub_nc_u16 v187, v187, v143
	v_lshrrev_b32_e32 v143, 16, v143
	v_and_b32_e32 v27, 0x4040404, v27
	v_lshlrev_b16 v168, 8, v168
	v_and_b32_e32 v28, 0x4040404, v28
	v_or_b32_sdwa v166, v185, v166 dst_sel:DWORD dst_unused:UNUSED_PAD src0_sel:BYTE_0 src1_sel:DWORD
	v_sub_nc_u16 v143, v189, v143
	v_and_b32_e32 v189, 0x3030303, v169
	v_bfe_u32 v169, v169, 24, 2
	v_or_b32_sdwa v144, v144, v167 dst_sel:WORD_1 dst_unused:UNUSED_PAD src0_sel:BYTE_0 src1_sel:DWORD
	v_ashrrev_i32_e32 v29, s4, v29
	v_or_b32_sdwa v143, v143, v168 dst_sel:WORD_1 dst_unused:UNUSED_PAD src0_sel:BYTE_0 src1_sel:DWORD
	v_lshrrev_b16 v190, 8, v189
	s_and_b32 s22, s1, -16
	v_or_b32_sdwa v144, v166, v144 dst_sel:DWORD dst_unused:UNUSED_PAD src0_sel:WORD_0 src1_sel:DWORD
	v_lshlrev_b32_e32 v29, 2, v29
	s_add_i32 s19, s19, s22
	v_sub_nc_u16 v190, v190, v191
	v_lshrrev_b32_e32 v191, 24, v142
	v_lshlrev_b16 v167, 8, v188
	v_and_b32_e32 v29, 0x4040404, v29
	v_ashrrev_i32_e32 v30, s4, v30
	v_lshlrev_b16 v168, 8, v190
	v_sub_nc_u16 v169, v169, v191
	v_lshrrev_b32_e32 v191, 16, v189
	v_sub_nc_u16 v189, v189, v142
	v_lshrrev_b32_e32 v142, 16, v142
	v_or_b32_sdwa v167, v187, v167 dst_sel:DWORD dst_unused:UNUSED_PAD src0_sel:BYTE_0 src1_sel:DWORD
	v_lshlrev_b16 v169, 8, v169
	v_lshrrev_b16 v166, 8, v29
	v_or_b32_sdwa v168, v189, v168 dst_sel:DWORD dst_unused:UNUSED_PAD src0_sel:BYTE_0 src1_sel:DWORD
	v_sub_nc_u16 v142, v191, v142
	v_and_b32_e32 v191, 0x3030303, v170
	v_bfe_u32 v170, v170, 24, 2
	v_or_b32_sdwa v143, v167, v143 dst_sel:DWORD dst_unused:UNUSED_PAD src0_sel:WORD_0 src1_sel:DWORD
	v_lshlrev_b32_e32 v30, 2, v30
	v_or_b32_sdwa v142, v142, v169 dst_sel:WORD_1 dst_unused:UNUSED_PAD src0_sel:BYTE_0 src1_sel:DWORD
	v_lshrrev_b16 v192, 8, v191
	v_ashrrev_i32_e32 v31, s4, v31
	v_ashrrev_i32_e32 v32, s4, v32
	v_and_b32_e32 v30, 0x4040404, v30
	v_ashrrev_i32_e32 v33, s4, v33
	v_sub_nc_u16 v192, v192, v193
	v_lshrrev_b32_e32 v193, 24, v141
	v_lshlrev_b32_e32 v31, 2, v31
	v_lshlrev_b32_e32 v32, 2, v32
	v_ashrrev_i32_e32 v151, s20, v151
	v_lshlrev_b16 v169, 8, v192
	v_sub_nc_u16 v170, v170, v193
	v_lshrrev_b32_e32 v193, 16, v191
	v_sub_nc_u16 v191, v191, v141
	v_lshrrev_b32_e32 v141, 16, v141
	v_and_b32_e32 v31, 0x4040404, v31
	v_lshlrev_b16 v170, 8, v170
	v_and_b32_e32 v32, 0x4040404, v32
	v_or_b32_sdwa v169, v191, v169 dst_sel:DWORD dst_unused:UNUSED_PAD src0_sel:BYTE_0 src1_sel:DWORD
	v_sub_nc_u16 v141, v193, v141
	v_and_b32_e32 v193, 0x3030303, v149
	v_bfe_u32 v149, v149, 24, 2
	v_lshlrev_b32_e32 v33, 2, v33
	v_ashrrev_i32_e32 v34, s4, v34
	v_or_b32_sdwa v141, v141, v170 dst_sel:WORD_1 dst_unused:UNUSED_PAD src0_sel:BYTE_0 src1_sel:DWORD
	v_lshrrev_b16 v194, 8, v193
	v_ashrrev_i32_e32 v152, s20, v152
	v_and_b32_e32 v33, 0x4040404, v33
	v_lshlrev_b32_e32 v34, 2, v34
	v_ashrrev_i32_e32 v35, s4, v35
	v_sub_nc_u16 v194, v194, v195
	v_lshrrev_b32_e32 v195, 24, v140
	v_lshrrev_b16 v174, 8, v33
	v_and_b32_e32 v34, 0x4040404, v34
	v_lshlrev_b32_e32 v35, 2, v35
	v_lshlrev_b16 v170, 8, v194
	v_sub_nc_u16 v149, v149, v195
	v_lshrrev_b32_e32 v195, 16, v193
	v_sub_nc_u16 v193, v193, v140
	v_lshrrev_b32_e32 v140, 16, v140
	v_lshrrev_b16 v176, 8, v34
	v_lshlrev_b16 v149, 8, v149
	v_and_b32_e32 v35, 0x4040404, v35
	v_or_b32_sdwa v170, v193, v170 dst_sel:DWORD dst_unused:UNUSED_PAD src0_sel:BYTE_0 src1_sel:DWORD
	v_sub_nc_u16 v140, v195, v140
	v_and_b32_e32 v195, 0x3030303, v150
	v_bfe_u32 v150, v150, 24, 2
	v_lshrrev_b16 v178, 8, v35
	v_ashrrev_i32_e32 v36, s4, v36
	v_or_b32_sdwa v140, v140, v149 dst_sel:WORD_1 dst_unused:UNUSED_PAD src0_sel:BYTE_0 src1_sel:DWORD
	v_lshrrev_b16 v196, 8, v195
	v_ashrrev_i32_e32 v25, s4, v25
	v_ashrrev_i32_e32 v26, s4, v26
	v_lshlrev_b32_e32 v36, 2, v36
	v_ashrrev_i32_e32 v153, s20, v153
	v_sub_nc_u16 v196, v196, v197
	v_lshrrev_b32_e32 v197, 24, v139
	v_lshlrev_b32_e32 v25, 2, v25
	v_and_b32_e32 v36, 0x4040404, v36
	v_lshlrev_b32_e32 v26, 2, v26
	v_lshlrev_b16 v149, 8, v196
	v_sub_nc_u16 v150, v150, v197
	v_lshrrev_b32_e32 v197, 16, v195
	v_sub_nc_u16 v195, v195, v139
	v_lshrrev_b32_e32 v139, 16, v139
	v_lshrrev_b16 v180, 8, v36
	v_lshlrev_b16 v150, 8, v150
	v_and_b32_e32 v25, 0x4040404, v25
	v_or_b32_sdwa v149, v195, v149 dst_sel:DWORD dst_unused:UNUSED_PAD src0_sel:BYTE_0 src1_sel:DWORD
	v_sub_nc_u16 v139, v197, v139
	v_and_b32_e32 v197, 0x3030303, v171
	v_bfe_u32 v171, v171, 24, 2
	v_lshrrev_b16 v182, 8, v25
	v_and_b32_e32 v26, 0x4040404, v26
	v_or_b32_sdwa v139, v139, v150 dst_sel:WORD_1 dst_unused:UNUSED_PAD src0_sel:BYTE_0 src1_sel:DWORD
	v_lshrrev_b16 v198, 8, v197
	v_ashrrev_i32_e32 v154, s20, v154
	v_ashrrev_i32_e32 v37, s4, v37
	v_lshrrev_b16 v184, 8, v26
	v_or_b32_sdwa v149, v149, v139 dst_sel:DWORD dst_unused:UNUSED_PAD src0_sel:WORD_0 src1_sel:DWORD
	v_sub_nc_u16 v198, v198, v199
	v_lshrrev_b32_e32 v199, 24, v138
	v_lshlrev_b32_e32 v37, 2, v37
	v_ashrrev_i32_e32 v38, s4, v38
	s_add_i32 s1, s1, 2
	v_lshlrev_b16 v150, 8, v198
	v_sub_nc_u16 v171, v171, v199
	v_lshrrev_b32_e32 v199, 16, v197
	v_sub_nc_u16 v197, v197, v138
	v_lshrrev_b32_e32 v138, 16, v138
	v_and_b32_e32 v37, 0x4040404, v37
	v_lshlrev_b16 v171, 8, v171
	v_lshlrev_b32_e32 v38, 2, v38
	v_or_b32_sdwa v150, v197, v150 dst_sel:DWORD dst_unused:UNUSED_PAD src0_sel:BYTE_0 src1_sel:DWORD
	v_sub_nc_u16 v138, v199, v138
	v_and_b32_e32 v199, 0x3030303, v172
	v_bfe_u32 v172, v172, 24, 2
	v_lshrrev_b16 v190, 8, v37
	v_and_b32_e32 v38, 0x4040404, v38
	v_or_b32_sdwa v138, v138, v171 dst_sel:WORD_1 dst_unused:UNUSED_PAD src0_sel:BYTE_0 src1_sel:DWORD
	v_lshrrev_b16 v200, 8, v199
	v_lshrrev_b16 v192, 8, v38
	v_or_b32_sdwa v150, v150, v138 dst_sel:DWORD dst_unused:UNUSED_PAD src0_sel:WORD_0 src1_sel:DWORD
	v_sub_nc_u16 v200, v200, v201
	v_lshrrev_b32_e32 v201, 24, v136
	v_lshlrev_b16 v171, 8, v200
	v_sub_nc_u16 v172, v172, v201
	v_lshrrev_b32_e32 v201, 16, v199
	v_sub_nc_u16 v199, v199, v136
	v_lshrrev_b32_e32 v136, 16, v136
	v_lshlrev_b16 v172, 8, v172
	v_or_b32_sdwa v171, v199, v171 dst_sel:DWORD dst_unused:UNUSED_PAD src0_sel:BYTE_0 src1_sel:DWORD
	v_sub_nc_u16 v136, v201, v136
	v_and_b32_e32 v201, 0x3030303, v147
	v_bfe_u32 v147, v147, 24, 2
	v_or_b32_sdwa v136, v136, v172 dst_sel:WORD_1 dst_unused:UNUSED_PAD src0_sel:BYTE_0 src1_sel:DWORD
	v_lshrrev_b16 v202, 8, v201
	v_sub_nc_u16 v202, v202, v203
	v_lshrrev_b32_e32 v203, 24, v137
	v_lshlrev_b16 v172, 8, v202
	v_sub_nc_u16 v147, v147, v203
	v_lshrrev_b32_e32 v203, 16, v201
	v_sub_nc_u16 v201, v201, v137
	v_lshrrev_b32_e32 v137, 16, v137
	v_lshlrev_b16 v147, 8, v147
	v_or_b32_sdwa v172, v201, v172 dst_sel:DWORD dst_unused:UNUSED_PAD src0_sel:BYTE_0 src1_sel:DWORD
	v_sub_nc_u16 v137, v203, v137
	v_and_b32_e32 v203, 0x3030303, v148
	v_bfe_u32 v148, v148, 24, 2
	v_or_b32_sdwa v137, v137, v147 dst_sel:WORD_1 dst_unused:UNUSED_PAD src0_sel:BYTE_0 src1_sel:DWORD
	v_lshrrev_b16 v204, 8, v203
	v_or_b32_sdwa v164, v172, v137 dst_sel:DWORD dst_unused:UNUSED_PAD src0_sel:WORD_0 src1_sel:DWORD
	v_sub_nc_u16 v204, v204, v205
	v_lshrrev_b32_e32 v205, 24, v135
	v_lshrrev_b16 v172, 8, v32
	v_lshlrev_b16 v147, 8, v204
	v_sub_nc_u16 v148, v148, v205
	v_lshrrev_b32_e32 v205, 16, v203
	v_sub_nc_u16 v203, v203, v135
	v_lshrrev_b32_e32 v135, 16, v135
	v_lshlrev_b16 v148, 8, v148
	v_or_b32_sdwa v147, v203, v147 dst_sel:DWORD dst_unused:UNUSED_PAD src0_sel:BYTE_0 src1_sel:DWORD
	v_sub_nc_u16 v135, v205, v135
	v_or_b32_sdwa v135, v135, v148 dst_sel:WORD_1 dst_unused:UNUSED_PAD src0_sel:BYTE_0 src1_sel:DWORD
	v_or_b32_sdwa v148, v173, v157 dst_sel:DWORD dst_unused:UNUSED_PAD src0_sel:WORD_0 src1_sel:DWORD
	v_or_b32_sdwa v157, v161, v158 dst_sel:DWORD dst_unused:UNUSED_PAD src0_sel:WORD_0 src1_sel:DWORD
	;; [unrolled: 1-line block ×9, first 2 shown]
	ds_read_b128 v[135:138], v130
	ds_read_b128 v[139:142], v130 offset:16
	v_lshrrev_b16 v168, 8, v30
	v_lshrrev_b16 v170, 8, v31
	v_add_nc_u32_e32 v130, 32, v130
	s_waitcnt lgkmcnt(1)
	v_dot4c_i32_i8 v165, v148, v135
	v_mov_b32_e32 v148, 0
	v_dot4c_i32_i8 v165, v157, v136
	v_dot4c_i32_i8 v148, v146, v135
	v_mov_b32_e32 v146, 0
	v_dot4c_i32_i8 v165, v158, v137
	v_dot4c_i32_i8 v148, v145, v136
	;; [unrolled: 1-line block ×3, first 2 shown]
	v_mov_b32_e32 v160, 0
	v_dot4c_i32_i8 v165, v159, v138
	v_dot4c_i32_i8 v148, v144, v137
	;; [unrolled: 1-line block ×4, first 2 shown]
	v_ashrrev_i32_e32 v135, s20, v21
	v_lshrrev_b16 v161, 8, v27
	v_add_nc_u32_e32 v21, s19, v89
	v_dot4c_i32_i8 v146, v162, v137
	v_dot4c_i32_i8 v160, v163, v136
	v_and_b32_e32 v158, 0x3030303, v135
	v_bfe_u32 v135, v135, 24, 2
	v_ashrrev_i32_e32 v136, s20, v22
	v_lshrrev_b16 v163, 8, v28
	v_dot4c_i32_i8 v160, v164, v137
	v_lshrrev_b16 v159, 8, v158
	v_ashrrev_i32_e32 v137, s20, v23
	ds_read_u16 v145, v21 offset:26354
	v_add3_u32 v21, s21, v117, v118
	v_dot4c_i32_i8 v160, v147, v138
	v_sub_nc_u16 v159, v159, v161
	v_lshrrev_b32_e32 v161, 24, v27
	v_add_nc_u32_e32 v23, 0x1098, v132
	ds_read_b32 v147, v21
	v_add_nc_u32_e32 v21, 0x1090, v132
	v_dot4c_i32_i8 v148, v143, v138
	v_sub_nc_u16 v135, v135, v161
	v_lshrrev_b32_e32 v161, 16, v158
	v_sub_nc_u16 v158, v158, v27
	v_lshrrev_b32_e32 v27, 16, v27
	v_dot4c_i32_i8 v146, v149, v138
	v_ashrrev_i32_e32 v138, s20, v24
	ds_read2_b32 v[21:22], v21 offset1:1
	ds_read2_b32 v[23:24], v23 offset1:1
	v_ashrrev_i32_e32 v143, s4, v155
	v_sub_nc_u16 v27, v161, v27
	v_and_b32_e32 v161, 0x3030303, v136
	v_bfe_u32 v136, v136, 24, 2
	v_ashrrev_i32_e32 v144, s4, v156
	v_lshlrev_b32_e32 v143, 2, v143
	v_lshlrev_b16 v159, 8, v159
	v_lshrrev_b16 v162, 8, v161
	v_lshlrev_b16 v135, 8, v135
	v_lshlrev_b32_e32 v144, 2, v144
	v_and_b32_e32 v143, 0x4040404, v143
	v_or_b32_sdwa v158, v158, v159 dst_sel:DWORD dst_unused:UNUSED_PAD src0_sel:BYTE_0 src1_sel:DWORD
	v_sub_nc_u16 v162, v162, v163
	v_lshrrev_b32_e32 v163, 24, v28
	v_and_b32_e32 v144, 0x4040404, v144
	v_lshrrev_b16 v186, 8, v143
	v_or_b32_sdwa v27, v27, v135 dst_sel:WORD_1 dst_unused:UNUSED_PAD src0_sel:BYTE_0 src1_sel:DWORD
	v_lshlrev_b16 v135, 8, v162
	v_sub_nc_u16 v136, v136, v163
	v_lshrrev_b32_e32 v163, 16, v161
	v_sub_nc_u16 v161, v161, v28
	v_lshrrev_b32_e32 v28, 16, v28
	s_waitcnt lgkmcnt(1)
	v_ashrrev_i32_e32 v149, s20, v21
	v_ashrrev_i32_e32 v150, s20, v22
	v_add_nc_u32_e32 v22, s19, v87
	s_waitcnt lgkmcnt(0)
	v_ashrrev_i32_e32 v155, s20, v23
	v_sub_nc_u16 v28, v163, v28
	v_and_b32_e32 v163, 0x3030303, v137
	v_bfe_u32 v137, v137, 24, 2
	v_add_nc_u32_e32 v21, 0x3190, v132
	v_add_nc_u32_e32 v23, 0x3198, v132
	ds_read_u16 v132, v22 offset:28402
	v_lshrrev_b16 v164, 8, v163
	v_add3_u32 v22, s21, v125, v126
	v_ashrrev_i32_e32 v156, s20, v24
	ds_read_b32 v157, v22
	ds_read2_b32 v[21:22], v21 offset1:1
	ds_read2_b32 v[23:24], v23 offset1:1
	v_sub_nc_u16 v164, v164, v166
	v_lshrrev_b32_e32 v166, 24, v29
	v_lshrrev_b16 v188, 8, v144
	v_or_b32_sdwa v27, v158, v27 dst_sel:DWORD dst_unused:UNUSED_PAD src0_sel:WORD_0 src1_sel:DWORD
	v_lshlrev_b16 v136, 8, v136
	v_or_b32_sdwa v135, v161, v135 dst_sel:DWORD dst_unused:UNUSED_PAD src0_sel:BYTE_0 src1_sel:DWORD
	v_sub_nc_u16 v137, v137, v166
	v_lshrrev_b32_e32 v166, 16, v163
	v_sub_nc_u16 v163, v163, v29
	v_lshrrev_b32_e32 v29, 16, v29
	v_or_b32_sdwa v28, v28, v136 dst_sel:WORD_1 dst_unused:UNUSED_PAD src0_sel:BYTE_0 src1_sel:DWORD
	v_lshlrev_b16 v136, 8, v164
	v_lshlrev_b16 v137, 8, v137
	s_add_i32 s4, s4, 1
	v_sub_nc_u16 v29, v166, v29
	v_and_b32_e32 v166, 0x3030303, v138
	v_bfe_u32 v138, v138, 24, 2
	v_or_b32_sdwa v28, v135, v28 dst_sel:DWORD dst_unused:UNUSED_PAD src0_sel:WORD_0 src1_sel:DWORD
	s_waitcnt lgkmcnt(1)
	v_ashrrev_i32_e32 v21, s20, v21
	v_ashrrev_i32_e32 v22, s20, v22
	v_lshrrev_b16 v167, 8, v166
	s_waitcnt lgkmcnt(0)
	v_ashrrev_i32_e32 v23, s20, v23
	v_ashrrev_i32_e32 v24, s20, v24
	v_mov_b32_e32 v135, 0
	v_or_b32_sdwa v136, v163, v136 dst_sel:DWORD dst_unused:UNUSED_PAD src0_sel:BYTE_0 src1_sel:DWORD
	v_sub_nc_u16 v167, v167, v168
	v_lshrrev_b32_e32 v168, 24, v30
	v_or_b32_sdwa v29, v29, v137 dst_sel:WORD_1 dst_unused:UNUSED_PAD src0_sel:BYTE_0 src1_sel:DWORD
	s_cmp_lt_u32 s5, 30
	v_lshlrev_b16 v137, 8, v167
	v_sub_nc_u16 v138, v138, v168
	v_lshrrev_b32_e32 v168, 16, v166
	v_sub_nc_u16 v166, v166, v30
	v_lshrrev_b32_e32 v30, 16, v30
	v_or_b32_sdwa v29, v136, v29 dst_sel:DWORD dst_unused:UNUSED_PAD src0_sel:WORD_0 src1_sel:DWORD
	v_lshlrev_b16 v138, 8, v138
	v_or_b32_sdwa v137, v166, v137 dst_sel:DWORD dst_unused:UNUSED_PAD src0_sel:BYTE_0 src1_sel:DWORD
	v_sub_nc_u16 v30, v168, v30
	v_and_b32_e32 v168, 0x3030303, v149
	v_bfe_u32 v149, v149, 24, 2
	v_or_b32_sdwa v30, v30, v138 dst_sel:WORD_1 dst_unused:UNUSED_PAD src0_sel:BYTE_0 src1_sel:DWORD
	v_lshrrev_b16 v169, 8, v168
	v_or_b32_sdwa v30, v137, v30 dst_sel:DWORD dst_unused:UNUSED_PAD src0_sel:WORD_0 src1_sel:DWORD
	v_sub_nc_u16 v169, v169, v170
	v_lshrrev_b32_e32 v170, 24, v31
	v_lshlrev_b16 v138, 8, v169
	v_sub_nc_u16 v149, v149, v170
	v_lshrrev_b32_e32 v170, 16, v168
	v_sub_nc_u16 v168, v168, v31
	v_lshrrev_b32_e32 v31, 16, v31
	v_lshlrev_b16 v149, 8, v149
	v_or_b32_sdwa v138, v168, v138 dst_sel:DWORD dst_unused:UNUSED_PAD src0_sel:BYTE_0 src1_sel:DWORD
	v_sub_nc_u16 v31, v170, v31
	v_and_b32_e32 v170, 0x3030303, v150
	v_bfe_u32 v150, v150, 24, 2
	v_or_b32_sdwa v31, v31, v149 dst_sel:WORD_1 dst_unused:UNUSED_PAD src0_sel:BYTE_0 src1_sel:DWORD
	v_lshrrev_b16 v171, 8, v170
	v_or_b32_sdwa v31, v138, v31 dst_sel:DWORD dst_unused:UNUSED_PAD src0_sel:WORD_0 src1_sel:DWORD
	v_sub_nc_u16 v171, v171, v172
	v_lshrrev_b32_e32 v172, 24, v32
	v_lshlrev_b16 v149, 8, v171
	v_sub_nc_u16 v150, v150, v172
	v_lshrrev_b32_e32 v172, 16, v170
	v_sub_nc_u16 v170, v170, v32
	v_lshrrev_b32_e32 v32, 16, v32
	;; [unrolled: 15-line block ×3, first 2 shown]
	v_lshlrev_b16 v151, 8, v151
	v_or_b32_sdwa v150, v172, v150 dst_sel:DWORD dst_unused:UNUSED_PAD src0_sel:BYTE_0 src1_sel:DWORD
	v_sub_nc_u16 v33, v174, v33
	v_and_b32_e32 v174, 0x3030303, v152
	v_bfe_u32 v152, v152, 24, 2
	v_or_b32_sdwa v33, v33, v151 dst_sel:WORD_1 dst_unused:UNUSED_PAD src0_sel:BYTE_0 src1_sel:DWORD
	v_lshrrev_b16 v175, 8, v174
	v_or_b32_sdwa v33, v150, v33 dst_sel:DWORD dst_unused:UNUSED_PAD src0_sel:WORD_0 src1_sel:DWORD
	v_sub_nc_u16 v175, v175, v176
	v_lshrrev_b32_e32 v176, 24, v34
	v_dot4c_i32_i8 v135, v33, v139
	v_lshlrev_b16 v151, 8, v175
	v_sub_nc_u16 v152, v152, v176
	v_lshrrev_b32_e32 v176, 16, v174
	v_sub_nc_u16 v174, v174, v34
	v_lshrrev_b32_e32 v34, 16, v34
	v_lshlrev_b16 v152, 8, v152
	v_or_b32_sdwa v151, v174, v151 dst_sel:DWORD dst_unused:UNUSED_PAD src0_sel:BYTE_0 src1_sel:DWORD
	v_sub_nc_u16 v34, v176, v34
	v_and_b32_e32 v176, 0x3030303, v21
	v_bfe_u32 v21, v21, 24, 2
	v_or_b32_sdwa v34, v34, v152 dst_sel:WORD_1 dst_unused:UNUSED_PAD src0_sel:BYTE_0 src1_sel:DWORD
	v_lshrrev_b16 v177, 8, v176
	v_or_b32_sdwa v34, v151, v34 dst_sel:DWORD dst_unused:UNUSED_PAD src0_sel:WORD_0 src1_sel:DWORD
	v_sub_nc_u16 v177, v177, v178
	v_lshrrev_b32_e32 v178, 24, v35
	v_dot4c_i32_i8 v135, v34, v140
	v_lshlrev_b16 v152, 8, v177
	v_sub_nc_u16 v21, v21, v178
	v_lshrrev_b32_e32 v178, 16, v176
	v_sub_nc_u16 v176, v176, v35
	v_lshrrev_b32_e32 v35, 16, v35
	v_lshlrev_b16 v21, 8, v21
	v_or_b32_sdwa v152, v176, v152 dst_sel:DWORD dst_unused:UNUSED_PAD src0_sel:BYTE_0 src1_sel:DWORD
	v_sub_nc_u16 v35, v178, v35
	v_and_b32_e32 v178, 0x3030303, v22
	v_bfe_u32 v22, v22, 24, 2
	v_or_b32_sdwa v21, v35, v21 dst_sel:WORD_1 dst_unused:UNUSED_PAD src0_sel:BYTE_0 src1_sel:DWORD
	v_lshrrev_b16 v179, 8, v178
	v_or_b32_sdwa v21, v152, v21 dst_sel:DWORD dst_unused:UNUSED_PAD src0_sel:WORD_0 src1_sel:DWORD
	v_sub_nc_u16 v179, v179, v180
	v_lshrrev_b32_e32 v180, 24, v36
	v_lshlrev_b16 v35, 8, v179
	v_sub_nc_u16 v22, v22, v180
	v_lshrrev_b32_e32 v180, 16, v178
	v_sub_nc_u16 v178, v178, v36
	v_lshrrev_b32_e32 v36, 16, v36
	v_lshlrev_b16 v22, 8, v22
	v_or_b32_sdwa v35, v178, v35 dst_sel:DWORD dst_unused:UNUSED_PAD src0_sel:BYTE_0 src1_sel:DWORD
	v_sub_nc_u16 v36, v180, v36
	v_and_b32_e32 v180, 0x3030303, v155
	v_bfe_u32 v155, v155, 24, 2
	v_or_b32_sdwa v22, v36, v22 dst_sel:WORD_1 dst_unused:UNUSED_PAD src0_sel:BYTE_0 src1_sel:DWORD
	v_lshrrev_b16 v181, 8, v180
	v_or_b32_sdwa v22, v35, v22 dst_sel:DWORD dst_unused:UNUSED_PAD src0_sel:WORD_0 src1_sel:DWORD
	v_sub_nc_u16 v181, v181, v182
	v_lshrrev_b32_e32 v182, 24, v25
	;; [unrolled: 15-line block ×5, first 2 shown]
	v_dot4c_i32_i8 v135, v35, v141
	v_lshlrev_b16 v153, 8, v187
	v_sub_nc_u16 v154, v154, v188
	v_lshrrev_b32_e32 v188, 16, v186
	v_sub_nc_u16 v186, v186, v144
	v_lshrrev_b32_e32 v144, 16, v144
	v_lshlrev_b16 v154, 8, v154
	v_or_b32_sdwa v153, v186, v153 dst_sel:DWORD dst_unused:UNUSED_PAD src0_sel:BYTE_0 src1_sel:DWORD
	v_sub_nc_u16 v144, v188, v144
	v_and_b32_e32 v188, 0x3030303, v23
	v_bfe_u32 v23, v23, 24, 2
	v_or_b32_sdwa v144, v144, v154 dst_sel:WORD_1 dst_unused:UNUSED_PAD src0_sel:BYTE_0 src1_sel:DWORD
	v_lshrrev_b16 v189, 8, v188
	v_or_b32_sdwa v36, v153, v144 dst_sel:DWORD dst_unused:UNUSED_PAD src0_sel:WORD_0 src1_sel:DWORD
	v_sub_nc_u16 v189, v189, v190
	v_lshrrev_b32_e32 v190, 24, v37
	v_dot4c_i32_i8 v135, v36, v142
	v_lshlrev_b16 v154, 8, v189
	v_sub_nc_u16 v23, v23, v190
	v_lshrrev_b32_e32 v190, 16, v188
	v_sub_nc_u16 v188, v188, v37
	v_lshrrev_b32_e32 v37, 16, v37
	v_lshlrev_b16 v23, 8, v23
	v_or_b32_sdwa v154, v188, v154 dst_sel:DWORD dst_unused:UNUSED_PAD src0_sel:BYTE_0 src1_sel:DWORD
	v_sub_nc_u16 v37, v190, v37
	v_and_b32_e32 v190, 0x3030303, v24
	v_bfe_u32 v24, v24, 24, 2
	v_or_b32_sdwa v23, v37, v23 dst_sel:WORD_1 dst_unused:UNUSED_PAD src0_sel:BYTE_0 src1_sel:DWORD
	v_lshrrev_b16 v191, 8, v190
	v_or_b32_sdwa v23, v154, v23 dst_sel:DWORD dst_unused:UNUSED_PAD src0_sel:WORD_0 src1_sel:DWORD
	v_sub_nc_u16 v191, v191, v192
	v_lshrrev_b32_e32 v192, 24, v38
	v_lshlrev_b16 v37, 8, v191
	v_sub_nc_u16 v24, v24, v192
	v_lshrrev_b32_e32 v192, 16, v190
	v_sub_nc_u16 v190, v190, v38
	v_lshrrev_b32_e32 v38, 16, v38
	v_lshlrev_b16 v24, 8, v24
	v_or_b32_sdwa v37, v190, v37 dst_sel:DWORD dst_unused:UNUSED_PAD src0_sel:BYTE_0 src1_sel:DWORD
	v_sub_nc_u16 v38, v192, v38
	v_or_b32_sdwa v24, v38, v24 dst_sel:WORD_1 dst_unused:UNUSED_PAD src0_sel:BYTE_0 src1_sel:DWORD
	v_mov_b32_e32 v38, 0
	v_or_b32_sdwa v24, v37, v24 dst_sel:DWORD dst_unused:UNUSED_PAD src0_sel:WORD_0 src1_sel:DWORD
	v_mov_b32_e32 v37, 0
	v_dot4c_i32_i8 v38, v27, v139
	v_add_nc_u32_e32 v27, s19, v90
	v_dot4c_i32_i8 v37, v31, v139
	v_mov_b32_e32 v31, 0
	v_dot4c_i32_i8 v38, v28, v140
	v_dot4c_i32_i8 v37, v32, v140
	;; [unrolled: 1-line block ×3, first 2 shown]
	v_add_nc_u32_e32 v21, s19, v88
	ds_read_u16 v27, v27 offset:25330
	ds_read_u16 v21, v21 offset:27378
	v_dot4c_i32_i8 v31, v22, v140
	v_bfe_i32 v22, v145, 0, 8
	v_dot4c_i32_i8 v38, v29, v141
	v_lshrrev_b16 v29, 8, v132
	v_bfe_i32 v132, v132, 0, 8
	v_dot4c_i32_i8 v31, v23, v141
	v_mul_lo_u32 v22, v148, v22
	v_dot4c_i32_i8 v37, v25, v141
	v_dot4c_i32_i8 v38, v30, v142
	ds_read_b32 v33, v131
	v_dot4c_i32_i8 v31, v24, v142
	v_mul_lo_u32 v24, v160, v132
	v_dot4c_i32_i8 v37, v26, v142
	v_bfe_i32 v29, v29, 0, 8
	v_add_nc_u32_e32 v131, 4, v131
	s_mov_b32 s19, s5
	s_waitcnt lgkmcnt(2)
	v_lshrrev_b16 v28, 8, v27
	v_bfe_i32 v27, v27, 0, 8
	s_waitcnt lgkmcnt(1)
	v_lshrrev_b16 v32, 8, v21
	v_bfe_i32 v34, v21, 0, 8
	v_lshrrev_b16 v21, 8, v145
	v_bfe_i32 v28, v28, 0, 8
	v_bfe_i32 v32, v32, 0, 8
	v_mul_lo_u32 v23, v146, v34
	v_bfe_i32 v136, v21, 0, 8
	v_mul_lo_u32 v21, v165, v27
	v_mad_u64_u32 v[25:26], null, v38, v28, v[21:22]
	v_mad_u64_u32 v[26:27], null, v37, v136, v[22:23]
	v_mad_u64_u32 v[27:28], null, v135, v32, v[23:24]
	s_waitcnt lgkmcnt(0)
	v_mul_f32_e32 v21, v33, v134
	v_mul_f32_e32 v22, v33, v147
	v_mad_u64_u32 v[28:29], null, v31, v29, v[24:25]
	v_mul_f32_e32 v23, v33, v133
	v_mul_f32_e32 v24, v33, v157
	v_cvt_f32_i32_e32 v25, v25
	v_cvt_f32_i32_e32 v26, v26
	v_cvt_f32_i32_e32 v27, v27
	v_cvt_f32_i32_e32 v28, v28
	v_fmac_f32_e32 v40, v21, v25
	v_fmac_f32_e32 v86, v22, v26
	;; [unrolled: 1-line block ×4, first 2 shown]
	s_cbranch_scc1 .LBB210_35
; %bb.36:                               ;   in Loop: Header=BB210_5 Depth=1
	s_barrier
	buffer_gl0_inv
	s_branch .LBB210_4
.LBB210_37:
	s_mul_i32 s0, s14, s11
	s_waitcnt vmcnt(0)
	v_cmp_gt_i32_e32 vcc_lo, s0, v39
	s_and_saveexec_b32 s0, vcc_lo
	s_cbranch_execz .LBB210_46
; %bb.38:
	v_add_nc_u32_e32 v1, s6, v0
	v_mul_lo_u32 v0, v39, s13
	s_mov_b32 s0, exec_lo
	v_cmpx_gt_u32_e64 s13, v1
	s_cbranch_execz .LBB210_40
; %bb.39:
	v_add_nc_u32_e32 v2, v0, v1
	v_mov_b32_e32 v3, 0
	v_cvt_f16_f32_e32 v4, v40
	v_lshlrev_b64 v[2:3], 1, v[2:3]
	v_add_co_u32 v2, vcc_lo, s16, v2
	v_add_co_ci_u32_e64 v3, null, s17, v3, vcc_lo
	global_store_short v[2:3], v4, off
.LBB210_40:
	s_or_b32 exec_lo, exec_lo, s0
	v_add_nc_u32_e32 v2, 32, v1
	s_mov_b32 s0, exec_lo
	v_cmpx_gt_u32_e64 s13, v2
	s_cbranch_execz .LBB210_42
; %bb.41:
	v_add_nc_u32_e32 v2, v0, v2
	v_mov_b32_e32 v3, 0
	v_cvt_f16_f32_e32 v4, v86
	v_lshlrev_b64 v[2:3], 1, v[2:3]
	v_add_co_u32 v2, vcc_lo, s16, v2
	v_add_co_ci_u32_e64 v3, null, s17, v3, vcc_lo
	global_store_short v[2:3], v4, off
.LBB210_42:
	s_or_b32 exec_lo, exec_lo, s0
	v_add_nc_u32_e32 v2, 64, v1
	;; [unrolled: 14-line block ×3, first 2 shown]
	v_cmp_gt_u32_e32 vcc_lo, s13, v1
	s_and_b32 exec_lo, exec_lo, vcc_lo
	s_cbranch_execz .LBB210_46
; %bb.45:
	v_add_nc_u32_e32 v0, v0, v1
	v_mov_b32_e32 v1, 0
	v_cvt_f16_f32_e32 v2, v18
	v_lshlrev_b64 v[0:1], 1, v[0:1]
	v_add_co_u32 v0, vcc_lo, s16, v0
	v_add_co_ci_u32_e64 v1, null, s17, v1, vcc_lo
	global_store_short v[0:1], v2, off
.LBB210_46:
	s_endpgm
	.section	.rodata,"a",@progbits
	.p2align	6, 0x0
	.amdhsa_kernel _ZL8moe_q3_KIN3c104HalfELb1EEvPKvS3_PT_PKiS7_S7_iiiiiii
		.amdhsa_group_segment_fixed_size 31776
		.amdhsa_private_segment_fixed_size 0
		.amdhsa_kernarg_size 76
		.amdhsa_user_sgpr_count 6
		.amdhsa_user_sgpr_private_segment_buffer 1
		.amdhsa_user_sgpr_dispatch_ptr 0
		.amdhsa_user_sgpr_queue_ptr 0
		.amdhsa_user_sgpr_kernarg_segment_ptr 1
		.amdhsa_user_sgpr_dispatch_id 0
		.amdhsa_user_sgpr_flat_scratch_init 0
		.amdhsa_user_sgpr_private_segment_size 0
		.amdhsa_wavefront_size32 1
		.amdhsa_uses_dynamic_stack 0
		.amdhsa_system_sgpr_private_segment_wavefront_offset 0
		.amdhsa_system_sgpr_workgroup_id_x 1
		.amdhsa_system_sgpr_workgroup_id_y 1
		.amdhsa_system_sgpr_workgroup_id_z 0
		.amdhsa_system_sgpr_workgroup_info 0
		.amdhsa_system_vgpr_workitem_id 1
		.amdhsa_next_free_vgpr 207
		.amdhsa_next_free_sgpr 26
		.amdhsa_reserve_vcc 1
		.amdhsa_reserve_flat_scratch 0
		.amdhsa_float_round_mode_32 0
		.amdhsa_float_round_mode_16_64 0
		.amdhsa_float_denorm_mode_32 3
		.amdhsa_float_denorm_mode_16_64 3
		.amdhsa_dx10_clamp 1
		.amdhsa_ieee_mode 1
		.amdhsa_fp16_overflow 0
		.amdhsa_workgroup_processor_mode 1
		.amdhsa_memory_ordered 1
		.amdhsa_forward_progress 1
		.amdhsa_shared_vgpr_count 0
		.amdhsa_exception_fp_ieee_invalid_op 0
		.amdhsa_exception_fp_denorm_src 0
		.amdhsa_exception_fp_ieee_div_zero 0
		.amdhsa_exception_fp_ieee_overflow 0
		.amdhsa_exception_fp_ieee_underflow 0
		.amdhsa_exception_fp_ieee_inexact 0
		.amdhsa_exception_int_div_zero 0
	.end_amdhsa_kernel
	.section	.text._ZL8moe_q3_KIN3c104HalfELb1EEvPKvS3_PT_PKiS7_S7_iiiiiii,"axG",@progbits,_ZL8moe_q3_KIN3c104HalfELb1EEvPKvS3_PT_PKiS7_S7_iiiiiii,comdat
.Lfunc_end210:
	.size	_ZL8moe_q3_KIN3c104HalfELb1EEvPKvS3_PT_PKiS7_S7_iiiiiii, .Lfunc_end210-_ZL8moe_q3_KIN3c104HalfELb1EEvPKvS3_PT_PKiS7_S7_iiiiiii
                                        ; -- End function
	.set _ZL8moe_q3_KIN3c104HalfELb1EEvPKvS3_PT_PKiS7_S7_iiiiiii.num_vgpr, 207
	.set _ZL8moe_q3_KIN3c104HalfELb1EEvPKvS3_PT_PKiS7_S7_iiiiiii.num_agpr, 0
	.set _ZL8moe_q3_KIN3c104HalfELb1EEvPKvS3_PT_PKiS7_S7_iiiiiii.numbered_sgpr, 26
	.set _ZL8moe_q3_KIN3c104HalfELb1EEvPKvS3_PT_PKiS7_S7_iiiiiii.num_named_barrier, 0
	.set _ZL8moe_q3_KIN3c104HalfELb1EEvPKvS3_PT_PKiS7_S7_iiiiiii.private_seg_size, 0
	.set _ZL8moe_q3_KIN3c104HalfELb1EEvPKvS3_PT_PKiS7_S7_iiiiiii.uses_vcc, 1
	.set _ZL8moe_q3_KIN3c104HalfELb1EEvPKvS3_PT_PKiS7_S7_iiiiiii.uses_flat_scratch, 0
	.set _ZL8moe_q3_KIN3c104HalfELb1EEvPKvS3_PT_PKiS7_S7_iiiiiii.has_dyn_sized_stack, 0
	.set _ZL8moe_q3_KIN3c104HalfELb1EEvPKvS3_PT_PKiS7_S7_iiiiiii.has_recursion, 0
	.set _ZL8moe_q3_KIN3c104HalfELb1EEvPKvS3_PT_PKiS7_S7_iiiiiii.has_indirect_call, 0
	.section	.AMDGPU.csdata,"",@progbits
; Kernel info:
; codeLenInByte = 26812
; TotalNumSgprs: 28
; NumVgprs: 207
; ScratchSize: 0
; MemoryBound: 0
; FloatMode: 240
; IeeeMode: 1
; LDSByteSize: 31776 bytes/workgroup (compile time only)
; SGPRBlocks: 0
; VGPRBlocks: 25
; NumSGPRsForWavesPerEU: 28
; NumVGPRsForWavesPerEU: 207
; Occupancy: 4
; WaveLimiterHint : 1
; COMPUTE_PGM_RSRC2:SCRATCH_EN: 0
; COMPUTE_PGM_RSRC2:USER_SGPR: 6
; COMPUTE_PGM_RSRC2:TRAP_HANDLER: 0
; COMPUTE_PGM_RSRC2:TGID_X_EN: 1
; COMPUTE_PGM_RSRC2:TGID_Y_EN: 1
; COMPUTE_PGM_RSRC2:TGID_Z_EN: 0
; COMPUTE_PGM_RSRC2:TIDIG_COMP_CNT: 1
	.section	.text._ZL8moe_q4_KIN3c104HalfELb0EEvPKvS3_PT_PKiS7_S7_iiiiiii,"axG",@progbits,_ZL8moe_q4_KIN3c104HalfELb0EEvPKvS3_PT_PKiS7_S7_iiiiiii,comdat
	.globl	_ZL8moe_q4_KIN3c104HalfELb0EEvPKvS3_PT_PKiS7_S7_iiiiiii ; -- Begin function _ZL8moe_q4_KIN3c104HalfELb0EEvPKvS3_PT_PKiS7_S7_iiiiiii
	.p2align	8
	.type	_ZL8moe_q4_KIN3c104HalfELb0EEvPKvS3_PT_PKiS7_S7_iiiiiii,@function
_ZL8moe_q4_KIN3c104HalfELb0EEvPKvS3_PT_PKiS7_S7_iiiiiii: ; @_ZL8moe_q4_KIN3c104HalfELb0EEvPKvS3_PT_PKiS7_S7_iiiiiii
; %bb.0:
	s_load_dwordx4 s[0:3], s[4:5], 0x18
	s_mov_b32 s8, s7
	s_mov_b32 s9, 0
	s_lshl_b64 s[10:11], s[8:9], 2
	s_waitcnt lgkmcnt(0)
	s_add_u32 s2, s2, s10
	s_addc_u32 s3, s3, s11
	s_load_dword s14, s[2:3], 0x0
	s_waitcnt lgkmcnt(0)
	s_cmpk_gt_u32 s14, 0xff
	s_cbranch_scc1 .LBB211_26
; %bb.1:
	s_load_dwordx2 s[2:3], s[4:5], 0x28
	s_waitcnt lgkmcnt(0)
	s_load_dword s3, s[2:3], 0x0
	s_lshl_b32 s2, s8, 3
	s_waitcnt lgkmcnt(0)
	s_cmp_gt_u32 s2, s3
	s_cbranch_scc1 .LBB211_26
; %bb.2:
	v_add_nc_u32_e32 v22, s2, v1
	v_mov_b32_e32 v23, 0
	s_lshl_b32 s16, s6, 7
	v_lshlrev_b64 v[2:3], 2, v[22:23]
	v_mov_b32_e32 v119, v23
	v_mov_b32_e32 v120, v23
	;; [unrolled: 1-line block ×3, first 2 shown]
	v_add_co_u32 v2, vcc_lo, s0, v2
	v_add_co_ci_u32_e64 v3, null, s1, v3, vcc_lo
	global_load_dword v32, v[2:3], off
	s_clause 0x2
	s_load_dwordx2 s[2:3], s[4:5], 0x30
	s_load_dwordx2 s[12:13], s[4:5], 0x10
	s_load_dwordx4 s[8:11], s[4:5], 0x3c
	s_waitcnt lgkmcnt(0)
	s_cmpk_lt_i32 s3, 0x100
	s_cbranch_scc1 .LBB211_17
; %bb.3:
	s_ashr_i32 s0, s3, 31
	s_mul_i32 s18, s14, s2
	s_lshr_b32 s0, s0, 24
	s_abs_i32 s2, s11
	s_add_i32 s0, s3, s0
	v_lshlrev_b32_e32 v5, 3, v1
	s_ashr_i32 s17, s0, 8
	v_lshrrev_b32_e32 v7, 2, v0
	s_lshl_b32 s0, s17, 3
	v_cvt_f32_u32_e32 v11, s2
	v_mad_i32_i24 v6, s17, v1, s0
	v_lshl_add_u32 v3, v1, 5, v0
	v_add_nc_u32_e32 v16, v7, v5
	v_add_nc_u16 v5, v7, v5
	v_rcp_iflag_f32_e32 v7, v11
	v_add_nc_u32_e32 v8, s0, v6
	v_and_b32_e32 v14, 0x7f, v3
	v_lshrrev_b32_e32 v3, 3, v3
	v_and_b32_e32 v9, 3, v0
	s_sub_i32 s14, 0, s2
	v_add_nc_u32_e32 v10, s0, v8
	v_mul_i32_i24_e32 v25, s17, v14
	v_and_b32_e32 v3, 12, v3
	v_lshlrev_b32_e32 v14, 2, v14
	v_mul_f32_e32 v7, 0x4f7ffffe, v7
	v_add_nc_u32_e32 v12, s0, v10
	v_add_nc_u32_e32 v17, 0xfe, v9
	v_cmp_gt_u32_e32 vcc_lo, 2, v9
	v_add3_u32 v43, v14, v3, 0x4e40
	v_cvt_u32_f32_e32 v3, v7
	v_add_nc_u32_e32 v15, s0, v12
	v_and_b32_e32 v17, 0xff, v17
	s_ashr_i32 s1, s9, 31
	v_lshlrev_b32_e32 v19, 2, v9
	v_mul_lo_u32 v22, s14, v3
	v_add_nc_u32_e32 v20, s0, v15
	v_cndmask_b32_e32 v7, v17, v9, vcc_lo
	v_cmp_ne_u32_e32 vcc_lo, 0, v9
	s_lshr_b32 s1, s1, 27
	s_waitcnt vmcnt(0)
	v_sub_nc_u32_e32 v30, 0, v32
	s_add_i32 s1, s9, s1
	v_add_nc_u32_e32 v11, s0, v20
	s_ashr_i32 s9, s1, 5
	v_cmp_lt_u32_e64 s1, 1, v9
	v_add_co_ci_u32_e64 v9, null, 0, v7, vcc_lo
	v_lshlrev_b32_e32 v44, 1, v7
	v_mul_hi_u32 v7, v3, v22
	v_add_nc_u32_e32 v23, s0, v11
	v_max_i32_e32 v30, v32, v30
	v_lshlrev_b32_e32 v4, 2, v0
	v_and_b32_e32 v16, 0x7f, v16
	v_lshrrev_b16 v5, 1, v5
	v_add_nc_u32_e32 v24, s0, v23
	v_lshl_add_u32 v47, v1, 7, 0x4a40
	v_add_nc_u32_e32 v3, v3, v7
	v_and_b32_e32 v18, 4, v4
	v_mul_i32_i24_e32 v17, s17, v16
	v_add_nc_u32_e32 v26, s0, v24
	v_xor_b32_e32 v27, 64, v16
	v_mul_hi_u32 v3, v30, v3
	v_lshl_or_b32 v16, v16, 4, v19
	v_and_b32_e32 v5, 60, v5
	v_cndmask_b32_e64 v42, 0, v18, s1
	v_add_nc_u32_e32 v18, s0, v26
	v_lshrrev_b32_e32 v48, 3, v0
	v_add_nc_u32_e32 v7, 32, v0
	v_add3_u32 v45, v16, v5, 0x4200
	v_and_b32_e32 v5, 31, v0
	v_lshrrev_b32_e32 v22, 1, v27
	v_lshl_or_b32 v19, v27, 4, v19
	v_mul_i32_i24_e32 v16, s17, v27
	v_mul_lo_u32 v27, v3, s2
	v_add_nc_u32_e32 v14, s0, v18
	v_lshl_add_u32 v49, v5, 2, v47
	v_add_nc_u32_e32 v5, v48, v4
	v_lshrrev_b32_e32 v50, 3, v7
	v_lshrrev_b32_e32 v2, 5, v0
	v_add_nc_u32_e32 v28, s0, v14
	s_load_dwordx4 s[4:7], s[4:5], 0x0
	v_lshl_add_u32 v52, v5, 2, 0x4200
	v_lshl_add_u32 v5, v7, 2, v50
	v_sub_nc_u32_e32 v27, v30, v27
	v_add_nc_u32_e32 v29, s0, v28
	v_add_nc_u32_e32 v30, 1, v3
	v_lshlrev_b32_e32 v31, 2, v2
	v_lshl_add_u32 v54, v5, 2, 0x4200
	v_subrev_nc_u32_e32 v5, s2, v27
	v_cmp_le_u32_e64 s0, s2, v27
	v_and_b32_e32 v7, 60, v50
	v_add3_u32 v53, v4, v31, 0x4e40
	v_xor_b32_e32 v31, s11, v32
	s_mul_i32 s20, s17, s16
	v_cndmask_b32_e64 v3, v3, v30, s0
	v_cndmask_b32_e64 v5, v27, v5, s0
	v_add3_u32 v55, v4, v7, 0x4e40
	v_add_nc_u32_e32 v7, 64, v0
	v_add_nc_u32_e32 v30, 0x60, v0
	;; [unrolled: 1-line block ×3, first 2 shown]
	v_cmp_le_u32_e64 s0, s2, v5
	v_ashrrev_i32_e32 v31, 31, v31
	v_lshrrev_b32_e32 v56, 3, v7
	v_lshrrev_b32_e32 v57, 3, v30
	s_mul_hi_i32 s15, s20, 0x90
	v_cndmask_b32_e64 v3, v3, v27, s0
	s_mul_i32 s14, s20, 0x90
	v_lshl_add_u32 v5, v7, 2, v56
	v_and_b32_e32 v7, 60, v56
	v_mul_i32_i24_e32 v21, s17, v1
	v_xor_b32_e32 v56, v3, v31
	v_mad_u64_u32 v[2:3], null, 0x90, v2, s[14:15]
	v_and_b32_e32 v22, 60, v22
	v_lshl_add_u32 v27, v30, 2, v57
	v_and_b32_e32 v30, 60, v57
	v_and_b32_e32 v13, 0x7c, v4
	v_mad_u32_u24 v33, 0x84, v1, v4
	v_add3_u32 v46, v19, v22, 0x4200
	v_add_nc_u32_e32 v19, 0x5050, v4
	v_and_b32_e32 v22, 28, v4
	v_sub_nc_u32_e32 v31, v56, v31
	v_lshl_add_u32 v56, v5, 2, 0x4200
	v_add3_u32 v57, v4, v7, 0x4e40
	v_add3_u32 v59, v4, v30, 0x4e40
	v_mad_u64_u32 v[4:5], null, 0x90, v21, v[2:3]
	s_waitcnt lgkmcnt(0)
	v_add_co_u32 v21, s2, s6, v22
	v_add_co_ci_u32_e64 v22, null, s7, 0, s2
	v_mad_u64_u32 v[6:7], null, 0x90, v6, v[2:3]
	v_add_co_u32 v4, s2, v4, v13
	v_add_co_ci_u32_e64 v5, null, 0, v5, s2
	v_lshl_add_u32 v58, v27, 2, 0x4200
	v_add_co_u32 v27, s2, s4, v4
	v_add_co_ci_u32_e64 v30, null, s5, v5, s2
	v_mad_u64_u32 v[4:5], null, 0x90, v8, v[2:3]
	v_add_co_u32 v6, s2, v6, v13
	v_add_co_ci_u32_e64 v7, null, 0, v7, s2
	v_add_co_u32 v61, s2, v27, 16
	v_add_co_ci_u32_e64 v62, null, 0, v30, s2
	;; [unrolled: 2-line block ×4, first 2 shown]
	v_mad_u64_u32 v[4:5], null, 0x90, v10, v[2:3]
	v_add_co_u32 v63, s2, v6, 16
	v_add_co_ci_u32_e64 v64, null, 0, v7, s2
	v_add_co_u32 v6, s2, s4, v8
	v_add_co_ci_u32_e64 v7, null, s5, v27, s2
	v_add_co_u32 v8, s2, v4, v13
	v_add_co_ci_u32_e64 v10, null, 0, v5, s2
	v_mad_u64_u32 v[4:5], null, 0x90, v12, v[2:3]
	v_add_co_u32 v65, s2, v6, 16
	v_add_co_ci_u32_e64 v66, null, 0, v7, s2
	v_add_co_u32 v6, s2, s4, v8
	v_add_co_ci_u32_e64 v7, null, s5, v10, s2
	v_add_co_u32 v8, s2, v4, v13
	v_add_co_ci_u32_e64 v10, null, 0, v5, s2
	;; [unrolled: 7-line block ×11, first 2 shown]
	v_mad_u64_u32 v[4:5], null, 0x90, v29, v[2:3]
	v_add_co_u32 v85, s2, v6, 16
	s_mul_i32 s21, s17, 0x78
	v_add_co_ci_u32_e64 v86, null, 0, v7, s2
	v_add_co_u32 v6, s2, s4, v8
	v_lshlrev_b32_e32 v51, 4, v1
	v_mad_i32_i24 v1, s17, v1, s21
	v_add_co_ci_u32_e64 v7, null, s5, v10, s2
	v_add_co_u32 v4, s2, v4, v13
	v_add_co_ci_u32_e64 v5, null, 0, v5, s2
	v_mad_u64_u32 v[1:2], null, 0x90, v1, v[2:3]
	v_add_co_u32 v4, s2, s4, v4
	v_add_co_ci_u32_e64 v5, null, s5, v5, s2
	v_add_co_u32 v87, s2, v6, 16
	v_add_co_ci_u32_e64 v88, null, 0, v7, s2
	;; [unrolled: 2-line block ×4, first 2 shown]
	v_mad_u64_u32 v[1:2], null, 0x90, v17, 0
	v_add_co_u32 v3, s2, s4, v3
	v_add_co_ci_u32_e64 v4, null, s5, v4, s2
	v_cndmask_b32_e64 v5, 0, 1, s1
	v_add_co_u32 v91, s1, v3, 16
	v_add_co_ci_u32_e64 v92, null, 0, v4, s1
	v_mad_u64_u32 v[3:4], null, 0x90, v16, 0
	v_add_co_u32 v1, s1, s14, v1
	v_lshlrev_b32_e32 v5, 2, v5
	v_lshlrev_b32_e32 v7, 2, v9
	v_add_co_ci_u32_e64 v2, null, s15, v2, s1
	v_add_co_u32 v3, s1, s14, v3
	v_or_b32_e32 v6, v1, v5
	v_add_co_ci_u32_e64 v4, null, s15, v4, s1
	v_add_co_u32 v1, s1, v1, v7
	v_add_co_ci_u32_e64 v8, null, 0, v2, s1
	v_add_co_u32 v6, s1, s4, v6
	;; [unrolled: 2-line block ×5, first 2 shown]
	v_or_b32_e32 v1, v3, v5
	v_cmp_gt_u32_e32 vcc_lo, 4, v0
	v_cmp_gt_i32_e64 s0, s8, v31
	v_add_co_ci_u32_e64 v96, null, 0, v8, s1
	v_add_co_u32 v2, s1, v3, v7
	v_add_co_ci_u32_e64 v3, null, 0, v4, s1
	v_add_co_u32 v1, s1, s4, v1
	v_mul_lo_u32 v60, v31, s9
	s_ashr_i32 s19, s18, 31
	s_and_b32 s20, vcc_lo, s0
	v_add_co_ci_u32_e64 v4, null, s5, v4, s1
	v_add_co_u32 v2, s1, s4, v2
	s_add_u32 s22, s4, s14
	s_addc_u32 s23, s5, s15
	v_add_co_ci_u32_e64 v3, null, s5, v3, s1
	v_mul_u32_u24_e32 v107, 0x84, v0
	v_add_co_u32 v97, s1, v1, 4
	v_mad_u64_u32 v[24:25], null, 0x90, v25, s[22:23]
	v_add_co_ci_u32_e64 v98, null, 0, v4, s1
	v_add_co_u32 v99, s1, v2, 4
	v_mov_b32_e32 v118, 0
	v_add_nc_u32_e32 v34, 0x840, v33
	v_add_nc_u32_e32 v35, 0xc60, v33
	;; [unrolled: 1-line block ×8, first 2 shown]
	v_add_co_ci_u32_e64 v100, null, 0, v3, s1
	v_add_nc_u32_e32 v101, v19, v51
	v_add_nc_u32_e32 v102, 0x2940, v33
	;; [unrolled: 1-line block ×7, first 2 shown]
	v_ashrrev_i32_e32 v109, 31, v60
	v_add_nc_u32_e32 v110, 0x1080, v107
	v_add_nc_u32_e32 v111, 0x1088, v107
	v_add_nc_u32_e32 v112, 0x1090, v107
	v_add_nc_u32_e32 v113, 0x1098, v107
	v_add_nc_u32_e32 v114, 0x2100, v107
	v_add_nc_u32_e32 v115, 0x2108, v107
	v_add_nc_u32_e32 v116, 0x2110, v107
	v_mov_b32_e32 v117, v0
	v_mov_b32_e32 v120, 0
	;; [unrolled: 1-line block ×4, first 2 shown]
	s_movk_i32 s2, 0x80
	s_branch .LBB211_6
.LBB211_4:                              ;   in Loop: Header=BB211_6 Depth=1
	s_or_b32 exec_lo, exec_lo, s4
	s_waitcnt lgkmcnt(0)
	s_barrier
	buffer_gl0_inv
	ds_read2_b32 v[28:29], v107 offset0:16 offset1:17
	ds_read_b128 v[17:20], v47
	ds_read_b128 v[9:12], v47 offset:16
	ds_read2_b32 v[30:31], v107 offset0:18 offset1:19
	ds_read_b128 v[13:16], v47 offset:32
	ds_read_b128 v[5:8], v47 offset:48
	ds_read_b32 v121, v53
	v_mov_b32_e32 v127, 0
	ds_read2_b32 v[124:125], v107 offset0:20 offset1:21
	ds_read2_b32 v[26:27], v52 offset0:1 offset1:3
	v_add_nc_u32_e32 v122, 0x10c0, v107
	v_mov_b32_e32 v128, 0
	ds_read_b128 v[1:4], v51 offset:20560
	ds_read2_b32 v[130:131], v107 offset0:22 offset1:23
	ds_read2_b32 v[132:133], v107 offset0:24 offset1:25
	v_add_nc_u32_e32 v123, 0x10c8, v107
	v_mov_b32_e32 v129, 0
	v_add_nc_u32_e32 v126, 0x10d0, v107
	v_add_nc_u32_e32 v138, 0x2140, v107
	v_mov_b32_e32 v151, 0
	v_mov_b32_e32 v153, 0
	v_add_nc_u32_e32 v148, 0x31c0, v107
	s_waitcnt lgkmcnt(11)
	v_and_b32_e32 v134, 0xf0f0f0f, v28
	v_and_b32_e32 v136, 0xf0f0f0f, v29
	v_lshrrev_b32_e32 v28, 4, v28
	v_lshrrev_b32_e32 v29, 4, v29
	v_mov_b32_e32 v155, 0
	s_waitcnt lgkmcnt(10)
	v_dot4c_i32_i8 v127, v134, v17
	ds_read2_b32 v[134:135], v122 offset1:1
	s_waitcnt lgkmcnt(9)
	v_and_b32_e32 v122, 0xf0f0f0f, v30
	v_and_b32_e32 v28, 0xf0f0f0f, v28
	v_lshrrev_b32_e32 v30, 4, v30
	v_dot4c_i32_i8 v127, v136, v18
	v_and_b32_e32 v136, 0xf0f0f0f, v31
	v_and_b32_e32 v29, 0xf0f0f0f, v29
	s_waitcnt lgkmcnt(8)
	v_dot4c_i32_i8 v128, v28, v13
	s_waitcnt lgkmcnt(5)
	v_and_b32_e32 v28, 0xf0f0f0f, v124
	v_dot4c_i32_i8 v127, v122, v19
	v_lshrrev_b32_e32 v31, 4, v31
	v_and_b32_e32 v30, 0xf0f0f0f, v30
	v_dot4c_i32_i8 v128, v29, v14
	v_and_b32_e32 v122, 0xf0f0f0f, v125
	v_dot4c_i32_i8 v127, v136, v20
	v_and_b32_e32 v31, 0xf0f0f0f, v31
	v_lshrrev_b32_e32 v124, 4, v124
	v_dot4c_i32_i8 v128, v30, v15
	s_waitcnt lgkmcnt(2)
	v_and_b32_e32 v30, 0xf0f0f0f, v130
	v_dot4c_i32_i8 v127, v28, v9
	ds_read2_b32 v[28:29], v123 offset1:1
	v_and_b32_e32 v136, 0xf0f0f0f, v124
	v_dot4c_i32_i8 v128, v31, v16
	s_waitcnt lgkmcnt(1)
	v_and_b32_e32 v31, 0xf0f0f0f, v134
	v_dot4c_i32_i8 v127, v122, v10
	ds_read_b32 v122, v55 offset:128
	ds_read_b32 v123, v57 offset:256
	;; [unrolled: 1-line block ×3, first 2 shown]
	v_lshrrev_b32_e32 v125, 4, v125
	v_dot4c_i32_i8 v128, v136, v5
	v_dot4c_i32_i8 v129, v31, v17
	;; [unrolled: 1-line block ×3, first 2 shown]
	ds_read2_b32 v[30:31], v126 offset1:1
	v_and_b32_e32 v136, 0xf0f0f0f, v135
	v_add_nc_u32_e32 v126, 0x10d8, v107
	v_and_b32_e32 v125, 0xf0f0f0f, v125
	v_lshrrev_b32_e32 v130, 4, v130
	v_and_b32_e32 v140, 0xf0f0f0f, v131
	v_dot4c_i32_i8 v129, v136, v18
	ds_read2_b32 v[136:137], v126 offset1:1
	ds_read2_b32 v[138:139], v138 offset1:1
	v_dot4c_i32_i8 v128, v125, v6
	v_and_b32_e32 v125, 0xf0f0f0f, v130
	s_waitcnt lgkmcnt(6)
	v_and_b32_e32 v126, 0xf0f0f0f, v28
	v_lshrrev_b32_e32 v130, 4, v131
	v_lshrrev_b32_e32 v131, 4, v134
	;; [unrolled: 1-line block ×3, first 2 shown]
	v_dot4c_i32_i8 v128, v125, v7
	v_dot4c_i32_i8 v129, v126, v19
	v_and_b32_e32 v126, 0xf0f0f0f, v29
	v_and_b32_e32 v125, 0xf0f0f0f, v130
	;; [unrolled: 1-line block ×3, first 2 shown]
	v_lshrrev_b32_e32 v131, 4, v135
	v_and_b32_e32 v28, 0xf0f0f0f, v28
	v_dot4c_i32_i8 v129, v126, v20
	s_waitcnt lgkmcnt(2)
	v_and_b32_e32 v126, 0xf0f0f0f, v30
	v_dot4c_i32_i8 v128, v125, v8
	v_and_b32_e32 v125, 0xf0f0f0f, v31
	v_dot4c_i32_i8 v151, v130, v13
	s_waitcnt lgkmcnt(1)
	v_and_b32_e32 v142, 0xf0f0f0f, v136
	v_dot4c_i32_i8 v129, v126, v9
	v_and_b32_e32 v126, 0xf0f0f0f, v131
	v_lshrrev_b32_e32 v29, 4, v29
	v_lshrrev_b32_e32 v30, 4, v30
	v_dot4c_i32_i8 v127, v140, v12
	v_dot4c_i32_i8 v129, v125, v10
	;; [unrolled: 1-line block ×3, first 2 shown]
	v_and_b32_e32 v126, 0xf0f0f0f, v29
	ds_read2_b32 v[130:131], v107 offset0:26 offset1:27
	ds_read2_b32 v[134:135], v107 offset0:28 offset1:29
	;; [unrolled: 1-line block ×3, first 2 shown]
	v_and_b32_e32 v30, 0xf0f0f0f, v30
	v_dot4c_i32_i8 v129, v142, v11
	v_dot4c_i32_i8 v151, v28, v15
	v_add_nc_u32_e32 v142, 0x2148, v107
	v_and_b32_e32 v144, 0xf0f0f0f, v137
	v_lshrrev_b32_e32 v31, 4, v31
	ds_read2_b32 v[28:29], v54 offset0:1 offset1:3
	v_dot4c_i32_i8 v151, v126, v16
	ds_read2_b32 v[142:143], v142 offset1:1
	v_dot4c_i32_i8 v129, v144, v12
	s_waitcnt lgkmcnt(5)
	v_and_b32_e32 v126, 0xf0f0f0f, v138
	v_and_b32_e32 v31, 0xf0f0f0f, v31
	v_dot4c_i32_i8 v151, v30, v5
	v_add_nc_u32_e32 v30, 0x2150, v107
	v_lshrrev_b32_e32 v136, 4, v136
	v_dot4c_i32_i8 v153, v126, v17
	v_and_b32_e32 v126, 0xf0f0f0f, v139
	v_dot4c_i32_i8 v151, v31, v6
	ds_read2_b32 v[144:145], v30 offset1:1
	v_add_nc_u32_e32 v30, 0x2158, v107
	ds_read2_b32 v[146:147], v30 offset1:1
	ds_read2_b32 v[148:149], v148 offset1:1
	v_dot4c_i32_i8 v153, v126, v18
	v_lshrrev_b32_e32 v126, 4, v138
	v_and_b32_e32 v31, 0xf0f0f0f, v136
	s_waitcnt lgkmcnt(3)
	v_and_b32_e32 v30, 0xf0f0f0f, v142
	v_lshrrev_b32_e32 v136, 4, v139
	v_add_nc_u32_e32 v139, 0x31c8, v107
	v_and_b32_e32 v126, 0xf0f0f0f, v126
	v_dot4c_i32_i8 v151, v31, v7
	v_dot4c_i32_i8 v153, v30, v19
	v_and_b32_e32 v30, 0xf0f0f0f, v143
	v_lshrrev_b32_e32 v31, 4, v137
	v_dot4c_i32_i8 v155, v126, v13
	v_and_b32_e32 v126, 0xf0f0f0f, v136
	v_lshrrev_b32_e32 v136, 4, v142
	v_dot4c_i32_i8 v153, v30, v20
	s_waitcnt lgkmcnt(2)
	v_and_b32_e32 v30, 0xf0f0f0f, v144
	v_lshrrev_b32_e32 v137, 4, v143
	v_dot4c_i32_i8 v155, v126, v14
	v_and_b32_e32 v136, 0xf0f0f0f, v136
	v_and_b32_e32 v138, 0xf0f0f0f, v145
	v_dot4c_i32_i8 v153, v30, v9
	v_lshrrev_b32_e32 v143, 4, v145
	v_and_b32_e32 v31, 0xf0f0f0f, v31
	v_dot4c_i32_i8 v155, v136, v15
	v_and_b32_e32 v136, 0xf0f0f0f, v137
	v_lshrrev_b32_e32 v137, 4, v144
	v_dot4c_i32_i8 v153, v138, v10
	s_waitcnt lgkmcnt(1)
	v_and_b32_e32 v138, 0xf0f0f0f, v146
	v_mov_b32_e32 v144, 0
	v_dot4c_i32_i8 v155, v136, v16
	v_and_b32_e32 v142, 0xf0f0f0f, v137
	ds_read2_b32 v[136:137], v139 offset1:1
	v_dot4c_i32_i8 v153, v138, v11
	v_and_b32_e32 v138, 0xf0f0f0f, v147
	v_and_b32_e32 v139, 0xf0f0f0f, v143
	v_dot4c_i32_i8 v155, v142, v5
	s_waitcnt lgkmcnt(1)
	v_and_b32_e32 v142, 0xf0f0f0f, v148
	v_lshrrev_b32_e32 v148, 4, v148
	v_dot4c_i32_i8 v153, v138, v12
	v_add_nc_u32_e32 v138, 0x31d0, v107
	v_dot4c_i32_i8 v155, v139, v6
	v_dot4c_i32_i8 v144, v142, v17
	v_and_b32_e32 v17, 0xf0f0f0f, v149
	v_add_nc_u32_e32 v142, 0x31d8, v107
	ds_read2_b32 v[138:139], v138 offset1:1
	v_add_nc_u32_e32 v143, 0x10e0, v107
	v_and_b32_e32 v148, 0xf0f0f0f, v148
	v_dot4c_i32_i8 v144, v17, v18
	v_mov_b32_e32 v158, 0
	v_lshrrev_b32_e32 v149, 4, v149
	v_dot4c_i32_i8 v151, v31, v8
	s_waitcnt lgkmcnt(1)
	v_and_b32_e32 v157, 0xf0f0f0f, v136
	ds_read2_b32 v[30:31], v56 offset0:1 offset1:3
	ds_read2_b32 v[17:18], v142 offset1:1
	ds_read2_b32 v[142:143], v143 offset1:1
	v_dot4c_i32_i8 v158, v148, v13
	v_and_b32_e32 v13, 0xf0f0f0f, v149
	v_dot4c_i32_i8 v144, v157, v19
	v_and_b32_e32 v19, 0xf0f0f0f, v137
	v_lshrrev_b32_e32 v136, 4, v136
	v_lshrrev_b32_e32 v146, 4, v146
	v_dot4c_i32_i8 v158, v13, v14
	v_lshrrev_b32_e32 v14, 4, v137
	v_dot4c_i32_i8 v144, v19, v20
	v_and_b32_e32 v13, 0xf0f0f0f, v136
	s_waitcnt lgkmcnt(3)
	v_and_b32_e32 v19, 0xf0f0f0f, v138
	v_cvt_f32_ubyte0_e32 v150, v27
	v_and_b32_e32 v146, 0xf0f0f0f, v146
	v_cvt_f32_ubyte1_e32 v152, v27
	v_dot4c_i32_i8 v158, v13, v15
	v_dot4c_i32_i8 v144, v19, v9
	v_and_b32_e32 v9, 0xf0f0f0f, v139
	v_and_b32_e32 v13, 0xf0f0f0f, v14
	v_lshrrev_b32_e32 v14, 4, v138
	v_dot4c_i32_i8 v155, v146, v7
	v_cvt_f32_f16_sdwa v125, v121 dst_sel:DWORD dst_unused:UNUSED_PAD src0_sel:WORD_1
	v_dot4c_i32_i8 v144, v9, v10
	v_dot4c_i32_i8 v158, v13, v16
	v_and_b32_e32 v10, 0xf0f0f0f, v14
	v_lshrrev_b32_e32 v13, 4, v139
	s_waitcnt lgkmcnt(1)
	v_and_b32_e32 v9, 0xf0f0f0f, v17
	v_lshrrev_b32_e32 v20, 4, v147
	ds_read2_b32 v[136:137], v58 offset0:1 offset1:3
	v_dot4c_i32_i8 v158, v10, v5
	v_and_b32_e32 v5, 0xff, v26
	v_and_b32_e32 v10, 0xf0f0f0f, v13
	v_bfe_u32 v13, v26, 8, 8
	v_dot4c_i32_i8 v144, v9, v11
	v_lshrrev_b32_e32 v11, 4, v17
	v_mul_lo_u32 v5, v127, v5
	v_dot4c_i32_i8 v158, v10, v6
	v_mul_lo_u32 v10, v128, v13
	v_and_b32_e32 v9, 0xf0f0f0f, v18
	v_and_b32_e32 v6, 0xf0f0f0f, v11
	;; [unrolled: 1-line block ×3, first 2 shown]
	v_cvt_f32_ubyte0_e32 v154, v29
	v_cvt_f32_ubyte1_e32 v156, v29
	v_cvt_f32_i32_e32 v5, v5
	v_dot4c_i32_i8 v158, v6, v7
	v_fma_mix_f32 v6, v1, v150, 0 op_sel:[1,0,0] op_sel_hi:[1,0,0]
	v_lshrrev_b32_e32 v7, 4, v18
	v_dot4c_i32_i8 v144, v9, v12
	v_cvt_f32_i32_e32 v9, v10
	v_and_b32_e32 v10, 0xff, v28
	v_fma_mix_f32 v5, v1, v5, 0 op_sel_hi:[1,0,0]
	v_fma_mix_f32 v6, v2, v152, v6 op_sel:[1,0,0] op_sel_hi:[1,0,0]
	v_and_b32_e32 v7, 0xf0f0f0f, v7
	v_bfe_u32 v12, v28, 8, 8
	v_mul_lo_u32 v10, v129, v10
	v_fma_mix_f32 v5, v2, v9, v5 op_sel_hi:[1,0,0]
	v_mul_f32_e32 v6, v6, v125
	v_dot4c_i32_i8 v158, v7, v8
	v_and_b32_e32 v7, 0xff, v30
	v_mul_lo_u32 v9, v151, v12
	v_dot4c_i32_i8 v155, v15, v8
	v_fma_mix_f32 v5, v5, v121, -v6 op_sel_hi:[0,1,0]
	v_cvt_f32_i32_e32 v6, v10
	v_bfe_u32 v10, v30, 8, 8
	v_mul_lo_u32 v7, v153, v7
	v_fma_mix_f32 v8, v1, v154, 0 op_sel:[1,0,0] op_sel_hi:[1,0,0]
	v_cvt_f32_ubyte0_e32 v145, v31
	v_cvt_f32_f16_sdwa v126, v122 dst_sel:DWORD dst_unused:UNUSED_PAD src0_sel:WORD_1
	v_mul_lo_u32 v10, v155, v10
	v_cvt_f32_i32_e32 v9, v9
	v_fma_mix_f32 v6, v1, v6, 0 op_sel_hi:[1,0,0]
	v_fma_mix_f32 v8, v2, v156, v8 op_sel:[1,0,0] op_sel_hi:[1,0,0]
	v_cvt_f32_ubyte1_e32 v11, v31
	v_cvt_f32_i32_e32 v12, v7
	v_fma_mix_f32 v13, v1, v145, 0 op_sel:[1,0,0] op_sel_hi:[1,0,0]
	v_add_f32_e32 v146, v118, v5
	v_fma_mix_f32 v9, v2, v9, v6 op_sel_hi:[1,0,0]
	v_mul_f32_e32 v14, v8, v126
	ds_read_b128 v[5:8], v47 offset:64
	v_cvt_f32_i32_e32 v10, v10
	v_fma_mix_f32 v12, v1, v12, 0 op_sel_hi:[1,0,0]
	v_fma_mix_f32 v11, v2, v11, v13 op_sel:[1,0,0] op_sel_hi:[1,0,0]
	s_waitcnt lgkmcnt(1)
	v_and_b32_e32 v13, 0xff, v136
	v_cvt_f32_f16_sdwa v138, v123 dst_sel:DWORD dst_unused:UNUSED_PAD src0_sel:WORD_1
	v_fma_mix_f32 v9, v9, v122, -v14 op_sel_hi:[0,1,0]
	v_fma_mix_f32 v10, v2, v10, v12 op_sel_hi:[1,0,0]
	v_and_b32_e32 v19, 0xf0f0f0f, v132
	v_mul_lo_u32 v12, v144, v13
	v_mul_f32_e32 v11, v11, v138
	v_add_f32_e32 v120, v120, v9
	v_bfe_u32 v9, v136, 8, 8
	v_mov_b32_e32 v147, 0
	v_cvt_f32_ubyte0_e32 v17, v137
	v_fma_mix_f32 v18, v10, v123, -v11 op_sel_hi:[0,1,0]
	v_and_b32_e32 v127, 0xf0f0f0f, v131
	v_mul_lo_u32 v20, v158, v9
	v_cvt_f32_i32_e32 v118, v12
	ds_read_b128 v[9:12], v47 offset:80
	ds_read_b128 v[13:16], v47 offset:96
	s_waitcnt lgkmcnt(2)
	v_dot4c_i32_i8 v147, v19, v5
	v_and_b32_e32 v19, 0xf0f0f0f, v133
	v_add_f32_e32 v148, v119, v18
	v_mov_b32_e32 v150, 0
	v_lshrrev_b32_e32 v129, 4, v133
	v_cvt_f32_i32_e32 v18, v20
	v_fma_mix_f32 v20, v1, v118, 0 op_sel_hi:[1,0,0]
	v_dot4c_i32_i8 v147, v19, v6
	v_and_b32_e32 v19, 0xf0f0f0f, v130
	v_fma_mix_f32 v1, v1, v17, 0 op_sel:[1,0,0] op_sel_hi:[1,0,0]
	v_lshrrev_b32_e32 v17, 4, v132
	v_cvt_f32_ubyte1_e32 v119, v137
	v_fma_mix_f32 v118, v2, v18, v20 op_sel_hi:[1,0,0]
	v_dot4c_i32_i8 v147, v19, v7
	v_cvt_f32_f16_sdwa v151, v124 dst_sel:DWORD dst_unused:UNUSED_PAD src0_sel:WORD_1
	v_and_b32_e32 v128, 0xf0f0f0f, v17
	ds_read_b128 v[17:20], v47 offset:112
	v_fma_mix_f32 v1, v2, v119, v1 op_sel:[1,0,0] op_sel_hi:[1,0,0]
	v_dot4c_i32_i8 v147, v127, v8
	v_and_b32_e32 v127, 0xf0f0f0f, v134
	s_waitcnt lgkmcnt(1)
	v_dot4c_i32_i8 v150, v128, v13
	v_and_b32_e32 v128, 0xf0f0f0f, v129
	v_lshrrev_b32_e32 v129, 4, v130
	v_and_b32_e32 v2, 0xf0f0f0f, v135
	v_dot4c_i32_i8 v147, v127, v9
	v_lshrrev_b32_e32 v127, 4, v131
	v_dot4c_i32_i8 v150, v128, v14
	v_and_b32_e32 v119, 0xf0f0f0f, v129
	v_mul_f32_e32 v1, v1, v151
	v_dot4c_i32_i8 v147, v2, v10
	v_and_b32_e32 v2, 0xf0f0f0f, v140
	v_lshrrev_b32_e32 v128, 4, v135
	v_dot4c_i32_i8 v150, v119, v15
	v_and_b32_e32 v119, 0xf0f0f0f, v127
	v_lshrrev_b32_e32 v127, 4, v134
	v_dot4c_i32_i8 v147, v2, v11
	v_and_b32_e32 v2, 0xf0f0f0f, v141
	v_fma_mix_f32 v135, v118, v124, -v1 op_sel_hi:[0,1,0]
	v_dot4c_i32_i8 v150, v119, v16
	v_add_nc_u32_e32 v119, 0x10e8, v107
	v_and_b32_e32 v127, 0xf0f0f0f, v127
	v_dot4c_i32_i8 v147, v2, v12
	v_and_b32_e32 v118, 0xf0f0f0f, v128
	v_add_nc_u32_e32 v128, 0x10f0, v107
	ds_read2_b32 v[1:2], v119 offset1:1
	s_waitcnt lgkmcnt(1)
	v_dot4c_i32_i8 v150, v127, v17
	v_lshrrev_b32_e32 v119, 4, v140
	v_and_b32_e32 v127, 0xf0f0f0f, v142
	v_mov_b32_e32 v140, 0
	v_lshrrev_b32_e32 v131, 4, v142
	v_dot4c_i32_i8 v150, v118, v18
	v_and_b32_e32 v129, 0xf0f0f0f, v119
	ds_read2_b32 v[118:119], v128 offset1:1
	v_dot4c_i32_i8 v140, v127, v5
	v_and_b32_e32 v127, 0xf0f0f0f, v143
	v_add_nc_u32_e32 v128, 0x10f8, v107
	v_lshrrev_b32_e32 v133, 4, v141
	v_and_b32_e32 v131, 0xf0f0f0f, v131
	v_mov_b32_e32 v141, 0
	v_dot4c_i32_i8 v140, v127, v6
	v_lshrrev_b32_e32 v134, 4, v143
	v_add_nc_u32_e32 v130, 0x2160, v107
	v_dot4c_i32_i8 v150, v129, v19
	ds_read2_b32 v[127:128], v128 offset1:1
	ds_read2_b32 v[129:130], v130 offset1:1
	s_waitcnt lgkmcnt(3)
	v_and_b32_e32 v132, 0xf0f0f0f, v1
	v_dot4c_i32_i8 v141, v131, v13
	v_and_b32_e32 v131, 0xf0f0f0f, v134
	v_lshrrev_b32_e32 v1, 4, v1
	v_and_b32_e32 v133, 0xf0f0f0f, v133
	v_dot4c_i32_i8 v140, v132, v7
	v_and_b32_e32 v132, 0xf0f0f0f, v2
	v_dot4c_i32_i8 v141, v131, v14
	v_and_b32_e32 v1, 0xf0f0f0f, v1
	v_lshrrev_b32_e32 v2, 4, v2
	v_dot4c_i32_i8 v150, v133, v20
	v_dot4c_i32_i8 v140, v132, v8
	s_waitcnt lgkmcnt(2)
	v_and_b32_e32 v132, 0xf0f0f0f, v118
	v_dot4c_i32_i8 v141, v1, v15
	v_and_b32_e32 v133, 0xf0f0f0f, v2
	v_lshrrev_b32_e32 v118, 4, v118
	v_and_b32_e32 v131, 0xf0f0f0f, v119
	v_dot4c_i32_i8 v140, v132, v9
	v_add_nc_u32_e32 v132, 0x2168, v107
	v_dot4c_i32_i8 v141, v133, v16
	v_and_b32_e32 v118, 0xf0f0f0f, v118
	v_mov_b32_e32 v142, 0
	v_dot4c_i32_i8 v140, v131, v10
	ds_read2_b32 v[1:2], v132 offset1:1
	v_add_nc_u32_e32 v132, 0x2170, v107
	s_waitcnt lgkmcnt(1)
	v_and_b32_e32 v131, 0xf0f0f0f, v129
	v_dot4c_i32_i8 v141, v118, v17
	v_lshrrev_b32_e32 v133, 4, v119
	v_add_nc_u32_e32 v134, 0x31e0, v107
	ds_read2_b32 v[118:119], v132 offset1:1
	v_dot4c_i32_i8 v142, v131, v5
	v_and_b32_e32 v131, 0xf0f0f0f, v130
	v_add_nc_u32_e32 v132, 0x2178, v107
	v_and_b32_e32 v143, 0xf0f0f0f, v127
	v_and_b32_e32 v153, 0xf0f0f0f, v133
	v_lshrrev_b32_e32 v127, 4, v127
	v_dot4c_i32_i8 v142, v131, v6
	ds_read2_b32 v[131:132], v132 offset1:1
	ds_read2_b32 v[133:134], v134 offset1:1
	v_lshrrev_b32_e32 v129, 4, v129
	v_dot4c_i32_i8 v141, v153, v18
	v_and_b32_e32 v127, 0xf0f0f0f, v127
	v_dot4c_i32_i8 v140, v143, v11
	v_and_b32_e32 v143, 0xf0f0f0f, v128
	s_waitcnt lgkmcnt(3)
	v_and_b32_e32 v154, 0xf0f0f0f, v1
	v_and_b32_e32 v153, 0xf0f0f0f, v2
	v_dot4c_i32_i8 v141, v127, v19
	v_lshrrev_b32_e32 v128, 4, v128
	v_and_b32_e32 v129, 0xf0f0f0f, v129
	v_dot4c_i32_i8 v142, v154, v7
	s_waitcnt lgkmcnt(2)
	v_and_b32_e32 v127, 0xf0f0f0f, v118
	v_lshrrev_b32_e32 v130, 4, v130
	v_and_b32_e32 v128, 0xf0f0f0f, v128
	v_lshrrev_b32_e32 v1, 4, v1
	v_dot4c_i32_i8 v142, v153, v8
	v_mov_b32_e32 v153, 0
	v_lshrrev_b32_e32 v2, 4, v2
	v_dot4c_i32_i8 v141, v128, v20
	v_and_b32_e32 v1, 0xf0f0f0f, v1
	v_dot4c_i32_i8 v142, v127, v9
	v_and_b32_e32 v127, 0xf0f0f0f, v119
	;; [unrolled: 2-line block ×3, first 2 shown]
	v_add_nc_u32_e32 v128, 0x31e8, v107
	v_lshrrev_b32_e32 v118, 4, v118
	v_dot4c_i32_i8 v142, v127, v10
	s_waitcnt lgkmcnt(1)
	v_and_b32_e32 v127, 0xf0f0f0f, v131
	v_dot4c_i32_i8 v153, v129, v14
	v_and_b32_e32 v129, 0xf0f0f0f, v2
	v_and_b32_e32 v118, 0xf0f0f0f, v118
	v_lshrrev_b32_e32 v119, 4, v119
	v_dot4c_i32_i8 v142, v127, v11
	v_and_b32_e32 v127, 0xf0f0f0f, v132
	v_dot4c_i32_i8 v153, v1, v15
	ds_read2_b32 v[1:2], v128 offset1:1
	v_mov_b32_e32 v128, 0
	v_and_b32_e32 v130, 0xf0f0f0f, v119
	v_dot4c_i32_i8 v142, v127, v12
	v_dot4c_i32_i8 v153, v129, v16
	s_waitcnt lgkmcnt(1)
	v_and_b32_e32 v127, 0xf0f0f0f, v133
	v_add_nc_u32_e32 v129, 0x31f0, v107
	v_lshrrev_b32_e32 v131, 4, v131
	v_lshrrev_b32_e32 v139, 24, v26
	v_dot4c_i32_i8 v153, v118, v17
	v_dot4c_i32_i8 v128, v127, v5
	ds_read2_b32 v[118:119], v129 offset1:1
	v_and_b32_e32 v5, 0xf0f0f0f, v134
	v_add_nc_u32_e32 v127, 0x31f8, v107
	v_dot4c_i32_i8 v153, v130, v18
	v_and_b32_e32 v130, 0xf0f0f0f, v131
	v_mov_b32_e32 v131, 0
	v_dot4c_i32_i8 v128, v5, v6
	ds_read2_b32 v[5:6], v127 offset1:1
	v_lshrrev_b32_e32 v129, 4, v133
	s_waitcnt lgkmcnt(2)
	v_and_b32_e32 v127, 0xf0f0f0f, v1
	v_lshrrev_b32_e32 v133, 4, v134
	v_lshrrev_b32_e32 v1, 4, v1
	v_dot4c_i32_i8 v140, v143, v12
	v_and_b32_e32 v129, 0xf0f0f0f, v129
	v_dot4c_i32_i8 v128, v127, v7
	v_and_b32_e32 v7, 0xf0f0f0f, v2
	v_and_b32_e32 v1, 0xf0f0f0f, v1
	v_lshrrev_b32_e32 v2, 4, v2
	v_dot4c_i32_i8 v131, v129, v13
	v_and_b32_e32 v13, 0xf0f0f0f, v133
	v_dot4c_i32_i8 v128, v7, v8
	s_waitcnt lgkmcnt(1)
	v_and_b32_e32 v7, 0xf0f0f0f, v118
	v_lshrrev_b32_e32 v145, 24, v28
	v_lshrrev_b32_e32 v127, 4, v132
	v_dot4c_i32_i8 v131, v13, v14
	v_dot4c_i32_i8 v153, v130, v19
	;; [unrolled: 1-line block ×3, first 2 shown]
	v_and_b32_e32 v7, 0xf0f0f0f, v119
	v_and_b32_e32 v8, 0xf0f0f0f, v127
	v_dot4c_i32_i8 v131, v1, v15
	v_and_b32_e32 v1, 0xf0f0f0f, v2
	v_lshrrev_b32_e32 v2, 4, v118
	v_dot4c_i32_i8 v128, v7, v10
	s_waitcnt lgkmcnt(0)
	v_and_b32_e32 v7, 0xf0f0f0f, v5
	v_bfe_u32 v10, v26, 16, 8
	v_dot4c_i32_i8 v131, v1, v16
	v_and_b32_e32 v1, 0xf0f0f0f, v2
	v_lshrrev_b32_e32 v2, 4, v119
	v_dot4c_i32_i8 v128, v7, v11
	v_and_b32_e32 v7, 0xf0f0f0f, v6
	v_lshrrev_b32_e32 v6, 4, v6
	;; [unrolled: 3-line block ×3, first 2 shown]
	v_mul_lo_u32 v5, v147, v10
	v_dot4c_i32_i8 v128, v7, v12
	v_bfe_u32 v7, v28, 16, 8
	v_dot4c_i32_i8 v131, v1, v18
	v_mul_lo_u32 v1, v150, v139
	v_and_b32_e32 v2, 0xf0f0f0f, v2
	v_mul_lo_u32 v11, v141, v145
	v_bfe_u32 v12, v136, 16, 8
	v_cvt_f32_i32_e32 v5, v5
	v_cvt_f32_ubyte2_e32 v152, v27
	v_dot4c_i32_i8 v131, v2, v19
	v_and_b32_e32 v2, 0xf0f0f0f, v6
	v_mul_lo_u32 v6, v140, v7
	v_cvt_f32_i32_e32 v1, v1
	v_fma_mix_f32 v5, v3, v5, 0 op_sel_hi:[1,0,0]
	v_lshrrev_b32_e32 v144, 24, v30
	v_lshrrev_b32_e32 v149, 24, v136
	v_dot4c_i32_i8 v153, v8, v20
	v_dot4c_i32_i8 v131, v2, v20
	v_fma_mix_f32 v1, v4, v1, v5 op_sel_hi:[1,0,0]
	v_cvt_f32_i32_e32 v5, v6
	v_bfe_u32 v6, v30, 16, 8
	v_cvt_f32_i32_e32 v11, v11
	v_mul_lo_u32 v12, v128, v12
	v_cvt_f32_ubyte3_e32 v27, v27
	v_fma_mix_f32 v5, v3, v5, 0 op_sel_hi:[1,0,0]
	v_mul_lo_u32 v6, v142, v6
	v_cvt_f32_ubyte2_e32 v143, v29
	v_cvt_f32_ubyte2_e32 v9, v31
	v_fma_mix_f32 v7, v3, v152, 0 op_sel:[1,0,0] op_sel_hi:[1,0,0]
	v_cvt_f32_ubyte2_e32 v10, v137
	v_mul_lo_u32 v13, v153, v144
	v_fma_mix_f32 v5, v4, v11, v5 op_sel_hi:[1,0,0]
	v_mul_lo_u32 v11, v131, v149
	v_cvt_f32_ubyte3_e32 v29, v29
	v_cvt_f32_ubyte3_e32 v8, v31
	v_fma_mix_f32 v2, v4, v27, v7 op_sel:[1,0,0] op_sel_hi:[1,0,0]
	v_fma_mix_f32 v7, v3, v143, 0 op_sel:[1,0,0] op_sel_hi:[1,0,0]
	;; [unrolled: 1-line block ×3, first 2 shown]
	v_cvt_f32_i32_e32 v6, v6
	v_cvt_f32_i32_e32 v12, v12
	v_fma_mix_f32 v10, v3, v10, 0 op_sel:[1,0,0] op_sel_hi:[1,0,0]
	v_cvt_f32_ubyte3_e32 v14, v137
	v_fma_mix_f32 v7, v4, v29, v7 op_sel:[1,0,0] op_sel_hi:[1,0,0]
	v_cvt_f32_i32_e32 v13, v13
	v_fma_mix_f32 v6, v3, v6, 0 op_sel_hi:[1,0,0]
	v_fma_mix_f32 v8, v4, v8, v9 op_sel:[1,0,0] op_sel_hi:[1,0,0]
	v_cvt_f32_i32_e32 v9, v11
	v_fma_mix_f32 v3, v3, v12, 0 op_sel_hi:[1,0,0]
	v_fma_mix_f32 v10, v4, v14, v10 op_sel:[1,0,0] op_sel_hi:[1,0,0]
	v_mul_f32_e32 v2, v2, v125
	v_mul_f32_e32 v7, v7, v126
	v_fma_mix_f32 v6, v4, v13, v6 op_sel_hi:[1,0,0]
	v_mul_f32_e32 v8, v8, v138
	v_fma_mix_f32 v3, v4, v9, v3 op_sel_hi:[1,0,0]
	v_mul_f32_e32 v4, v10, v151
	v_add_f32_e32 v9, v23, v135
	v_fma_mix_f32 v1, v1, v121, -v2 op_sel_hi:[0,1,0]
	v_fma_mix_f32 v2, v5, v122, -v7 op_sel_hi:[0,1,0]
	;; [unrolled: 1-line block ×4, first 2 shown]
	v_add_f32_e32 v118, v146, v1
	v_add_f32_e32 v120, v120, v2
	;; [unrolled: 1-line block ×4, first 2 shown]
	s_barrier
	buffer_gl0_inv
.LBB211_5:                              ;   in Loop: Header=BB211_6 Depth=1
	v_add_co_u32 v61, s1, 0x90, v61
	v_add_co_ci_u32_e64 v62, null, 0, v62, s1
	v_add_co_u32 v63, s1, 0x90, v63
	v_add_co_ci_u32_e64 v64, null, 0, v64, s1
	;; [unrolled: 2-line block ×20, first 2 shown]
	v_add_co_u32 v99, s1, 0x90, v99
	v_add_nc_u32_e32 v50, 8, v50
	v_add_nc_u32_e32 v48, 8, v48
	;; [unrolled: 1-line block ×3, first 2 shown]
	v_add_co_ci_u32_e64 v100, null, 0, v100, s1
	s_add_i32 s17, s17, -1
	s_addk_i32 s2, 0x100
	s_cmp_eq_u32 s17, 0
	s_cbranch_scc1 .LBB211_17
.LBB211_6:                              ; =>This Inner Loop Header: Depth=1
	v_add_co_u32 v1, s1, v61, s18
	v_add_co_ci_u32_e64 v2, null, s19, v62, s1
	v_add_co_u32 v3, s1, v63, s18
	v_add_co_ci_u32_e64 v4, null, s19, v64, s1
	;; [unrolled: 2-line block ×4, first 2 shown]
	global_load_dword v11, v[1:2], off
	global_load_dword v12, v[3:4], off
	;; [unrolled: 1-line block ×4, first 2 shown]
	v_add_co_u32 v1, s1, v69, s18
	v_add_co_ci_u32_e64 v2, null, s19, v70, s1
	v_add_co_u32 v3, s1, v71, s18
	v_add_co_ci_u32_e64 v4, null, s19, v72, s1
	v_add_co_u32 v5, s1, v73, s18
	v_add_co_ci_u32_e64 v6, null, s19, v74, s1
	v_add_co_u32 v7, s1, v75, s18
	v_add_co_ci_u32_e64 v8, null, s19, v76, s1
	v_add_co_u32 v9, s1, v77, s18
	v_add_co_ci_u32_e64 v10, null, s19, v78, s1
	global_load_dword v15, v[1:2], off
	global_load_dword v16, v[3:4], off
	global_load_dword v17, v[5:6], off
	global_load_dword v18, v[7:8], off
	global_load_dword v19, v[9:10], off
	v_add_co_u32 v1, s1, v79, s18
	v_add_co_ci_u32_e64 v2, null, s19, v80, s1
	v_add_co_u32 v3, s1, v81, s18
	v_add_co_ci_u32_e64 v4, null, s19, v82, s1
	;; [unrolled: 2-line block ×5, first 2 shown]
	global_load_dword v20, v[1:2], off
	global_load_dword v26, v[3:4], off
	;; [unrolled: 1-line block ×5, first 2 shown]
	v_add_co_u32 v1, s1, v95, s18
	v_add_co_ci_u32_e64 v2, null, s19, v96, s1
	v_add_co_u32 v3, s1, v93, s18
	v_add_co_ci_u32_e64 v4, null, s19, v94, s1
	;; [unrolled: 2-line block ×4, first 2 shown]
	global_load_dword v30, v[1:2], off
	global_load_dword v31, v[3:4], off
	;; [unrolled: 1-line block ×4, first 2 shown]
	v_add_co_u32 v9, s1, v89, s18
	v_add_co_ci_u32_e64 v10, null, s19, v90, s1
	v_add_co_u32 v1, s1, v91, s18
	v_add_co_ci_u32_e64 v2, null, s19, v92, s1
	;; [unrolled: 2-line block ×3, first 2 shown]
	global_load_dword v7, v[9:10], off
	global_load_dword v1, v[1:2], off
	;; [unrolled: 1-line block ×3, first 2 shown]
	v_add_nc_u32_e32 v3, 0x420, v33
	s_add_i32 s1, s2, 0xffffff80
	s_waitcnt vmcnt(20)
	ds_write_b32 v33, v11
	s_waitcnt vmcnt(19)
	ds_write_b32 v3, v12
	;; [unrolled: 2-line block ×10, first 2 shown]
	s_cmp_lt_i32 s1, s3
	s_waitcnt vmcnt(10)
	ds_write_b32 v102, v26
	s_waitcnt vmcnt(9)
	ds_write_b32 v103, v27
	s_waitcnt vmcnt(8)
	ds_write_b32 v104, v28
	s_waitcnt vmcnt(7)
	ds_write_b32 v105, v29
	s_waitcnt vmcnt(6)
	v_ashrrev_i32_e32 v3, v42, v30
	s_waitcnt vmcnt(4)
	v_ashrrev_i32_e32 v4, v42, v5
	v_ashrrev_i32_e32 v5, v44, v31
	s_waitcnt vmcnt(3)
	v_ashrrev_i32_e32 v6, v44, v6
	v_and_b32_e32 v3, 0xf0f0f0f, v3
	v_and_b32_e32 v4, 0xf0f0f0f, v4
	v_and_or_b32 v3, 0x30303030, v5, v3
	v_and_or_b32 v4, 0x30303030, v6, v4
	s_waitcnt vmcnt(2)
	ds_write_b32 v106, v7
	s_waitcnt vmcnt(1)
	ds_write_b32 v108, v1
	;; [unrolled: 2-line block ×3, first 2 shown]
	ds_write_b32 v45, v3
	ds_write_b32 v46, v4
	s_cbranch_scc0 .LBB211_5
; %bb.7:                                ;   in Loop: Header=BB211_6 Depth=1
	v_cmp_gt_i32_e64 s1, s9, v48
	s_and_b32 s4, s0, s1
	s_and_saveexec_b32 s1, s4
	s_cbranch_execz .LBB211_9
; %bb.8:                                ;   in Loop: Header=BB211_6 Depth=1
	v_add_nc_u32_e32 v1, v60, v48
	v_mad_i64_i32 v[1:2], null, v1, 36, v[21:22]
	global_load_dword v1, v[1:2], off offset:4
	s_waitcnt vmcnt(0)
	ds_write_b32 v49, v1
.LBB211_9:                              ;   in Loop: Header=BB211_6 Depth=1
	s_or_b32 exec_lo, exec_lo, s1
	v_cmp_gt_i32_e64 s1, s9, v117
	s_and_b32 s4, s20, s1
	s_and_saveexec_b32 s1, s4
	s_cbranch_execz .LBB211_11
; %bb.10:                               ;   in Loop: Header=BB211_6 Depth=1
	v_add_nc_u32_e32 v1, v60, v117
	v_mad_i64_i32 v[1:2], null, v1, 36, s[6:7]
	global_load_dword v1, v[1:2], off
	s_waitcnt vmcnt(0)
	ds_write_b32 v101, v1
.LBB211_11:                             ;   in Loop: Header=BB211_6 Depth=1
	s_or_b32 exec_lo, exec_lo, s1
	s_waitcnt lgkmcnt(0)
	s_barrier
	buffer_gl0_inv
	ds_read2_b32 v[28:29], v107 offset1:1
	ds_read_b128 v[17:20], v47
	ds_read_b128 v[9:12], v47 offset:16
	ds_read_b128 v[13:16], v47 offset:32
	;; [unrolled: 1-line block ×3, first 2 shown]
	ds_read2_b32 v[30:31], v107 offset0:2 offset1:3
	ds_read_b32 v121, v53
	v_mov_b32_e32 v127, 0
	ds_read2_b32 v[125:126], v107 offset0:4 offset1:5
	ds_read2_b32 v[130:131], v107 offset0:6 offset1:7
	ds_read2_b32 v[26:27], v52 offset1:2
	ds_read2_b32 v[132:133], v111 offset1:1
	;; [unrolled: 1-line block ×3, first 2 shown]
	ds_read_b128 v[1:4], v51 offset:20560
	ds_read_b32 v122, v55 offset:128
	ds_read2_b32 v[136:137], v110 offset1:1
	ds_read_b32 v123, v57 offset:256
	ds_read_b32 v124, v59 offset:384
	v_mov_b32_e32 v128, 0
	v_mov_b32_e32 v129, 0
	;; [unrolled: 1-line block ×4, first 2 shown]
	v_add_nc_u32_e32 v145, 0x2118, v107
	v_add_nc_u32_e32 v146, 0x3180, v107
	v_mov_b32_e32 v153, 0
	v_mov_b32_e32 v155, 0
	;; [unrolled: 1-line block ×3, first 2 shown]
	s_waitcnt lgkmcnt(16)
	v_and_b32_e32 v138, 0xf0f0f0f, v28
	v_and_b32_e32 v140, 0xf0f0f0f, v29
	v_lshrrev_b32_e32 v28, 4, v28
	v_lshrrev_b32_e32 v29, 4, v29
	s_cmp_ge_i32 s2, s3
	s_waitcnt lgkmcnt(15)
	v_dot4c_i32_i8 v127, v138, v17
	s_waitcnt lgkmcnt(11)
	v_and_b32_e32 v141, 0xf0f0f0f, v30
	v_and_b32_e32 v28, 0xf0f0f0f, v28
	;; [unrolled: 1-line block ×3, first 2 shown]
	v_lshrrev_b32_e32 v30, 4, v30
	v_dot4c_i32_i8 v127, v140, v18
	v_and_b32_e32 v29, 0xf0f0f0f, v29
	v_dot4c_i32_i8 v128, v28, v13
	s_waitcnt lgkmcnt(9)
	v_and_b32_e32 v140, 0xf0f0f0f, v125
	v_lshrrev_b32_e32 v31, 4, v31
	v_dot4c_i32_i8 v127, v141, v19
	v_and_b32_e32 v30, 0xf0f0f0f, v30
	v_dot4c_i32_i8 v128, v29, v14
	v_and_b32_e32 v28, 0xf0f0f0f, v126
	v_lshrrev_b32_e32 v125, 4, v125
	v_dot4c_i32_i8 v127, v142, v20
	v_and_b32_e32 v31, 0xf0f0f0f, v31
	v_dot4c_i32_i8 v128, v30, v15
	v_lshrrev_b32_e32 v30, 4, v126
	s_waitcnt lgkmcnt(2)
	v_and_b32_e32 v126, 0xf0f0f0f, v136
	v_dot4c_i32_i8 v127, v140, v9
	v_and_b32_e32 v29, 0xf0f0f0f, v130
	v_dot4c_i32_i8 v128, v31, v16
	;; [unrolled: 2-line block ×3, first 2 shown]
	v_dot4c_i32_i8 v127, v28, v10
	v_and_b32_e32 v28, 0xf0f0f0f, v125
	v_lshrrev_b32_e32 v125, 4, v130
	v_and_b32_e32 v126, 0xf0f0f0f, v132
	v_dot4c_i32_i8 v129, v31, v18
	v_dot4c_i32_i8 v127, v29, v11
	v_and_b32_e32 v29, 0xf0f0f0f, v131
	v_dot4c_i32_i8 v128, v28, v5
	v_and_b32_e32 v28, 0xf0f0f0f, v30
	ds_read2_b32 v[138:139], v107 offset0:8 offset1:9
	ds_read2_b32 v[30:31], v113 offset1:1
	ds_read2_b32 v[140:141], v114 offset1:1
	v_dot4c_i32_i8 v127, v29, v12
	v_lshrrev_b32_e32 v29, 4, v131
	v_dot4c_i32_i8 v128, v28, v6
	v_and_b32_e32 v28, 0xf0f0f0f, v125
	v_dot4c_i32_i8 v129, v126, v19
	v_and_b32_e32 v125, 0xf0f0f0f, v133
	v_lshrrev_b32_e32 v126, 4, v136
	v_cvt_f32_ubyte0_e32 v148, v27
	v_dot4c_i32_i8 v128, v28, v7
	v_and_b32_e32 v28, 0xf0f0f0f, v29
	v_dot4c_i32_i8 v129, v125, v20
	v_and_b32_e32 v29, 0xf0f0f0f, v134
	v_and_b32_e32 v125, 0xf0f0f0f, v126
	v_lshrrev_b32_e32 v126, 4, v137
	v_dot4c_i32_i8 v128, v28, v8
	v_and_b32_e32 v28, 0xf0f0f0f, v135
	v_dot4c_i32_i8 v129, v29, v9
	v_dot4c_i32_i8 v149, v125, v13
	v_and_b32_e32 v29, 0xf0f0f0f, v126
	v_lshrrev_b32_e32 v125, 4, v132
	v_lshrrev_b32_e32 v126, 4, v133
	v_dot4c_i32_i8 v129, v28, v10
	s_waitcnt lgkmcnt(1)
	v_and_b32_e32 v28, 0xf0f0f0f, v30
	v_dot4c_i32_i8 v149, v29, v14
	v_and_b32_e32 v29, 0xf0f0f0f, v125
	ds_read2_b32 v[130:131], v107 offset0:10 offset1:11
	ds_read2_b32 v[132:133], v107 offset0:12 offset1:13
	;; [unrolled: 1-line block ×3, first 2 shown]
	v_and_b32_e32 v126, 0xf0f0f0f, v126
	v_dot4c_i32_i8 v129, v28, v11
	v_lshrrev_b32_e32 v134, 4, v134
	v_dot4c_i32_i8 v149, v29, v15
	ds_read2_b32 v[28:29], v54 offset1:2
	ds_read2_b32 v[142:143], v115 offset1:1
	v_and_b32_e32 v144, 0xf0f0f0f, v31
	v_lshrrev_b32_e32 v30, 4, v30
	v_cvt_f32_ubyte1_e32 v150, v27
	v_dot4c_i32_i8 v149, v126, v16
	v_and_b32_e32 v126, 0xf0f0f0f, v134
	v_lshrrev_b32_e32 v134, 4, v135
	s_waitcnt lgkmcnt(5)
	v_and_b32_e32 v135, 0xf0f0f0f, v140
	v_dot4c_i32_i8 v129, v144, v12
	v_and_b32_e32 v144, 0xf0f0f0f, v141
	v_dot4c_i32_i8 v149, v126, v5
	;; [unrolled: 2-line block ×3, first 2 shown]
	ds_read2_b32 v[134:135], v116 offset1:1
	v_and_b32_e32 v30, 0xf0f0f0f, v30
	v_lshrrev_b32_e32 v140, 4, v140
	v_dot4c_i32_i8 v149, v126, v6
	v_dot4c_i32_i8 v151, v144, v18
	ds_read2_b32 v[144:145], v145 offset1:1
	ds_read2_b32 v[146:147], v146 offset1:1
	v_cvt_f32_f16_sdwa v125, v121 dst_sel:DWORD dst_unused:UNUSED_PAD src0_sel:WORD_1
	s_waitcnt lgkmcnt(3)
	v_and_b32_e32 v126, 0xf0f0f0f, v142
	v_dot4c_i32_i8 v149, v30, v7
	v_lshrrev_b32_e32 v30, 4, v31
	v_and_b32_e32 v31, 0xf0f0f0f, v143
	v_cvt_f32_ubyte0_e32 v152, v29
	v_dot4c_i32_i8 v151, v126, v19
	v_and_b32_e32 v126, 0xf0f0f0f, v140
	v_lshrrev_b32_e32 v140, 4, v141
	v_lshrrev_b32_e32 v141, 4, v143
	v_and_b32_e32 v30, 0xf0f0f0f, v30
	v_dot4c_i32_i8 v151, v31, v20
	v_dot4c_i32_i8 v153, v126, v13
	v_and_b32_e32 v126, 0xf0f0f0f, v140
	s_waitcnt lgkmcnt(2)
	v_and_b32_e32 v31, 0xf0f0f0f, v134
	v_lshrrev_b32_e32 v140, 4, v142
	v_and_b32_e32 v142, 0xf0f0f0f, v135
	v_lshrrev_b32_e32 v134, 4, v134
	v_dot4c_i32_i8 v153, v126, v14
	v_dot4c_i32_i8 v151, v31, v9
	v_and_b32_e32 v140, 0xf0f0f0f, v140
	v_lshrrev_b32_e32 v143, 4, v135
	v_dot4c_i32_i8 v149, v30, v8
	ds_read2_b32 v[30:31], v56 offset1:2
	v_dot4c_i32_i8 v151, v142, v10
	v_dot4c_i32_i8 v153, v140, v15
	v_and_b32_e32 v140, 0xf0f0f0f, v141
	s_waitcnt lgkmcnt(2)
	v_and_b32_e32 v141, 0xf0f0f0f, v144
	v_add_nc_u32_e32 v142, 0x3188, v107
	v_lshrrev_b32_e32 v144, 4, v144
	v_cvt_f32_ubyte1_e32 v154, v29
	v_dot4c_i32_i8 v153, v140, v16
	v_and_b32_e32 v140, 0xf0f0f0f, v134
	v_dot4c_i32_i8 v151, v141, v11
	ds_read2_b32 v[134:135], v142 offset1:1
	v_and_b32_e32 v141, 0xf0f0f0f, v145
	v_and_b32_e32 v144, 0xf0f0f0f, v144
	v_dot4c_i32_i8 v153, v140, v5
	v_and_b32_e32 v140, 0xf0f0f0f, v143
	v_add_nc_u32_e32 v143, 0x10a0, v107
	v_dot4c_i32_i8 v151, v141, v12
	v_add_nc_u32_e32 v141, 0x3190, v107
	v_cvt_f32_f16_sdwa v126, v122 dst_sel:DWORD dst_unused:UNUSED_PAD src0_sel:WORD_1
	v_dot4c_i32_i8 v153, v140, v6
	s_waitcnt lgkmcnt(1)
	v_cvt_f32_ubyte0_e32 v156, v31
	ds_read2_b32 v[140:141], v141 offset1:1
	v_and_b32_e32 v142, 0xf0f0f0f, v146
	v_lshrrev_b32_e32 v146, 4, v146
	v_dot4c_i32_i8 v153, v144, v7
	v_dot4c_i32_i8 v155, v142, v17
	v_and_b32_e32 v17, 0xf0f0f0f, v147
	v_add_nc_u32_e32 v142, 0x3198, v107
	s_waitcnt lgkmcnt(1)
	v_and_b32_e32 v157, 0xf0f0f0f, v134
	v_and_b32_e32 v146, 0xf0f0f0f, v146
	v_lshrrev_b32_e32 v147, 4, v147
	v_dot4c_i32_i8 v155, v17, v18
	ds_read2_b32 v[17:18], v142 offset1:1
	ds_read2_b32 v[142:143], v143 offset1:1
	v_lshrrev_b32_e32 v134, 4, v134
	v_dot4c_i32_i8 v158, v146, v13
	v_and_b32_e32 v13, 0xf0f0f0f, v147
	v_dot4c_i32_i8 v155, v157, v19
	v_and_b32_e32 v19, 0xf0f0f0f, v135
	v_mov_b32_e32 v147, 0
	v_lshrrev_b32_e32 v146, 24, v30
	v_dot4c_i32_i8 v158, v13, v14
	v_and_b32_e32 v13, 0xf0f0f0f, v134
	v_dot4c_i32_i8 v155, v19, v20
	s_waitcnt lgkmcnt(2)
	v_and_b32_e32 v19, 0xf0f0f0f, v140
	v_lshrrev_b32_e32 v14, 4, v135
	v_lshrrev_b32_e32 v20, 4, v145
	v_dot4c_i32_i8 v158, v13, v15
	ds_read2_b32 v[134:135], v58 offset1:2
	v_dot4c_i32_i8 v155, v19, v9
	v_and_b32_e32 v9, 0xf0f0f0f, v141
	v_and_b32_e32 v13, 0xf0f0f0f, v14
	v_lshrrev_b32_e32 v14, 4, v140
	v_and_b32_e32 v15, 0xf0f0f0f, v20
	v_cvt_f32_f16_sdwa v140, v123 dst_sel:DWORD dst_unused:UNUSED_PAD src0_sel:WORD_1
	v_dot4c_i32_i8 v155, v9, v10
	v_dot4c_i32_i8 v158, v13, v16
	v_and_b32_e32 v10, 0xf0f0f0f, v14
	v_lshrrev_b32_e32 v13, 4, v141
	s_waitcnt lgkmcnt(2)
	v_and_b32_e32 v9, 0xf0f0f0f, v17
	v_dot4c_i32_i8 v153, v15, v8
	v_and_b32_e32 v19, 0xf0f0f0f, v138
	v_dot4c_i32_i8 v158, v10, v5
	v_and_b32_e32 v5, 0xff, v26
	v_and_b32_e32 v10, 0xf0f0f0f, v13
	v_bfe_u32 v13, v26, 8, 8
	v_dot4c_i32_i8 v155, v9, v11
	v_lshrrev_b32_e32 v11, 4, v17
	v_mul_lo_u32 v5, v127, v5
	v_dot4c_i32_i8 v158, v10, v6
	v_mul_lo_u32 v10, v128, v13
	v_and_b32_e32 v9, 0xf0f0f0f, v18
	v_and_b32_e32 v6, 0xf0f0f0f, v11
	v_cvt_f32_ubyte1_e32 v11, v31
	v_fma_mix_f32 v13, v1, v156, 0 op_sel:[1,0,0] op_sel_hi:[1,0,0]
	s_waitcnt lgkmcnt(0)
	v_cvt_f32_ubyte0_e32 v17, v135
	v_cvt_f32_i32_e32 v5, v5
	v_dot4c_i32_i8 v158, v6, v7
	v_fma_mix_f32 v6, v1, v148, 0 op_sel:[1,0,0] op_sel_hi:[1,0,0]
	v_lshrrev_b32_e32 v7, 4, v18
	v_dot4c_i32_i8 v155, v9, v12
	v_cvt_f32_i32_e32 v9, v10
	v_and_b32_e32 v10, 0xff, v28
	v_fma_mix_f32 v5, v1, v5, 0 op_sel_hi:[1,0,0]
	v_fma_mix_f32 v6, v2, v150, v6 op_sel:[1,0,0] op_sel_hi:[1,0,0]
	v_and_b32_e32 v7, 0xf0f0f0f, v7
	v_bfe_u32 v12, v28, 8, 8
	v_mul_lo_u32 v10, v129, v10
	v_fma_mix_f32 v5, v2, v9, v5 op_sel_hi:[1,0,0]
	v_mul_f32_e32 v6, v6, v125
	v_dot4c_i32_i8 v158, v7, v8
	v_and_b32_e32 v7, 0xff, v30
	v_mul_lo_u32 v9, v149, v12
	v_fma_mix_f32 v8, v1, v152, 0 op_sel:[1,0,0] op_sel_hi:[1,0,0]
	v_fma_mix_f32 v5, v5, v121, -v6 op_sel_hi:[0,1,0]
	v_cvt_f32_i32_e32 v6, v10
	v_bfe_u32 v10, v30, 8, 8
	v_mul_lo_u32 v7, v151, v7
	v_fma_mix_f32 v8, v2, v154, v8 op_sel:[1,0,0] op_sel_hi:[1,0,0]
	v_add_f32_e32 v144, v118, v5
	v_cvt_f32_i32_e32 v9, v9
	v_mul_lo_u32 v10, v153, v10
	v_fma_mix_f32 v6, v1, v6, 0 op_sel_hi:[1,0,0]
	v_mul_f32_e32 v14, v8, v126
	v_fma_mix_f32 v11, v2, v11, v13 op_sel:[1,0,0] op_sel_hi:[1,0,0]
	v_cvt_f32_i32_e32 v12, v7
	v_and_b32_e32 v13, 0xff, v134
	v_fma_mix_f32 v9, v2, v9, v6 op_sel_hi:[1,0,0]
	ds_read_b128 v[5:8], v47 offset:64
	v_cvt_f32_i32_e32 v10, v10
	v_fma_mix_f32 v12, v1, v12, 0 op_sel_hi:[1,0,0]
	v_mul_f32_e32 v11, v11, v140
	v_fma_mix_f32 v9, v9, v122, -v14 op_sel_hi:[0,1,0]
	v_and_b32_e32 v127, 0xf0f0f0f, v131
	v_lshrrev_b32_e32 v129, 4, v139
	v_fma_mix_f32 v10, v2, v10, v12 op_sel_hi:[1,0,0]
	v_mul_lo_u32 v12, v155, v13
	v_add_f32_e32 v120, v120, v9
	v_bfe_u32 v9, v134, 8, 8
	v_mov_b32_e32 v150, 0
	v_fma_mix_f32 v18, v10, v123, -v11 op_sel_hi:[0,1,0]
	v_lshrrev_b32_e32 v141, 24, v26
	v_lshrrev_b32_e32 v145, 24, v28
	v_mul_lo_u32 v20, v158, v9
	v_cvt_f32_i32_e32 v118, v12
	ds_read_b128 v[9:12], v47 offset:80
	ds_read_b128 v[13:16], v47 offset:96
	v_add_f32_e32 v148, v119, v18
	v_cvt_f32_ubyte1_e32 v119, v135
	s_waitcnt lgkmcnt(2)
	v_dot4c_i32_i8 v147, v19, v5
	v_and_b32_e32 v19, 0xf0f0f0f, v139
	v_cvt_f32_f16_sdwa v139, v124 dst_sel:DWORD dst_unused:UNUSED_PAD src0_sel:WORD_1
	v_cvt_f32_i32_e32 v18, v20
	v_fma_mix_f32 v20, v1, v118, 0 op_sel_hi:[1,0,0]
	v_fma_mix_f32 v1, v1, v17, 0 op_sel:[1,0,0] op_sel_hi:[1,0,0]
	v_dot4c_i32_i8 v147, v19, v6
	v_and_b32_e32 v19, 0xf0f0f0f, v130
	v_lshrrev_b32_e32 v17, 4, v138
	v_mov_b32_e32 v138, 0
	v_fma_mix_f32 v118, v2, v18, v20 op_sel_hi:[1,0,0]
	v_fma_mix_f32 v1, v2, v119, v1 op_sel:[1,0,0] op_sel_hi:[1,0,0]
	v_dot4c_i32_i8 v147, v19, v7
	v_and_b32_e32 v128, 0xf0f0f0f, v17
	ds_read_b128 v[17:20], v47 offset:112
	v_and_b32_e32 v2, 0xf0f0f0f, v133
	v_mul_f32_e32 v1, v1, v139
	v_dot4c_i32_i8 v147, v127, v8
	v_and_b32_e32 v127, 0xf0f0f0f, v132
	s_waitcnt lgkmcnt(1)
	v_dot4c_i32_i8 v138, v128, v13
	v_and_b32_e32 v128, 0xf0f0f0f, v129
	v_lshrrev_b32_e32 v129, 4, v130
	v_add_nc_u32_e32 v130, 0x2120, v107
	v_dot4c_i32_i8 v147, v127, v9
	v_lshrrev_b32_e32 v127, 4, v131
	v_dot4c_i32_i8 v138, v128, v14
	v_and_b32_e32 v119, 0xf0f0f0f, v129
	v_lshrrev_b32_e32 v128, 4, v133
	v_dot4c_i32_i8 v147, v2, v10
	v_and_b32_e32 v2, 0xf0f0f0f, v136
	v_fma_mix_f32 v133, v118, v124, -v1 op_sel_hi:[0,1,0]
	v_dot4c_i32_i8 v138, v119, v15
	v_and_b32_e32 v119, 0xf0f0f0f, v127
	v_lshrrev_b32_e32 v127, 4, v132
	v_dot4c_i32_i8 v147, v2, v11
	v_and_b32_e32 v2, 0xf0f0f0f, v137
	v_and_b32_e32 v118, 0xf0f0f0f, v128
	v_dot4c_i32_i8 v138, v119, v16
	v_add_nc_u32_e32 v119, 0x10a8, v107
	v_and_b32_e32 v127, 0xf0f0f0f, v127
	v_dot4c_i32_i8 v147, v2, v12
	v_add_nc_u32_e32 v128, 0x10b0, v107
	v_lshrrev_b32_e32 v131, 4, v142
	ds_read2_b32 v[1:2], v119 offset1:1
	s_waitcnt lgkmcnt(1)
	v_dot4c_i32_i8 v138, v127, v17
	v_lshrrev_b32_e32 v119, 4, v136
	v_and_b32_e32 v127, 0xf0f0f0f, v142
	v_lshrrev_b32_e32 v136, 4, v137
	v_and_b32_e32 v131, 0xf0f0f0f, v131
	v_dot4c_i32_i8 v138, v118, v18
	v_and_b32_e32 v129, 0xf0f0f0f, v119
	ds_read2_b32 v[118:119], v128 offset1:1
	v_dot4c_i32_i8 v150, v127, v5
	v_and_b32_e32 v127, 0xf0f0f0f, v143
	v_add_nc_u32_e32 v128, 0x10b8, v107
	v_mov_b32_e32 v142, 0
	v_lshrrev_b32_e32 v137, 4, v143
	v_dot4c_i32_i8 v138, v129, v19
	v_dot4c_i32_i8 v150, v127, v6
	ds_read2_b32 v[127:128], v128 offset1:1
	ds_read2_b32 v[129:130], v130 offset1:1
	v_dot4c_i32_i8 v142, v131, v13
	v_and_b32_e32 v131, 0xf0f0f0f, v137
	v_and_b32_e32 v136, 0xf0f0f0f, v136
	s_waitcnt lgkmcnt(3)
	v_and_b32_e32 v132, 0xf0f0f0f, v1
	v_lshrrev_b32_e32 v1, 4, v1
	v_mov_b32_e32 v143, 0
	v_dot4c_i32_i8 v142, v131, v14
	v_dot4c_i32_i8 v138, v136, v20
	;; [unrolled: 1-line block ×3, first 2 shown]
	v_and_b32_e32 v132, 0xf0f0f0f, v2
	v_and_b32_e32 v1, 0xf0f0f0f, v1
	v_lshrrev_b32_e32 v2, 4, v2
	s_waitcnt lgkmcnt(2)
	v_and_b32_e32 v131, 0xf0f0f0f, v119
	v_add_nc_u32_e32 v137, 0x31a0, v107
	v_dot4c_i32_i8 v150, v132, v8
	v_and_b32_e32 v132, 0xf0f0f0f, v118
	v_dot4c_i32_i8 v142, v1, v15
	v_and_b32_e32 v136, 0xf0f0f0f, v2
	v_lshrrev_b32_e32 v118, 4, v118
	s_waitcnt lgkmcnt(1)
	v_and_b32_e32 v152, 0xf0f0f0f, v127
	v_dot4c_i32_i8 v150, v132, v9
	v_add_nc_u32_e32 v132, 0x2128, v107
	v_dot4c_i32_i8 v142, v136, v16
	v_and_b32_e32 v118, 0xf0f0f0f, v118
	v_lshrrev_b32_e32 v136, 4, v119
	v_dot4c_i32_i8 v150, v131, v10
	ds_read2_b32 v[1:2], v132 offset1:1
	v_add_nc_u32_e32 v132, 0x2130, v107
	s_waitcnt lgkmcnt(1)
	v_and_b32_e32 v131, 0xf0f0f0f, v129
	v_dot4c_i32_i8 v142, v118, v17
	v_and_b32_e32 v153, 0xf0f0f0f, v136
	v_lshrrev_b32_e32 v127, 4, v127
	ds_read2_b32 v[118:119], v132 offset1:1
	v_dot4c_i32_i8 v143, v131, v5
	v_and_b32_e32 v131, 0xf0f0f0f, v130
	v_add_nc_u32_e32 v132, 0x2138, v107
	v_dot4c_i32_i8 v142, v153, v18
	v_and_b32_e32 v127, 0xf0f0f0f, v127
	v_lshrrev_b32_e32 v129, 4, v129
	v_dot4c_i32_i8 v143, v131, v6
	ds_read2_b32 v[131:132], v132 offset1:1
	ds_read2_b32 v[136:137], v137 offset1:1
	v_dot4c_i32_i8 v150, v152, v11
	v_and_b32_e32 v152, 0xf0f0f0f, v128
	v_dot4c_i32_i8 v142, v127, v19
	v_lshrrev_b32_e32 v128, 4, v128
	v_and_b32_e32 v129, 0xf0f0f0f, v129
	s_waitcnt lgkmcnt(3)
	v_and_b32_e32 v154, 0xf0f0f0f, v1
	v_and_b32_e32 v153, 0xf0f0f0f, v2
	v_lshrrev_b32_e32 v130, 4, v130
	v_and_b32_e32 v128, 0xf0f0f0f, v128
	v_lshrrev_b32_e32 v1, 4, v1
	v_dot4c_i32_i8 v143, v154, v7
	s_waitcnt lgkmcnt(2)
	v_and_b32_e32 v127, 0xf0f0f0f, v118
	v_lshrrev_b32_e32 v2, 4, v2
	v_dot4c_i32_i8 v142, v128, v20
	v_and_b32_e32 v1, 0xf0f0f0f, v1
	v_dot4c_i32_i8 v143, v153, v8
	v_mov_b32_e32 v153, 0
	v_add_nc_u32_e32 v128, 0x31a8, v107
	v_lshrrev_b32_e32 v118, 4, v118
	v_dot4c_i32_i8 v150, v152, v12
	v_dot4c_i32_i8 v143, v127, v9
	v_and_b32_e32 v127, 0xf0f0f0f, v119
	v_dot4c_i32_i8 v153, v129, v13
	v_and_b32_e32 v129, 0xf0f0f0f, v130
	v_and_b32_e32 v118, 0xf0f0f0f, v118
	v_lshrrev_b32_e32 v119, 4, v119
	v_dot4c_i32_i8 v143, v127, v10
	s_waitcnt lgkmcnt(1)
	v_and_b32_e32 v127, 0xf0f0f0f, v131
	v_dot4c_i32_i8 v153, v129, v14
	v_and_b32_e32 v129, 0xf0f0f0f, v2
	v_and_b32_e32 v130, 0xf0f0f0f, v119
	v_lshrrev_b32_e32 v131, 4, v131
	v_dot4c_i32_i8 v143, v127, v11
	v_and_b32_e32 v127, 0xf0f0f0f, v132
	v_dot4c_i32_i8 v153, v1, v15
	ds_read2_b32 v[1:2], v128 offset1:1
	v_mov_b32_e32 v128, 0
	v_cvt_f32_ubyte2_e32 v151, v27
	v_dot4c_i32_i8 v143, v127, v12
	v_dot4c_i32_i8 v153, v129, v16
	s_waitcnt lgkmcnt(1)
	v_and_b32_e32 v127, 0xf0f0f0f, v136
	v_add_nc_u32_e32 v129, 0x31b0, v107
	v_lshrrev_b32_e32 v149, 24, v134
	v_cvt_f32_ubyte3_e32 v27, v27
	v_dot4c_i32_i8 v153, v118, v17
	v_dot4c_i32_i8 v128, v127, v5
	ds_read2_b32 v[118:119], v129 offset1:1
	v_and_b32_e32 v5, 0xf0f0f0f, v137
	v_add_nc_u32_e32 v127, 0x31b8, v107
	v_dot4c_i32_i8 v153, v130, v18
	v_and_b32_e32 v130, 0xf0f0f0f, v131
	v_mov_b32_e32 v131, 0
	v_dot4c_i32_i8 v128, v5, v6
	ds_read2_b32 v[5:6], v127 offset1:1
	v_lshrrev_b32_e32 v129, 4, v136
	s_waitcnt lgkmcnt(2)
	v_and_b32_e32 v127, 0xf0f0f0f, v1
	v_lshrrev_b32_e32 v136, 4, v137
	v_lshrrev_b32_e32 v1, 4, v1
	v_dot4c_i32_i8 v153, v130, v19
	v_and_b32_e32 v129, 0xf0f0f0f, v129
	v_dot4c_i32_i8 v128, v127, v7
	v_and_b32_e32 v7, 0xf0f0f0f, v2
	v_and_b32_e32 v1, 0xf0f0f0f, v1
	v_lshrrev_b32_e32 v2, 4, v2
	v_dot4c_i32_i8 v131, v129, v13
	v_and_b32_e32 v13, 0xf0f0f0f, v136
	v_dot4c_i32_i8 v128, v7, v8
	s_waitcnt lgkmcnt(1)
	v_and_b32_e32 v7, 0xf0f0f0f, v118
	v_lshrrev_b32_e32 v127, 4, v132
	v_cvt_f32_ubyte2_e32 v152, v29
	v_dot4c_i32_i8 v131, v13, v14
	v_cvt_f32_ubyte3_e32 v29, v29
	v_dot4c_i32_i8 v128, v7, v9
	v_and_b32_e32 v7, 0xf0f0f0f, v119
	v_and_b32_e32 v8, 0xf0f0f0f, v127
	v_dot4c_i32_i8 v131, v1, v15
	v_and_b32_e32 v1, 0xf0f0f0f, v2
	v_lshrrev_b32_e32 v2, 4, v118
	v_dot4c_i32_i8 v128, v7, v10
	s_waitcnt lgkmcnt(0)
	v_and_b32_e32 v7, 0xf0f0f0f, v5
	v_bfe_u32 v10, v26, 16, 8
	v_dot4c_i32_i8 v131, v1, v16
	v_and_b32_e32 v1, 0xf0f0f0f, v2
	v_lshrrev_b32_e32 v2, 4, v119
	v_dot4c_i32_i8 v128, v7, v11
	v_and_b32_e32 v7, 0xf0f0f0f, v6
	v_lshrrev_b32_e32 v6, 4, v6
	;; [unrolled: 3-line block ×3, first 2 shown]
	v_mul_lo_u32 v5, v147, v10
	v_dot4c_i32_i8 v128, v7, v12
	v_bfe_u32 v7, v28, 16, 8
	v_dot4c_i32_i8 v131, v1, v18
	v_mul_lo_u32 v1, v138, v141
	v_and_b32_e32 v2, 0xf0f0f0f, v2
	v_mul_lo_u32 v11, v142, v145
	v_bfe_u32 v12, v134, 16, 8
	v_cvt_f32_i32_e32 v5, v5
	v_dot4c_i32_i8 v153, v8, v20
	v_dot4c_i32_i8 v131, v2, v19
	v_and_b32_e32 v2, 0xf0f0f0f, v6
	v_mul_lo_u32 v6, v150, v7
	v_cvt_f32_i32_e32 v1, v1
	v_fma_mix_f32 v5, v3, v5, 0 op_sel_hi:[1,0,0]
	v_cvt_f32_i32_e32 v11, v11
	v_dot4c_i32_i8 v131, v2, v20
	v_mul_lo_u32 v12, v128, v12
	v_cvt_f32_ubyte2_e32 v9, v31
	v_fma_mix_f32 v1, v4, v1, v5 op_sel_hi:[1,0,0]
	v_cvt_f32_i32_e32 v5, v6
	v_bfe_u32 v6, v30, 16, 8
	v_fma_mix_f32 v7, v3, v151, 0 op_sel:[1,0,0] op_sel_hi:[1,0,0]
	v_cvt_f32_ubyte2_e32 v10, v135
	v_mul_lo_u32 v13, v153, v146
	v_fma_mix_f32 v5, v3, v5, 0 op_sel_hi:[1,0,0]
	v_mul_lo_u32 v6, v143, v6
	v_cvt_f32_ubyte3_e32 v8, v31
	v_fma_mix_f32 v2, v4, v27, v7 op_sel:[1,0,0] op_sel_hi:[1,0,0]
	v_fma_mix_f32 v7, v3, v152, 0 op_sel:[1,0,0] op_sel_hi:[1,0,0]
	v_fma_mix_f32 v5, v4, v11, v5 op_sel_hi:[1,0,0]
	v_mul_lo_u32 v11, v131, v149
	v_fma_mix_f32 v9, v3, v9, 0 op_sel:[1,0,0] op_sel_hi:[1,0,0]
	v_cvt_f32_i32_e32 v12, v12
	v_cvt_f32_i32_e32 v6, v6
	v_fma_mix_f32 v10, v3, v10, 0 op_sel:[1,0,0] op_sel_hi:[1,0,0]
	v_cvt_f32_ubyte3_e32 v14, v135
	v_fma_mix_f32 v7, v4, v29, v7 op_sel:[1,0,0] op_sel_hi:[1,0,0]
	v_cvt_f32_i32_e32 v13, v13
	v_fma_mix_f32 v6, v3, v6, 0 op_sel_hi:[1,0,0]
	v_fma_mix_f32 v8, v4, v8, v9 op_sel:[1,0,0] op_sel_hi:[1,0,0]
	v_cvt_f32_i32_e32 v9, v11
	v_fma_mix_f32 v3, v3, v12, 0 op_sel_hi:[1,0,0]
	v_fma_mix_f32 v10, v4, v14, v10 op_sel:[1,0,0] op_sel_hi:[1,0,0]
	v_mul_f32_e32 v2, v2, v125
	v_mul_f32_e32 v7, v7, v126
	v_fma_mix_f32 v6, v4, v13, v6 op_sel_hi:[1,0,0]
	v_mul_f32_e32 v8, v8, v140
	v_fma_mix_f32 v3, v4, v9, v3 op_sel_hi:[1,0,0]
	v_mul_f32_e32 v4, v10, v139
	v_add_f32_e32 v9, v23, v133
	v_fma_mix_f32 v1, v1, v121, -v2 op_sel_hi:[0,1,0]
	v_fma_mix_f32 v2, v5, v122, -v7 op_sel_hi:[0,1,0]
	;; [unrolled: 1-line block ×4, first 2 shown]
	v_add_f32_e32 v118, v144, v1
	v_add_f32_e32 v120, v120, v2
	;; [unrolled: 1-line block ×4, first 2 shown]
	s_barrier
	buffer_gl0_inv
	s_cbranch_scc1 .LBB211_5
; %bb.12:                               ;   in Loop: Header=BB211_6 Depth=1
	v_cmp_gt_i32_e64 s1, s9, v50
	s_and_b32 s4, s0, s1
	s_and_saveexec_b32 s1, s4
	s_cbranch_execz .LBB211_14
; %bb.13:                               ;   in Loop: Header=BB211_6 Depth=1
	v_add_nc_u32_e32 v1, v60, v50
	v_mad_i64_i32 v[1:2], null, v1, 36, v[21:22]
	global_load_dword v1, v[1:2], off offset:4
	s_waitcnt vmcnt(0)
	ds_write_b32 v49, v1
.LBB211_14:                             ;   in Loop: Header=BB211_6 Depth=1
	s_or_b32 exec_lo, exec_lo, s1
	s_and_saveexec_b32 s4, vcc_lo
	s_cbranch_execz .LBB211_4
; %bb.15:                               ;   in Loop: Header=BB211_6 Depth=1
	v_add_nc_u32_e32 v1, 4, v117
	v_cmp_gt_i32_e64 s1, s9, v1
	s_and_b32 s1, s0, s1
	s_and_b32 exec_lo, exec_lo, s1
	s_cbranch_execz .LBB211_4
; %bb.16:                               ;   in Loop: Header=BB211_6 Depth=1
	v_ashrrev_i32_e32 v1, 31, v117
	v_add_co_u32 v2, s1, v60, v117
	v_add_co_ci_u32_e64 v3, null, v109, v1, s1
	v_mad_u64_u32 v[1:2], null, v2, 36, s[6:7]
	v_mad_i32_i24 v2, v3, 36, v2
	global_load_dword v1, v[1:2], off offset:144
	s_waitcnt vmcnt(0)
	ds_write_b32 v101, v1
	s_branch .LBB211_4
.LBB211_17:
	s_mul_i32 s0, s11, s8
	s_waitcnt vmcnt(0)
	v_cmp_gt_i32_e32 vcc_lo, s0, v32
	s_and_saveexec_b32 s0, vcc_lo
	s_cbranch_execz .LBB211_26
; %bb.18:
	v_add_nc_u32_e32 v1, s16, v0
	v_mul_lo_u32 v0, v32, s10
	s_mov_b32 s0, exec_lo
	v_cmpx_gt_u32_e64 s10, v1
	s_cbranch_execz .LBB211_20
; %bb.19:
	v_add_nc_u32_e32 v2, v0, v1
	v_mov_b32_e32 v3, 0
	v_cvt_f16_f32_e32 v4, v118
	v_lshlrev_b64 v[2:3], 1, v[2:3]
	v_add_co_u32 v2, vcc_lo, s12, v2
	v_add_co_ci_u32_e64 v3, null, s13, v3, vcc_lo
	global_store_short v[2:3], v4, off
.LBB211_20:
	s_or_b32 exec_lo, exec_lo, s0
	v_add_nc_u32_e32 v2, 32, v1
	s_mov_b32 s0, exec_lo
	v_cmpx_gt_u32_e64 s10, v2
	s_cbranch_execz .LBB211_22
; %bb.21:
	v_add_nc_u32_e32 v2, v0, v2
	v_mov_b32_e32 v3, 0
	v_cvt_f16_f32_e32 v4, v120
	v_lshlrev_b64 v[2:3], 1, v[2:3]
	v_add_co_u32 v2, vcc_lo, s12, v2
	v_add_co_ci_u32_e64 v3, null, s13, v3, vcc_lo
	global_store_short v[2:3], v4, off
.LBB211_22:
	s_or_b32 exec_lo, exec_lo, s0
	v_add_nc_u32_e32 v2, 64, v1
	;; [unrolled: 14-line block ×3, first 2 shown]
	v_cmp_gt_u32_e32 vcc_lo, s10, v1
	s_and_b32 exec_lo, exec_lo, vcc_lo
	s_cbranch_execz .LBB211_26
; %bb.25:
	v_add_nc_u32_e32 v0, v0, v1
	v_mov_b32_e32 v1, 0
	v_cvt_f16_f32_e32 v2, v23
	v_lshlrev_b64 v[0:1], 1, v[0:1]
	v_add_co_u32 v0, vcc_lo, s12, v0
	v_add_co_ci_u32_e64 v1, null, s13, v1, vcc_lo
	global_store_short v[0:1], v2, off
.LBB211_26:
	s_endpgm
	.section	.rodata,"a",@progbits
	.p2align	6, 0x0
	.amdhsa_kernel _ZL8moe_q4_KIN3c104HalfELb0EEvPKvS3_PT_PKiS7_S7_iiiiiii
		.amdhsa_group_segment_fixed_size 20688
		.amdhsa_private_segment_fixed_size 0
		.amdhsa_kernarg_size 76
		.amdhsa_user_sgpr_count 6
		.amdhsa_user_sgpr_private_segment_buffer 1
		.amdhsa_user_sgpr_dispatch_ptr 0
		.amdhsa_user_sgpr_queue_ptr 0
		.amdhsa_user_sgpr_kernarg_segment_ptr 1
		.amdhsa_user_sgpr_dispatch_id 0
		.amdhsa_user_sgpr_flat_scratch_init 0
		.amdhsa_user_sgpr_private_segment_size 0
		.amdhsa_wavefront_size32 1
		.amdhsa_uses_dynamic_stack 0
		.amdhsa_system_sgpr_private_segment_wavefront_offset 0
		.amdhsa_system_sgpr_workgroup_id_x 1
		.amdhsa_system_sgpr_workgroup_id_y 1
		.amdhsa_system_sgpr_workgroup_id_z 0
		.amdhsa_system_sgpr_workgroup_info 0
		.amdhsa_system_vgpr_workitem_id 1
		.amdhsa_next_free_vgpr 159
		.amdhsa_next_free_sgpr 24
		.amdhsa_reserve_vcc 1
		.amdhsa_reserve_flat_scratch 0
		.amdhsa_float_round_mode_32 0
		.amdhsa_float_round_mode_16_64 0
		.amdhsa_float_denorm_mode_32 3
		.amdhsa_float_denorm_mode_16_64 3
		.amdhsa_dx10_clamp 1
		.amdhsa_ieee_mode 1
		.amdhsa_fp16_overflow 0
		.amdhsa_workgroup_processor_mode 1
		.amdhsa_memory_ordered 1
		.amdhsa_forward_progress 1
		.amdhsa_shared_vgpr_count 0
		.amdhsa_exception_fp_ieee_invalid_op 0
		.amdhsa_exception_fp_denorm_src 0
		.amdhsa_exception_fp_ieee_div_zero 0
		.amdhsa_exception_fp_ieee_overflow 0
		.amdhsa_exception_fp_ieee_underflow 0
		.amdhsa_exception_fp_ieee_inexact 0
		.amdhsa_exception_int_div_zero 0
	.end_amdhsa_kernel
	.section	.text._ZL8moe_q4_KIN3c104HalfELb0EEvPKvS3_PT_PKiS7_S7_iiiiiii,"axG",@progbits,_ZL8moe_q4_KIN3c104HalfELb0EEvPKvS3_PT_PKiS7_S7_iiiiiii,comdat
.Lfunc_end211:
	.size	_ZL8moe_q4_KIN3c104HalfELb0EEvPKvS3_PT_PKiS7_S7_iiiiiii, .Lfunc_end211-_ZL8moe_q4_KIN3c104HalfELb0EEvPKvS3_PT_PKiS7_S7_iiiiiii
                                        ; -- End function
	.set _ZL8moe_q4_KIN3c104HalfELb0EEvPKvS3_PT_PKiS7_S7_iiiiiii.num_vgpr, 159
	.set _ZL8moe_q4_KIN3c104HalfELb0EEvPKvS3_PT_PKiS7_S7_iiiiiii.num_agpr, 0
	.set _ZL8moe_q4_KIN3c104HalfELb0EEvPKvS3_PT_PKiS7_S7_iiiiiii.numbered_sgpr, 24
	.set _ZL8moe_q4_KIN3c104HalfELb0EEvPKvS3_PT_PKiS7_S7_iiiiiii.num_named_barrier, 0
	.set _ZL8moe_q4_KIN3c104HalfELb0EEvPKvS3_PT_PKiS7_S7_iiiiiii.private_seg_size, 0
	.set _ZL8moe_q4_KIN3c104HalfELb0EEvPKvS3_PT_PKiS7_S7_iiiiiii.uses_vcc, 1
	.set _ZL8moe_q4_KIN3c104HalfELb0EEvPKvS3_PT_PKiS7_S7_iiiiiii.uses_flat_scratch, 0
	.set _ZL8moe_q4_KIN3c104HalfELb0EEvPKvS3_PT_PKiS7_S7_iiiiiii.has_dyn_sized_stack, 0
	.set _ZL8moe_q4_KIN3c104HalfELb0EEvPKvS3_PT_PKiS7_S7_iiiiiii.has_recursion, 0
	.set _ZL8moe_q4_KIN3c104HalfELb0EEvPKvS3_PT_PKiS7_S7_iiiiiii.has_indirect_call, 0
	.section	.AMDGPU.csdata,"",@progbits
; Kernel info:
; codeLenInByte = 10952
; TotalNumSgprs: 26
; NumVgprs: 159
; ScratchSize: 0
; MemoryBound: 0
; FloatMode: 240
; IeeeMode: 1
; LDSByteSize: 20688 bytes/workgroup (compile time only)
; SGPRBlocks: 0
; VGPRBlocks: 19
; NumSGPRsForWavesPerEU: 26
; NumVGPRsForWavesPerEU: 159
; Occupancy: 6
; WaveLimiterHint : 1
; COMPUTE_PGM_RSRC2:SCRATCH_EN: 0
; COMPUTE_PGM_RSRC2:USER_SGPR: 6
; COMPUTE_PGM_RSRC2:TRAP_HANDLER: 0
; COMPUTE_PGM_RSRC2:TGID_X_EN: 1
; COMPUTE_PGM_RSRC2:TGID_Y_EN: 1
; COMPUTE_PGM_RSRC2:TGID_Z_EN: 0
; COMPUTE_PGM_RSRC2:TIDIG_COMP_CNT: 1
	.section	.text._ZL8moe_q4_KIN3c104HalfELb1EEvPKvS3_PT_PKiS7_S7_iiiiiii,"axG",@progbits,_ZL8moe_q4_KIN3c104HalfELb1EEvPKvS3_PT_PKiS7_S7_iiiiiii,comdat
	.globl	_ZL8moe_q4_KIN3c104HalfELb1EEvPKvS3_PT_PKiS7_S7_iiiiiii ; -- Begin function _ZL8moe_q4_KIN3c104HalfELb1EEvPKvS3_PT_PKiS7_S7_iiiiiii
	.p2align	8
	.type	_ZL8moe_q4_KIN3c104HalfELb1EEvPKvS3_PT_PKiS7_S7_iiiiiii,@function
_ZL8moe_q4_KIN3c104HalfELb1EEvPKvS3_PT_PKiS7_S7_iiiiiii: ; @_ZL8moe_q4_KIN3c104HalfELb1EEvPKvS3_PT_PKiS7_S7_iiiiiii
; %bb.0:
	s_load_dwordx4 s[0:3], s[4:5], 0x18
	s_mov_b32 s8, s7
	s_mov_b32 s9, 0
	s_lshl_b64 s[10:11], s[8:9], 2
	s_waitcnt lgkmcnt(0)
	s_add_u32 s2, s2, s10
	s_addc_u32 s3, s3, s11
	s_load_dword s19, s[2:3], 0x0
	s_waitcnt lgkmcnt(0)
	s_cmpk_gt_u32 s19, 0xff
	s_cbranch_scc1 .LBB212_26
; %bb.1:
	s_load_dwordx2 s[2:3], s[4:5], 0x28
	s_waitcnt lgkmcnt(0)
	s_load_dword s3, s[2:3], 0x0
	s_lshl_b32 s2, s8, 3
	s_waitcnt lgkmcnt(0)
	s_cmp_gt_u32 s2, s3
	s_cbranch_scc1 .LBB212_26
; %bb.2:
	v_add_nc_u32_e32 v38, s2, v1
	v_mov_b32_e32 v39, 0
	v_lshlrev_b64 v[2:3], 2, v[38:39]
	v_mov_b32_e32 v116, v39
	v_mov_b32_e32 v117, v39
	;; [unrolled: 1-line block ×3, first 2 shown]
	v_add_co_u32 v2, vcc_lo, s0, v2
	v_add_co_ci_u32_e64 v3, null, s1, v3, vcc_lo
	global_load_dword v48, v[2:3], off
	s_clause 0x1
	s_load_dwordx8 s[8:15], s[4:5], 0x30
	s_load_dwordx2 s[2:3], s[4:5], 0x10
	s_waitcnt lgkmcnt(0)
	s_lshl_b32 s15, s6, 7
	s_cmpk_lt_i32 s9, 0x100
	s_cbranch_scc1 .LBB212_17
; %bb.3:
	v_add_nc_u32_e32 v3, 8, v1
	s_not_b32 s1, s15
	s_ashr_i32 s0, s9, 31
	s_add_i32 s1, s10, s1
	s_lshr_b32 s0, s0, 24
	v_lshlrev_b32_e32 v2, 2, v0
	v_min_i32_e32 v4, s1, v1
	v_min_i32_e32 v3, s1, v3
	v_add_nc_u32_e32 v6, 16, v1
	s_add_i32 s0, s9, s0
	s_abs_i32 s7, s14
	s_ashr_i32 s18, s0, 8
	v_mad_u64_u32 v[21:22], null, 0x84, v4, v[2:3]
	v_mul_lo_u32 v7, v4, s18
	v_mul_lo_u32 v8, v3, s18
	v_min_i32_e32 v4, s1, v6
	v_add_nc_u32_e32 v6, 24, v1
	v_mad_u64_u32 v[22:23], null, 0x84, v3, v[2:3]
	v_add_nc_u32_e32 v3, 32, v1
	v_mul_lo_u32 v9, v4, s18
	v_min_i32_e32 v6, s1, v6
	v_lshl_add_u32 v18, v1, 5, v0
	s_sub_i32 s0, 0, s7
	v_mad_u64_u32 v[23:24], null, 0x84, v4, v[2:3]
	v_min_i32_e32 v3, s1, v3
	v_add_nc_u32_e32 v4, 40, v1
	v_mul_lo_u32 v10, v6, s18
	v_and_b32_e32 v18, 0x7f, v18
	s_waitcnt vmcnt(0)
	v_sub_nc_u32_e32 v39, 0, v48
	v_mad_u64_u32 v[24:25], null, 0x84, v6, v[2:3]
	v_mul_lo_u32 v12, v3, s18
	v_min_i32_e32 v4, s1, v4
	v_add_nc_u32_e32 v6, 48, v1
	v_mad_u64_u32 v[25:26], null, 0x84, v3, v[2:3]
	v_add_nc_u32_e32 v3, 56, v1
	v_mul_lo_u32 v13, v4, s18
	v_min_i32_e32 v6, s1, v6
	v_min_i32_e32 v18, s1, v18
	v_xor_b32_e32 v46, s14, v48
	v_mad_u64_u32 v[26:27], null, 0x84, v4, v[2:3]
	v_min_i32_e32 v3, s1, v3
	v_mul_lo_u32 v14, v6, s18
	v_add_nc_u32_e32 v4, 64, v1
	v_ashrrev_i32_e32 v33, 31, v18
	v_lshlrev_b32_e32 v43, 2, v18
	v_mad_u64_u32 v[27:28], null, 0x84, v6, v[2:3]
	v_mul_lo_u32 v15, v3, s18
	v_mad_u64_u32 v[28:29], null, 0x84, v3, v[2:3]
	v_add_nc_u32_e32 v3, 0x48, v1
	v_cvt_f32_u32_e32 v6, s7
	v_min_i32_e32 v4, s1, v4
	v_lshrrev_b32_e32 v5, 5, v0
	s_mul_i32 s6, s18, s15
	v_min_i32_e32 v19, s1, v3
	v_rcp_iflag_f32_e32 v3, v6
	v_add_nc_u32_e32 v6, 0x58, v1
	v_mul_lo_u32 v17, v4, s18
	s_mul_hi_i32 s17, s6, 0x90
	s_mul_i32 s16, s6, 0x90
	v_and_b32_e32 v11, 0x7c, v2
	v_min_i32_e32 v20, s1, v6
	v_lshrrev_b32_e32 v6, 2, v0
	v_add_nc_u32_e32 v16, 0x50, v1
	v_add_nc_u32_e32 v51, 0x60, v0
	v_mad_u64_u32 v[29:30], null, 0x84, v4, v[2:3]
	v_mul_f32_e32 v3, 0x4f7ffffe, v3
	v_add_nc_u32_e32 v4, 0x60, v1
	v_mul_lo_u32 v30, v19, s18
	v_min_i32_e32 v16, s1, v16
	v_mul_lo_u32 v32, v20, s18
	v_cvt_u32_f32_e32 v3, v3
	v_min_i32_e32 v34, s1, v4
	v_lshl_add_u32 v4, v1, 3, v6
	v_lshrrev_b32_e32 v6, 27, v33
	v_mul_lo_u32 v31, v16, s18
	v_mul_lo_u32 v33, s0, v3
	v_add_nc_u32_e32 v35, 0x68, v1
	v_and_b32_e32 v4, 0x7f, v4
	v_add_nc_u32_e32 v6, v18, v6
	v_add_nc_u32_e32 v36, 0x70, v1
	;; [unrolled: 1-line block ×3, first 2 shown]
	v_lshrrev_b32_e32 v54, 3, v51
	v_min_i32_e32 v38, s1, v4
	v_mul_hi_u32 v33, v3, v33
	v_xor_b32_e32 v4, 64, v4
	v_ashrrev_i32_e32 v6, 5, v6
	v_min_i32_e32 v35, s1, v35
	v_ashrrev_i32_e32 v40, 31, v38
	v_min_i32_e32 v36, s1, v36
	v_min_i32_e32 v41, s1, v4
	v_max_i32_e32 v4, v48, v39
	v_add_nc_u32_e32 v3, v3, v33
	v_lshrrev_b32_e32 v33, 29, v40
	v_lshlrev_b32_e32 v6, 2, v6
	v_ashrrev_i32_e32 v40, 31, v41
	v_and_b32_e32 v39, 3, v0
	v_mul_hi_u32 v3, v4, v3
	v_add_nc_u32_e32 v33, v38, v33
	v_add3_u32 v49, v6, v43, 0x4e40
	v_lshrrev_b32_e32 v40, 29, v40
	v_mul_lo_u32 v37, v34, s18
	v_lshl_add_u32 v66, v51, 2, v54
	v_ashrrev_i32_e32 v33, 3, v33
	v_lshrrev_b32_e32 v55, 3, v0
	v_mul_lo_u32 v6, v3, s7
	v_add_nc_u32_e32 v40, v41, v40
	v_add_nc_u32_e32 v45, 1, v3
	v_lshlrev_b32_e32 v33, 2, v33
	v_and_b32_e32 v43, 4, v2
	v_add_nc_u32_e32 v42, 0xfe, v39
	v_ashrrev_i32_e32 v40, 3, v40
	v_cmp_gt_u32_e32 vcc_lo, 2, v39
	v_sub_nc_u32_e32 v4, v4, v6
	v_lshlrev_b32_e32 v6, 2, v39
	v_and_b32_e32 v42, 0xff, v42
	v_lshlrev_b32_e32 v40, 2, v40
	v_lshl_add_u32 v59, v1, 7, 0x4a40
	v_subrev_nc_u32_e32 v47, s7, v4
	v_cmp_le_u32_e64 s0, s7, v4
	v_add3_u32 v57, v33, v6, 0x4200
	v_add3_u32 v40, v40, v6, 0x4200
	v_ashrrev_i32_e32 v33, 31, v46
	v_cndmask_b32_e32 v42, v42, v39, vcc_lo
	v_cndmask_b32_e64 v45, v3, v45, s0
	v_cndmask_b32_e64 v6, v4, v47, s0
	v_mad_u64_u32 v[3:4], null, 0x90, v5, s[16:17]
	v_add_nc_u32_e32 v47, 64, v0
	v_add_nc_u32_e32 v46, 1, v45
	v_cmp_le_u32_e64 s0, s7, v6
	v_cmp_lt_u32_e32 vcc_lo, 1, v39
	s_load_dwordx4 s[4:7], s[4:5], 0x0
	v_lshrrev_b32_e32 v53, 3, v47
	v_lshlrev_b32_e32 v62, 4, v1
	v_cndmask_b32_e64 v6, v45, v46, s0
	v_lshlrev_b32_e32 v45, 2, v5
	v_add_nc_u32_e32 v46, 32, v0
	v_lshl_add_u32 v47, v47, 2, v53
	v_cndmask_b32_e32 v56, 0, v43, vcc_lo
	v_xor_b32_e32 v52, v6, v33
	v_mad_i64_i32 v[5:6], null, 0x90, v7, v[3:4]
	v_mad_i64_i32 v[7:8], null, 0x90, v8, v[3:4]
	v_lshrrev_b32_e32 v50, 3, v46
	v_sub_nc_u32_e32 v67, v52, v33
	v_add3_u32 v51, v2, v45, 0x4e40
	v_mul_lo_u32 v18, v18, s18
	v_add_co_u32 v68, s0, v5, v11
	v_add_co_ci_u32_e64 v69, null, 0, v6, s0
	v_mad_i64_i32 v[5:6], null, 0x90, v9, v[3:4]
	v_add_co_u32 v70, s0, v7, v11
	v_add_co_ci_u32_e64 v71, null, 0, v8, s0
	v_mad_i64_i32 v[7:8], null, 0x90, v10, v[3:4]
	;; [unrolled: 3-line block ×10, first 2 shown]
	v_add_co_u32 v88, s0, v5, v11
	v_add_co_ci_u32_e64 v89, null, 0, v6, s0
	v_and_b32_e32 v5, 60, v50
	v_mad_u64_u32 v[30:31], null, 0x84, v19, v[2:3]
	v_add_co_u32 v90, s0, v7, v11
	v_add_co_ci_u32_e64 v91, null, 0, v8, s0
	v_and_b32_e32 v7, 60, v54
	v_min_i32_e32 v8, s1, v44
	v_add3_u32 v52, v2, v5, 0x4e40
	v_mul_lo_u32 v5, v35, s18
	v_and_b32_e32 v6, 60, v53
	v_add3_u32 v54, v2, v7, 0x4e40
	v_mul_lo_u32 v7, v36, s18
	v_mul_lo_u32 v44, v8, s18
	v_mad_u64_u32 v[31:32], null, 0x84, v16, v[2:3]
	v_mad_u64_u32 v[32:33], null, 0x84, v20, v[2:3]
	;; [unrolled: 1-line block ×3, first 2 shown]
	v_mad_i64_i32 v[9:10], null, 0x90, v37, v[3:4]
	v_mad_u64_u32 v[34:35], null, 0x84, v35, v[2:3]
	v_mad_u64_u32 v[35:36], null, 0x84, v36, v[2:3]
	v_add3_u32 v53, v2, v6, 0x4e40
	v_add_nc_u32_e32 v16, 0x5050, v2
	v_and_b32_e32 v19, 28, v2
	v_add_nc_u32_e32 v20, v55, v2
	v_mad_i64_i32 v[5:6], null, 0x90, v5, v[3:4]
	v_mad_u64_u32 v[36:37], null, 0x84, v8, v[2:3]
	v_mad_i64_i32 v[7:8], null, 0x90, v7, v[3:4]
	v_mad_i64_i32 v[2:3], null, 0x90, v44, v[3:4]
	v_mul_lo_u32 v4, v38, s18
	v_add_co_u32 v9, s0, v9, v11
	v_mul_lo_u32 v37, v41, s18
	v_add_co_ci_u32_e64 v10, null, 0, v10, s0
	v_add_co_u32 v44, s0, v5, v11
	v_mad_i64_i32 v[4:5], null, 0x90, v4, 0
	v_add_co_ci_u32_e64 v6, null, 0, v6, s0
	v_add_co_u32 v7, s0, v7, v11
	v_add_co_ci_u32_e64 v8, null, 0, v8, s0
	v_add_co_u32 v11, s0, v2, v11
	v_add_co_ci_u32_e64 v45, null, 0, v3, s0
	v_mad_i64_i32 v[2:3], null, 0x90, v37, 0
	v_cndmask_b32_e64 v37, 0, 1, vcc_lo
	v_add_co_u32 v4, vcc_lo, s16, v4
	v_add_co_ci_u32_e64 v5, null, s17, v5, vcc_lo
	v_cmp_ne_u32_e32 vcc_lo, 0, v39
	v_lshlrev_b32_e32 v37, 2, v37
	v_lshlrev_b32_e32 v38, 4, v38
	v_lshl_add_u32 v63, v20, 2, 0x4200
	s_ashr_i32 s0, s12, 31
	v_add_co_ci_u32_e64 v39, null, 0, v42, vcc_lo
	v_add_co_u32 v2, vcc_lo, s16, v2
	v_or_b32_e32 v43, v4, v37
	v_add_nc_u32_e32 v57, v57, v38
	v_lshl_add_u32 v38, v46, 2, v50
	v_or_b32_e32 v104, v2, v37
	v_lshlrev_b32_e32 v37, 4, v41
	v_lshlrev_b32_e32 v39, 2, v39
	s_lshr_b32 s0, s0, 27
	v_lshl_add_u32 v64, v38, 2, 0x4200
	v_add_co_ci_u32_e64 v3, null, s17, v3, vcc_lo
	v_add_nc_u32_e32 v58, v40, v37
	v_and_b32_e32 v37, 31, v0
	s_add_i32 s0, s12, s0
	v_cmp_gt_u32_e32 vcc_lo, 4, v0
	s_ashr_i32 s10, s0, 5
	v_cmp_gt_i32_e64 s0, s11, v67
	v_lshl_add_u32 v61, v37, 2, v59
	s_waitcnt lgkmcnt(0)
	v_add_co_u32 v37, s1, s6, v19
	v_add_co_ci_u32_e64 v38, null, s7, 0, s1
	v_add_co_u32 v1, s1, s4, v68
	v_add_co_ci_u32_e64 v19, null, s5, v69, s1
	;; [unrolled: 2-line block ×39, first 2 shown]
	s_mul_i32 s8, s19, s8
	v_add_co_u32 v4, s1, s4, v104
	v_mul_lo_u32 v67, v67, s10
	s_ashr_i32 s12, s8, 31
	s_and_b32 s19, vcc_lo, s0
	v_add_co_ci_u32_e64 v3, null, s5, v3, s1
	v_add_co_u32 v1, s1, s4, v1
	s_add_u32 s16, s4, s16
	s_addc_u32 s17, s5, s17
	v_add_co_ci_u32_e64 v2, null, s5, v2, s1
	v_mul_u32_u24_e32 v109, 0x84, v0
	v_add_co_u32 v104, s1, v4, 4
	v_mad_i64_i32 v[40:41], null, 0x90, v18, s[16:17]
	v_add_co_ci_u32_e64 v105, null, 0, v3, s1
	v_add_co_u32 v106, s1, v1, 4
	v_lshlrev_b32_e32 v60, 1, v42
	v_lshl_add_u32 v65, v47, 2, 0x4200
	v_lshl_add_u32 v66, v66, 2, 0x4200
	v_add_co_ci_u32_e64 v107, null, 0, v2, s1
	v_add_nc_u32_e32 v108, v16, v62
	v_mov_b32_e32 v118, 0
	v_ashrrev_i32_e32 v110, 31, v67
	v_add_nc_u32_e32 v111, 0x1080, v109
	v_add_nc_u32_e32 v112, 0x1088, v109
	;; [unrolled: 1-line block ×4, first 2 shown]
	v_mov_b32_e32 v115, v0
	v_mov_b32_e32 v117, 0
	;; [unrolled: 1-line block ×4, first 2 shown]
	s_movk_i32 s4, 0x80
	s_branch .LBB212_6
.LBB212_4:                              ;   in Loop: Header=BB212_6 Depth=1
	s_or_b32 exec_lo, exec_lo, s5
	s_waitcnt lgkmcnt(0)
	s_barrier
	buffer_gl0_inv
	ds_read2_b32 v[44:45], v109 offset0:16 offset1:17
	ds_read_b128 v[17:20], v59
	ds_read_b128 v[9:12], v59 offset:16
	ds_read2_b32 v[46:47], v109 offset0:18 offset1:19
	ds_read_b128 v[13:16], v59 offset:32
	ds_read_b128 v[5:8], v59 offset:48
	ds_read_b32 v119, v51
	v_mov_b32_e32 v125, 0
	ds_read2_b32 v[122:123], v109 offset0:20 offset1:21
	ds_read2_b32 v[42:43], v63 offset0:1 offset1:3
	v_add_nc_u32_e32 v120, 0x10c0, v109
	v_mov_b32_e32 v126, 0
	ds_read_b128 v[1:4], v62 offset:20560
	ds_read2_b32 v[128:129], v109 offset0:22 offset1:23
	ds_read2_b32 v[130:131], v109 offset0:24 offset1:25
	v_add_nc_u32_e32 v121, 0x10c8, v109
	v_mov_b32_e32 v127, 0
	v_add_nc_u32_e32 v124, 0x10d0, v109
	v_add_nc_u32_e32 v136, 0x2140, v109
	v_mov_b32_e32 v149, 0
	v_mov_b32_e32 v151, 0
	v_add_nc_u32_e32 v146, 0x31c0, v109
	s_waitcnt lgkmcnt(11)
	v_and_b32_e32 v132, 0xf0f0f0f, v44
	v_and_b32_e32 v134, 0xf0f0f0f, v45
	v_lshrrev_b32_e32 v44, 4, v44
	v_lshrrev_b32_e32 v45, 4, v45
	v_mov_b32_e32 v153, 0
	s_waitcnt lgkmcnt(10)
	v_dot4c_i32_i8 v125, v132, v17
	ds_read2_b32 v[132:133], v120 offset1:1
	s_waitcnt lgkmcnt(9)
	v_and_b32_e32 v120, 0xf0f0f0f, v46
	v_and_b32_e32 v44, 0xf0f0f0f, v44
	v_lshrrev_b32_e32 v46, 4, v46
	v_dot4c_i32_i8 v125, v134, v18
	v_and_b32_e32 v134, 0xf0f0f0f, v47
	v_and_b32_e32 v45, 0xf0f0f0f, v45
	s_waitcnt lgkmcnt(8)
	v_dot4c_i32_i8 v126, v44, v13
	s_waitcnt lgkmcnt(5)
	v_and_b32_e32 v44, 0xf0f0f0f, v122
	v_dot4c_i32_i8 v125, v120, v19
	v_lshrrev_b32_e32 v47, 4, v47
	v_and_b32_e32 v46, 0xf0f0f0f, v46
	v_dot4c_i32_i8 v126, v45, v14
	v_and_b32_e32 v120, 0xf0f0f0f, v123
	v_dot4c_i32_i8 v125, v134, v20
	v_and_b32_e32 v47, 0xf0f0f0f, v47
	v_lshrrev_b32_e32 v122, 4, v122
	v_dot4c_i32_i8 v126, v46, v15
	s_waitcnt lgkmcnt(2)
	v_and_b32_e32 v46, 0xf0f0f0f, v128
	v_dot4c_i32_i8 v125, v44, v9
	ds_read2_b32 v[44:45], v121 offset1:1
	v_and_b32_e32 v134, 0xf0f0f0f, v122
	v_dot4c_i32_i8 v126, v47, v16
	s_waitcnt lgkmcnt(1)
	v_and_b32_e32 v47, 0xf0f0f0f, v132
	v_dot4c_i32_i8 v125, v120, v10
	ds_read_b32 v120, v52 offset:128
	ds_read_b32 v121, v53 offset:256
	;; [unrolled: 1-line block ×3, first 2 shown]
	v_lshrrev_b32_e32 v123, 4, v123
	v_dot4c_i32_i8 v126, v134, v5
	v_dot4c_i32_i8 v127, v47, v17
	v_dot4c_i32_i8 v125, v46, v11
	ds_read2_b32 v[46:47], v124 offset1:1
	v_and_b32_e32 v134, 0xf0f0f0f, v133
	v_add_nc_u32_e32 v124, 0x10d8, v109
	v_and_b32_e32 v123, 0xf0f0f0f, v123
	v_lshrrev_b32_e32 v128, 4, v128
	v_and_b32_e32 v138, 0xf0f0f0f, v129
	v_dot4c_i32_i8 v127, v134, v18
	ds_read2_b32 v[134:135], v124 offset1:1
	ds_read2_b32 v[136:137], v136 offset1:1
	v_dot4c_i32_i8 v126, v123, v6
	v_and_b32_e32 v123, 0xf0f0f0f, v128
	s_waitcnt lgkmcnt(6)
	v_and_b32_e32 v124, 0xf0f0f0f, v44
	v_lshrrev_b32_e32 v128, 4, v129
	v_lshrrev_b32_e32 v129, 4, v132
	;; [unrolled: 1-line block ×3, first 2 shown]
	v_dot4c_i32_i8 v126, v123, v7
	v_dot4c_i32_i8 v127, v124, v19
	v_and_b32_e32 v124, 0xf0f0f0f, v45
	v_and_b32_e32 v123, 0xf0f0f0f, v128
	;; [unrolled: 1-line block ×3, first 2 shown]
	v_lshrrev_b32_e32 v129, 4, v133
	v_and_b32_e32 v44, 0xf0f0f0f, v44
	v_dot4c_i32_i8 v127, v124, v20
	s_waitcnt lgkmcnt(2)
	v_and_b32_e32 v124, 0xf0f0f0f, v46
	v_dot4c_i32_i8 v126, v123, v8
	v_and_b32_e32 v123, 0xf0f0f0f, v47
	v_dot4c_i32_i8 v149, v128, v13
	s_waitcnt lgkmcnt(1)
	v_and_b32_e32 v140, 0xf0f0f0f, v134
	v_dot4c_i32_i8 v127, v124, v9
	v_and_b32_e32 v124, 0xf0f0f0f, v129
	v_lshrrev_b32_e32 v45, 4, v45
	v_lshrrev_b32_e32 v46, 4, v46
	v_dot4c_i32_i8 v125, v138, v12
	v_dot4c_i32_i8 v127, v123, v10
	;; [unrolled: 1-line block ×3, first 2 shown]
	v_and_b32_e32 v124, 0xf0f0f0f, v45
	ds_read2_b32 v[128:129], v109 offset0:26 offset1:27
	ds_read2_b32 v[132:133], v109 offset0:28 offset1:29
	;; [unrolled: 1-line block ×3, first 2 shown]
	v_and_b32_e32 v46, 0xf0f0f0f, v46
	v_dot4c_i32_i8 v127, v140, v11
	v_dot4c_i32_i8 v149, v44, v15
	v_add_nc_u32_e32 v140, 0x2148, v109
	v_and_b32_e32 v142, 0xf0f0f0f, v135
	v_lshrrev_b32_e32 v47, 4, v47
	ds_read2_b32 v[44:45], v64 offset0:1 offset1:3
	v_dot4c_i32_i8 v149, v124, v16
	ds_read2_b32 v[140:141], v140 offset1:1
	v_dot4c_i32_i8 v127, v142, v12
	s_waitcnt lgkmcnt(5)
	v_and_b32_e32 v124, 0xf0f0f0f, v136
	v_and_b32_e32 v47, 0xf0f0f0f, v47
	v_dot4c_i32_i8 v149, v46, v5
	v_add_nc_u32_e32 v46, 0x2150, v109
	v_lshrrev_b32_e32 v134, 4, v134
	v_dot4c_i32_i8 v151, v124, v17
	v_and_b32_e32 v124, 0xf0f0f0f, v137
	v_dot4c_i32_i8 v149, v47, v6
	ds_read2_b32 v[142:143], v46 offset1:1
	v_add_nc_u32_e32 v46, 0x2158, v109
	ds_read2_b32 v[144:145], v46 offset1:1
	ds_read2_b32 v[146:147], v146 offset1:1
	v_dot4c_i32_i8 v151, v124, v18
	v_lshrrev_b32_e32 v124, 4, v136
	v_and_b32_e32 v47, 0xf0f0f0f, v134
	s_waitcnt lgkmcnt(3)
	v_and_b32_e32 v46, 0xf0f0f0f, v140
	v_lshrrev_b32_e32 v134, 4, v137
	v_add_nc_u32_e32 v137, 0x31c8, v109
	v_and_b32_e32 v124, 0xf0f0f0f, v124
	v_dot4c_i32_i8 v149, v47, v7
	v_dot4c_i32_i8 v151, v46, v19
	v_and_b32_e32 v46, 0xf0f0f0f, v141
	v_lshrrev_b32_e32 v47, 4, v135
	v_dot4c_i32_i8 v153, v124, v13
	v_and_b32_e32 v124, 0xf0f0f0f, v134
	v_lshrrev_b32_e32 v134, 4, v140
	v_dot4c_i32_i8 v151, v46, v20
	s_waitcnt lgkmcnt(2)
	v_and_b32_e32 v46, 0xf0f0f0f, v142
	v_lshrrev_b32_e32 v135, 4, v141
	v_dot4c_i32_i8 v153, v124, v14
	v_and_b32_e32 v134, 0xf0f0f0f, v134
	v_and_b32_e32 v136, 0xf0f0f0f, v143
	v_dot4c_i32_i8 v151, v46, v9
	v_lshrrev_b32_e32 v141, 4, v143
	v_and_b32_e32 v47, 0xf0f0f0f, v47
	v_dot4c_i32_i8 v153, v134, v15
	v_and_b32_e32 v134, 0xf0f0f0f, v135
	v_lshrrev_b32_e32 v135, 4, v142
	v_dot4c_i32_i8 v151, v136, v10
	s_waitcnt lgkmcnt(1)
	v_and_b32_e32 v136, 0xf0f0f0f, v144
	v_mov_b32_e32 v142, 0
	v_dot4c_i32_i8 v153, v134, v16
	v_and_b32_e32 v140, 0xf0f0f0f, v135
	ds_read2_b32 v[134:135], v137 offset1:1
	v_dot4c_i32_i8 v151, v136, v11
	v_and_b32_e32 v136, 0xf0f0f0f, v145
	v_and_b32_e32 v137, 0xf0f0f0f, v141
	v_dot4c_i32_i8 v153, v140, v5
	s_waitcnt lgkmcnt(1)
	v_and_b32_e32 v140, 0xf0f0f0f, v146
	v_lshrrev_b32_e32 v146, 4, v146
	v_dot4c_i32_i8 v151, v136, v12
	v_add_nc_u32_e32 v136, 0x31d0, v109
	v_dot4c_i32_i8 v153, v137, v6
	v_dot4c_i32_i8 v142, v140, v17
	v_and_b32_e32 v17, 0xf0f0f0f, v147
	v_add_nc_u32_e32 v140, 0x31d8, v109
	ds_read2_b32 v[136:137], v136 offset1:1
	v_add_nc_u32_e32 v141, 0x10e0, v109
	v_and_b32_e32 v146, 0xf0f0f0f, v146
	v_dot4c_i32_i8 v142, v17, v18
	v_mov_b32_e32 v156, 0
	v_lshrrev_b32_e32 v147, 4, v147
	v_dot4c_i32_i8 v149, v47, v8
	s_waitcnt lgkmcnt(1)
	v_and_b32_e32 v155, 0xf0f0f0f, v134
	ds_read2_b32 v[46:47], v65 offset0:1 offset1:3
	ds_read2_b32 v[17:18], v140 offset1:1
	ds_read2_b32 v[140:141], v141 offset1:1
	v_dot4c_i32_i8 v156, v146, v13
	v_and_b32_e32 v13, 0xf0f0f0f, v147
	v_dot4c_i32_i8 v142, v155, v19
	v_and_b32_e32 v19, 0xf0f0f0f, v135
	v_lshrrev_b32_e32 v134, 4, v134
	v_lshrrev_b32_e32 v144, 4, v144
	v_dot4c_i32_i8 v156, v13, v14
	v_lshrrev_b32_e32 v14, 4, v135
	v_dot4c_i32_i8 v142, v19, v20
	v_and_b32_e32 v13, 0xf0f0f0f, v134
	s_waitcnt lgkmcnt(3)
	v_and_b32_e32 v19, 0xf0f0f0f, v136
	v_cvt_f32_ubyte0_e32 v148, v43
	v_and_b32_e32 v144, 0xf0f0f0f, v144
	v_cvt_f32_ubyte1_e32 v150, v43
	v_dot4c_i32_i8 v156, v13, v15
	v_dot4c_i32_i8 v142, v19, v9
	v_and_b32_e32 v9, 0xf0f0f0f, v137
	v_and_b32_e32 v13, 0xf0f0f0f, v14
	v_lshrrev_b32_e32 v14, 4, v136
	v_dot4c_i32_i8 v153, v144, v7
	v_cvt_f32_f16_sdwa v123, v119 dst_sel:DWORD dst_unused:UNUSED_PAD src0_sel:WORD_1
	v_dot4c_i32_i8 v142, v9, v10
	v_dot4c_i32_i8 v156, v13, v16
	v_and_b32_e32 v10, 0xf0f0f0f, v14
	v_lshrrev_b32_e32 v13, 4, v137
	s_waitcnt lgkmcnt(1)
	v_and_b32_e32 v9, 0xf0f0f0f, v17
	v_lshrrev_b32_e32 v20, 4, v145
	ds_read2_b32 v[134:135], v66 offset0:1 offset1:3
	v_dot4c_i32_i8 v156, v10, v5
	v_and_b32_e32 v5, 0xff, v42
	v_and_b32_e32 v10, 0xf0f0f0f, v13
	v_bfe_u32 v13, v42, 8, 8
	v_dot4c_i32_i8 v142, v9, v11
	v_lshrrev_b32_e32 v11, 4, v17
	v_mul_lo_u32 v5, v125, v5
	v_dot4c_i32_i8 v156, v10, v6
	v_mul_lo_u32 v10, v126, v13
	v_and_b32_e32 v9, 0xf0f0f0f, v18
	v_and_b32_e32 v6, 0xf0f0f0f, v11
	;; [unrolled: 1-line block ×3, first 2 shown]
	v_cvt_f32_ubyte0_e32 v152, v45
	v_cvt_f32_ubyte1_e32 v154, v45
	v_cvt_f32_i32_e32 v5, v5
	v_dot4c_i32_i8 v156, v6, v7
	v_fma_mix_f32 v6, v1, v148, 0 op_sel:[1,0,0] op_sel_hi:[1,0,0]
	v_lshrrev_b32_e32 v7, 4, v18
	v_dot4c_i32_i8 v142, v9, v12
	v_cvt_f32_i32_e32 v9, v10
	v_and_b32_e32 v10, 0xff, v44
	v_fma_mix_f32 v5, v1, v5, 0 op_sel_hi:[1,0,0]
	v_fma_mix_f32 v6, v2, v150, v6 op_sel:[1,0,0] op_sel_hi:[1,0,0]
	v_and_b32_e32 v7, 0xf0f0f0f, v7
	v_bfe_u32 v12, v44, 8, 8
	v_mul_lo_u32 v10, v127, v10
	v_fma_mix_f32 v5, v2, v9, v5 op_sel_hi:[1,0,0]
	v_mul_f32_e32 v6, v6, v123
	v_dot4c_i32_i8 v156, v7, v8
	v_and_b32_e32 v7, 0xff, v46
	v_mul_lo_u32 v9, v149, v12
	v_dot4c_i32_i8 v153, v15, v8
	v_fma_mix_f32 v5, v5, v119, -v6 op_sel_hi:[0,1,0]
	v_cvt_f32_i32_e32 v6, v10
	v_bfe_u32 v10, v46, 8, 8
	v_mul_lo_u32 v7, v151, v7
	v_fma_mix_f32 v8, v1, v152, 0 op_sel:[1,0,0] op_sel_hi:[1,0,0]
	v_cvt_f32_ubyte0_e32 v143, v47
	v_cvt_f32_f16_sdwa v124, v120 dst_sel:DWORD dst_unused:UNUSED_PAD src0_sel:WORD_1
	v_mul_lo_u32 v10, v153, v10
	v_cvt_f32_i32_e32 v9, v9
	v_fma_mix_f32 v6, v1, v6, 0 op_sel_hi:[1,0,0]
	v_fma_mix_f32 v8, v2, v154, v8 op_sel:[1,0,0] op_sel_hi:[1,0,0]
	v_cvt_f32_ubyte1_e32 v11, v47
	v_cvt_f32_i32_e32 v12, v7
	v_fma_mix_f32 v13, v1, v143, 0 op_sel:[1,0,0] op_sel_hi:[1,0,0]
	v_add_f32_e32 v118, v118, v5
	v_fma_mix_f32 v9, v2, v9, v6 op_sel_hi:[1,0,0]
	v_mul_f32_e32 v14, v8, v124
	ds_read_b128 v[5:8], v59 offset:64
	v_cvt_f32_i32_e32 v10, v10
	v_fma_mix_f32 v12, v1, v12, 0 op_sel_hi:[1,0,0]
	v_fma_mix_f32 v11, v2, v11, v13 op_sel:[1,0,0] op_sel_hi:[1,0,0]
	s_waitcnt lgkmcnt(1)
	v_and_b32_e32 v13, 0xff, v134
	v_cvt_f32_f16_sdwa v136, v121 dst_sel:DWORD dst_unused:UNUSED_PAD src0_sel:WORD_1
	v_fma_mix_f32 v9, v9, v120, -v14 op_sel_hi:[0,1,0]
	v_fma_mix_f32 v10, v2, v10, v12 op_sel_hi:[1,0,0]
	v_and_b32_e32 v19, 0xf0f0f0f, v130
	v_mul_lo_u32 v12, v142, v13
	v_mul_f32_e32 v11, v11, v136
	v_add_f32_e32 v142, v117, v9
	v_bfe_u32 v9, v134, 8, 8
	v_mov_b32_e32 v145, 0
	v_cvt_f32_ubyte0_e32 v17, v135
	v_fma_mix_f32 v18, v10, v121, -v11 op_sel_hi:[0,1,0]
	v_and_b32_e32 v125, 0xf0f0f0f, v129
	v_mul_lo_u32 v20, v156, v9
	v_cvt_f32_i32_e32 v117, v12
	ds_read_b128 v[9:12], v59 offset:80
	ds_read_b128 v[13:16], v59 offset:96
	s_waitcnt lgkmcnt(2)
	v_dot4c_i32_i8 v145, v19, v5
	v_and_b32_e32 v19, 0xf0f0f0f, v131
	v_add_f32_e32 v146, v116, v18
	v_mov_b32_e32 v148, 0
	v_lshrrev_b32_e32 v127, 4, v131
	v_cvt_f32_i32_e32 v18, v20
	v_fma_mix_f32 v20, v1, v117, 0 op_sel_hi:[1,0,0]
	v_dot4c_i32_i8 v145, v19, v6
	v_and_b32_e32 v19, 0xf0f0f0f, v128
	v_fma_mix_f32 v1, v1, v17, 0 op_sel:[1,0,0] op_sel_hi:[1,0,0]
	v_lshrrev_b32_e32 v17, 4, v130
	v_cvt_f32_ubyte1_e32 v117, v135
	v_fma_mix_f32 v116, v2, v18, v20 op_sel_hi:[1,0,0]
	v_dot4c_i32_i8 v145, v19, v7
	v_cvt_f32_f16_sdwa v149, v122 dst_sel:DWORD dst_unused:UNUSED_PAD src0_sel:WORD_1
	v_and_b32_e32 v126, 0xf0f0f0f, v17
	ds_read_b128 v[17:20], v59 offset:112
	v_fma_mix_f32 v1, v2, v117, v1 op_sel:[1,0,0] op_sel_hi:[1,0,0]
	v_dot4c_i32_i8 v145, v125, v8
	v_and_b32_e32 v125, 0xf0f0f0f, v132
	s_waitcnt lgkmcnt(1)
	v_dot4c_i32_i8 v148, v126, v13
	v_and_b32_e32 v126, 0xf0f0f0f, v127
	v_lshrrev_b32_e32 v127, 4, v128
	v_and_b32_e32 v2, 0xf0f0f0f, v133
	v_dot4c_i32_i8 v145, v125, v9
	v_lshrrev_b32_e32 v125, 4, v129
	v_dot4c_i32_i8 v148, v126, v14
	v_and_b32_e32 v117, 0xf0f0f0f, v127
	v_mul_f32_e32 v1, v1, v149
	v_dot4c_i32_i8 v145, v2, v10
	v_and_b32_e32 v2, 0xf0f0f0f, v138
	v_lshrrev_b32_e32 v126, 4, v133
	v_dot4c_i32_i8 v148, v117, v15
	v_and_b32_e32 v117, 0xf0f0f0f, v125
	v_lshrrev_b32_e32 v125, 4, v132
	v_dot4c_i32_i8 v145, v2, v11
	v_and_b32_e32 v2, 0xf0f0f0f, v139
	v_fma_mix_f32 v133, v116, v122, -v1 op_sel_hi:[0,1,0]
	v_dot4c_i32_i8 v148, v117, v16
	v_add_nc_u32_e32 v117, 0x10e8, v109
	v_and_b32_e32 v125, 0xf0f0f0f, v125
	v_dot4c_i32_i8 v145, v2, v12
	v_and_b32_e32 v116, 0xf0f0f0f, v126
	v_add_nc_u32_e32 v126, 0x10f0, v109
	ds_read2_b32 v[1:2], v117 offset1:1
	s_waitcnt lgkmcnt(1)
	v_dot4c_i32_i8 v148, v125, v17
	v_lshrrev_b32_e32 v117, 4, v138
	v_and_b32_e32 v125, 0xf0f0f0f, v140
	v_mov_b32_e32 v138, 0
	v_lshrrev_b32_e32 v129, 4, v140
	v_dot4c_i32_i8 v148, v116, v18
	v_and_b32_e32 v127, 0xf0f0f0f, v117
	ds_read2_b32 v[116:117], v126 offset1:1
	v_dot4c_i32_i8 v138, v125, v5
	v_and_b32_e32 v125, 0xf0f0f0f, v141
	v_add_nc_u32_e32 v126, 0x10f8, v109
	v_lshrrev_b32_e32 v131, 4, v139
	v_and_b32_e32 v129, 0xf0f0f0f, v129
	v_mov_b32_e32 v139, 0
	v_dot4c_i32_i8 v138, v125, v6
	v_lshrrev_b32_e32 v132, 4, v141
	v_add_nc_u32_e32 v128, 0x2160, v109
	v_dot4c_i32_i8 v148, v127, v19
	ds_read2_b32 v[125:126], v126 offset1:1
	ds_read2_b32 v[127:128], v128 offset1:1
	s_waitcnt lgkmcnt(3)
	v_and_b32_e32 v130, 0xf0f0f0f, v1
	v_dot4c_i32_i8 v139, v129, v13
	v_and_b32_e32 v129, 0xf0f0f0f, v132
	v_lshrrev_b32_e32 v1, 4, v1
	v_and_b32_e32 v131, 0xf0f0f0f, v131
	v_dot4c_i32_i8 v138, v130, v7
	v_and_b32_e32 v130, 0xf0f0f0f, v2
	v_dot4c_i32_i8 v139, v129, v14
	v_and_b32_e32 v1, 0xf0f0f0f, v1
	v_lshrrev_b32_e32 v2, 4, v2
	v_dot4c_i32_i8 v148, v131, v20
	v_dot4c_i32_i8 v138, v130, v8
	s_waitcnt lgkmcnt(2)
	v_and_b32_e32 v130, 0xf0f0f0f, v116
	v_dot4c_i32_i8 v139, v1, v15
	v_and_b32_e32 v131, 0xf0f0f0f, v2
	v_lshrrev_b32_e32 v116, 4, v116
	v_and_b32_e32 v129, 0xf0f0f0f, v117
	v_dot4c_i32_i8 v138, v130, v9
	v_add_nc_u32_e32 v130, 0x2168, v109
	v_dot4c_i32_i8 v139, v131, v16
	v_and_b32_e32 v116, 0xf0f0f0f, v116
	v_mov_b32_e32 v140, 0
	v_dot4c_i32_i8 v138, v129, v10
	ds_read2_b32 v[1:2], v130 offset1:1
	v_add_nc_u32_e32 v130, 0x2170, v109
	s_waitcnt lgkmcnt(1)
	v_and_b32_e32 v129, 0xf0f0f0f, v127
	v_dot4c_i32_i8 v139, v116, v17
	v_lshrrev_b32_e32 v131, 4, v117
	v_add_nc_u32_e32 v132, 0x31e0, v109
	ds_read2_b32 v[116:117], v130 offset1:1
	v_dot4c_i32_i8 v140, v129, v5
	v_and_b32_e32 v129, 0xf0f0f0f, v128
	v_add_nc_u32_e32 v130, 0x2178, v109
	v_and_b32_e32 v141, 0xf0f0f0f, v125
	v_and_b32_e32 v151, 0xf0f0f0f, v131
	v_lshrrev_b32_e32 v125, 4, v125
	v_dot4c_i32_i8 v140, v129, v6
	ds_read2_b32 v[129:130], v130 offset1:1
	ds_read2_b32 v[131:132], v132 offset1:1
	v_lshrrev_b32_e32 v127, 4, v127
	v_dot4c_i32_i8 v139, v151, v18
	v_and_b32_e32 v125, 0xf0f0f0f, v125
	v_dot4c_i32_i8 v138, v141, v11
	v_and_b32_e32 v141, 0xf0f0f0f, v126
	s_waitcnt lgkmcnt(3)
	v_and_b32_e32 v152, 0xf0f0f0f, v1
	v_and_b32_e32 v151, 0xf0f0f0f, v2
	v_dot4c_i32_i8 v139, v125, v19
	v_lshrrev_b32_e32 v126, 4, v126
	v_and_b32_e32 v127, 0xf0f0f0f, v127
	v_dot4c_i32_i8 v140, v152, v7
	s_waitcnt lgkmcnt(2)
	v_and_b32_e32 v125, 0xf0f0f0f, v116
	v_lshrrev_b32_e32 v128, 4, v128
	v_and_b32_e32 v126, 0xf0f0f0f, v126
	v_lshrrev_b32_e32 v1, 4, v1
	v_dot4c_i32_i8 v140, v151, v8
	v_mov_b32_e32 v151, 0
	v_lshrrev_b32_e32 v2, 4, v2
	v_dot4c_i32_i8 v139, v126, v20
	v_and_b32_e32 v1, 0xf0f0f0f, v1
	v_dot4c_i32_i8 v140, v125, v9
	v_and_b32_e32 v125, 0xf0f0f0f, v117
	;; [unrolled: 2-line block ×3, first 2 shown]
	v_add_nc_u32_e32 v126, 0x31e8, v109
	v_lshrrev_b32_e32 v116, 4, v116
	v_dot4c_i32_i8 v140, v125, v10
	s_waitcnt lgkmcnt(1)
	v_and_b32_e32 v125, 0xf0f0f0f, v129
	v_dot4c_i32_i8 v151, v127, v14
	v_and_b32_e32 v127, 0xf0f0f0f, v2
	v_and_b32_e32 v116, 0xf0f0f0f, v116
	v_lshrrev_b32_e32 v117, 4, v117
	v_dot4c_i32_i8 v140, v125, v11
	v_and_b32_e32 v125, 0xf0f0f0f, v130
	v_dot4c_i32_i8 v151, v1, v15
	ds_read2_b32 v[1:2], v126 offset1:1
	v_mov_b32_e32 v126, 0
	v_and_b32_e32 v128, 0xf0f0f0f, v117
	v_dot4c_i32_i8 v140, v125, v12
	v_dot4c_i32_i8 v151, v127, v16
	s_waitcnt lgkmcnt(1)
	v_and_b32_e32 v125, 0xf0f0f0f, v131
	v_add_nc_u32_e32 v127, 0x31f0, v109
	v_lshrrev_b32_e32 v129, 4, v129
	v_lshrrev_b32_e32 v137, 24, v42
	v_dot4c_i32_i8 v151, v116, v17
	v_dot4c_i32_i8 v126, v125, v5
	ds_read2_b32 v[116:117], v127 offset1:1
	v_and_b32_e32 v5, 0xf0f0f0f, v132
	v_add_nc_u32_e32 v125, 0x31f8, v109
	v_dot4c_i32_i8 v151, v128, v18
	v_and_b32_e32 v128, 0xf0f0f0f, v129
	v_mov_b32_e32 v129, 0
	v_dot4c_i32_i8 v126, v5, v6
	ds_read2_b32 v[5:6], v125 offset1:1
	v_lshrrev_b32_e32 v127, 4, v131
	s_waitcnt lgkmcnt(2)
	v_and_b32_e32 v125, 0xf0f0f0f, v1
	v_lshrrev_b32_e32 v131, 4, v132
	v_lshrrev_b32_e32 v1, 4, v1
	v_dot4c_i32_i8 v138, v141, v12
	v_and_b32_e32 v127, 0xf0f0f0f, v127
	v_dot4c_i32_i8 v126, v125, v7
	v_and_b32_e32 v7, 0xf0f0f0f, v2
	v_and_b32_e32 v1, 0xf0f0f0f, v1
	v_lshrrev_b32_e32 v2, 4, v2
	v_dot4c_i32_i8 v129, v127, v13
	v_and_b32_e32 v13, 0xf0f0f0f, v131
	v_dot4c_i32_i8 v126, v7, v8
	s_waitcnt lgkmcnt(1)
	v_and_b32_e32 v7, 0xf0f0f0f, v116
	v_lshrrev_b32_e32 v143, 24, v44
	v_lshrrev_b32_e32 v125, 4, v130
	v_dot4c_i32_i8 v129, v13, v14
	v_dot4c_i32_i8 v151, v128, v19
	;; [unrolled: 1-line block ×3, first 2 shown]
	v_and_b32_e32 v7, 0xf0f0f0f, v117
	v_and_b32_e32 v8, 0xf0f0f0f, v125
	v_dot4c_i32_i8 v129, v1, v15
	v_and_b32_e32 v1, 0xf0f0f0f, v2
	v_lshrrev_b32_e32 v2, 4, v116
	v_dot4c_i32_i8 v126, v7, v10
	s_waitcnt lgkmcnt(0)
	v_and_b32_e32 v7, 0xf0f0f0f, v5
	v_bfe_u32 v10, v42, 16, 8
	v_dot4c_i32_i8 v129, v1, v16
	v_and_b32_e32 v1, 0xf0f0f0f, v2
	v_lshrrev_b32_e32 v2, 4, v117
	v_dot4c_i32_i8 v126, v7, v11
	v_and_b32_e32 v7, 0xf0f0f0f, v6
	v_lshrrev_b32_e32 v6, 4, v6
	;; [unrolled: 3-line block ×3, first 2 shown]
	v_mul_lo_u32 v5, v145, v10
	v_dot4c_i32_i8 v126, v7, v12
	v_bfe_u32 v7, v44, 16, 8
	v_dot4c_i32_i8 v129, v1, v18
	v_mul_lo_u32 v1, v148, v137
	v_and_b32_e32 v2, 0xf0f0f0f, v2
	v_mul_lo_u32 v11, v139, v143
	v_bfe_u32 v12, v134, 16, 8
	v_cvt_f32_i32_e32 v5, v5
	v_cvt_f32_ubyte2_e32 v150, v43
	v_dot4c_i32_i8 v129, v2, v19
	v_and_b32_e32 v2, 0xf0f0f0f, v6
	v_mul_lo_u32 v6, v138, v7
	v_cvt_f32_i32_e32 v1, v1
	v_fma_mix_f32 v5, v3, v5, 0 op_sel_hi:[1,0,0]
	v_lshrrev_b32_e32 v144, 24, v46
	v_lshrrev_b32_e32 v147, 24, v134
	v_dot4c_i32_i8 v151, v8, v20
	v_dot4c_i32_i8 v129, v2, v20
	v_fma_mix_f32 v1, v4, v1, v5 op_sel_hi:[1,0,0]
	v_cvt_f32_i32_e32 v5, v6
	v_bfe_u32 v6, v46, 16, 8
	v_cvt_f32_i32_e32 v11, v11
	v_mul_lo_u32 v12, v126, v12
	v_cvt_f32_ubyte3_e32 v43, v43
	v_fma_mix_f32 v5, v3, v5, 0 op_sel_hi:[1,0,0]
	v_mul_lo_u32 v6, v140, v6
	v_cvt_f32_ubyte2_e32 v141, v45
	v_cvt_f32_ubyte2_e32 v9, v47
	v_fma_mix_f32 v7, v3, v150, 0 op_sel:[1,0,0] op_sel_hi:[1,0,0]
	v_cvt_f32_ubyte2_e32 v10, v135
	v_mul_lo_u32 v13, v151, v144
	v_fma_mix_f32 v5, v4, v11, v5 op_sel_hi:[1,0,0]
	v_mul_lo_u32 v11, v129, v147
	v_cvt_f32_ubyte3_e32 v45, v45
	v_cvt_f32_ubyte3_e32 v8, v47
	v_fma_mix_f32 v2, v4, v43, v7 op_sel:[1,0,0] op_sel_hi:[1,0,0]
	v_fma_mix_f32 v7, v3, v141, 0 op_sel:[1,0,0] op_sel_hi:[1,0,0]
	;; [unrolled: 1-line block ×3, first 2 shown]
	v_cvt_f32_i32_e32 v6, v6
	v_cvt_f32_i32_e32 v12, v12
	v_fma_mix_f32 v10, v3, v10, 0 op_sel:[1,0,0] op_sel_hi:[1,0,0]
	v_cvt_f32_ubyte3_e32 v14, v135
	v_fma_mix_f32 v7, v4, v45, v7 op_sel:[1,0,0] op_sel_hi:[1,0,0]
	v_cvt_f32_i32_e32 v13, v13
	v_fma_mix_f32 v6, v3, v6, 0 op_sel_hi:[1,0,0]
	v_fma_mix_f32 v8, v4, v8, v9 op_sel:[1,0,0] op_sel_hi:[1,0,0]
	v_cvt_f32_i32_e32 v9, v11
	v_fma_mix_f32 v3, v3, v12, 0 op_sel_hi:[1,0,0]
	v_fma_mix_f32 v10, v4, v14, v10 op_sel:[1,0,0] op_sel_hi:[1,0,0]
	v_mul_f32_e32 v2, v2, v123
	v_mul_f32_e32 v7, v7, v124
	v_fma_mix_f32 v6, v4, v13, v6 op_sel_hi:[1,0,0]
	v_mul_f32_e32 v8, v8, v136
	v_fma_mix_f32 v3, v4, v9, v3 op_sel_hi:[1,0,0]
	v_mul_f32_e32 v4, v10, v149
	v_add_f32_e32 v9, v39, v133
	v_fma_mix_f32 v1, v1, v119, -v2 op_sel_hi:[0,1,0]
	v_fma_mix_f32 v2, v5, v120, -v7 op_sel_hi:[0,1,0]
	;; [unrolled: 1-line block ×4, first 2 shown]
	v_add_f32_e32 v118, v118, v1
	v_add_f32_e32 v117, v142, v2
	;; [unrolled: 1-line block ×4, first 2 shown]
	s_barrier
	buffer_gl0_inv
.LBB212_5:                              ;   in Loop: Header=BB212_6 Depth=1
	v_add_co_u32 v68, s1, 0x90, v68
	v_add_co_ci_u32_e64 v69, null, 0, v69, s1
	v_add_co_u32 v70, s1, 0x90, v70
	v_add_co_ci_u32_e64 v71, null, 0, v71, s1
	;; [unrolled: 2-line block ×20, first 2 shown]
	v_add_co_u32 v106, s1, 0x90, v106
	v_add_nc_u32_e32 v50, 8, v50
	v_add_nc_u32_e32 v55, 8, v55
	;; [unrolled: 1-line block ×3, first 2 shown]
	v_add_co_ci_u32_e64 v107, null, 0, v107, s1
	s_add_i32 s18, s18, -1
	s_addk_i32 s4, 0x100
	s_cmp_eq_u32 s18, 0
	s_cbranch_scc1 .LBB212_17
.LBB212_6:                              ; =>This Inner Loop Header: Depth=1
	v_add_co_u32 v1, s1, v68, s8
	v_add_co_ci_u32_e64 v2, null, s12, v69, s1
	v_add_co_u32 v3, s1, v70, s8
	v_add_co_ci_u32_e64 v4, null, s12, v71, s1
	;; [unrolled: 2-line block ×5, first 2 shown]
	global_load_dword v11, v[1:2], off
	global_load_dword v12, v[3:4], off
	;; [unrolled: 1-line block ×4, first 2 shown]
	v_add_co_u32 v1, s1, v78, s8
	v_add_co_ci_u32_e64 v2, null, s12, v79, s1
	v_add_co_u32 v3, s1, v80, s8
	v_add_co_ci_u32_e64 v4, null, s12, v81, s1
	;; [unrolled: 2-line block ×4, first 2 shown]
	global_load_dword v15, v[9:10], off
	global_load_dword v16, v[1:2], off
	;; [unrolled: 1-line block ×5, first 2 shown]
	v_add_co_u32 v1, s1, v86, s8
	v_add_co_ci_u32_e64 v2, null, s12, v87, s1
	v_add_co_u32 v3, s1, v88, s8
	v_add_co_ci_u32_e64 v4, null, s12, v89, s1
	;; [unrolled: 2-line block ×5, first 2 shown]
	global_load_dword v20, v[1:2], off
	global_load_dword v42, v[3:4], off
	global_load_dword v43, v[5:6], off
	global_load_dword v44, v[7:8], off
	global_load_dword v45, v[9:10], off
	v_add_co_u32 v1, s1, v102, s8
	v_add_co_ci_u32_e64 v2, null, s12, v103, s1
	v_add_co_u32 v3, s1, v100, s8
	v_add_co_ci_u32_e64 v4, null, s12, v101, s1
	;; [unrolled: 2-line block ×4, first 2 shown]
	global_load_dword v46, v[1:2], off
	global_load_dword v47, v[3:4], off
	;; [unrolled: 1-line block ×4, first 2 shown]
	v_add_co_u32 v9, s1, v96, s8
	v_add_co_ci_u32_e64 v10, null, s12, v97, s1
	v_add_co_u32 v1, s1, v98, s8
	v_add_co_ci_u32_e64 v2, null, s12, v99, s1
	;; [unrolled: 2-line block ×3, first 2 shown]
	global_load_dword v7, v[9:10], off
	global_load_dword v1, v[1:2], off
	;; [unrolled: 1-line block ×3, first 2 shown]
	s_add_i32 s1, s4, 0xffffff80
	s_waitcnt vmcnt(20)
	ds_write_b32 v21, v11
	s_waitcnt vmcnt(19)
	ds_write_b32 v22, v12
	;; [unrolled: 2-line block ×10, first 2 shown]
	s_cmp_lt_i32 s1, s9
	s_waitcnt vmcnt(10)
	ds_write_b32 v31, v42
	s_waitcnt vmcnt(9)
	ds_write_b32 v32, v43
	;; [unrolled: 2-line block ×4, first 2 shown]
	s_waitcnt vmcnt(6)
	v_ashrrev_i32_e32 v3, v56, v46
	s_waitcnt vmcnt(4)
	v_ashrrev_i32_e32 v4, v56, v5
	v_ashrrev_i32_e32 v5, v60, v47
	s_waitcnt vmcnt(3)
	v_ashrrev_i32_e32 v6, v60, v6
	v_and_b32_e32 v3, 0xf0f0f0f, v3
	v_and_b32_e32 v4, 0xf0f0f0f, v4
	v_and_or_b32 v3, 0x30303030, v5, v3
	v_and_or_b32 v4, 0x30303030, v6, v4
	s_waitcnt vmcnt(2)
	ds_write_b32 v35, v7
	s_waitcnt vmcnt(1)
	ds_write_b32 v36, v1
	s_waitcnt vmcnt(0)
	ds_write_b32 v49, v2
	ds_write_b32 v57, v3
	ds_write_b32 v58, v4
	s_cbranch_scc0 .LBB212_5
; %bb.7:                                ;   in Loop: Header=BB212_6 Depth=1
	v_cmp_gt_i32_e64 s1, s10, v55
	s_and_b32 s5, s0, s1
	s_and_saveexec_b32 s1, s5
	s_cbranch_execz .LBB212_9
; %bb.8:                                ;   in Loop: Header=BB212_6 Depth=1
	v_add_nc_u32_e32 v1, v67, v55
	v_mad_i64_i32 v[1:2], null, v1, 36, v[37:38]
	global_load_dword v1, v[1:2], off offset:4
	s_waitcnt vmcnt(0)
	ds_write_b32 v61, v1
.LBB212_9:                              ;   in Loop: Header=BB212_6 Depth=1
	s_or_b32 exec_lo, exec_lo, s1
	v_cmp_gt_i32_e64 s1, s10, v115
	s_and_b32 s5, s19, s1
	s_and_saveexec_b32 s1, s5
	s_cbranch_execz .LBB212_11
; %bb.10:                               ;   in Loop: Header=BB212_6 Depth=1
	v_add_nc_u32_e32 v1, v67, v115
	v_mad_i64_i32 v[1:2], null, v1, 36, s[6:7]
	global_load_dword v1, v[1:2], off
	s_waitcnt vmcnt(0)
	ds_write_b32 v108, v1
.LBB212_11:                             ;   in Loop: Header=BB212_6 Depth=1
	s_or_b32 exec_lo, exec_lo, s1
	s_waitcnt lgkmcnt(0)
	s_barrier
	buffer_gl0_inv
	ds_read2_b32 v[44:45], v109 offset1:1
	ds_read_b128 v[17:20], v59
	ds_read_b128 v[9:12], v59 offset:16
	ds_read2_b32 v[46:47], v109 offset0:2 offset1:3
	ds_read_b128 v[13:16], v59 offset:32
	ds_read_b128 v[5:8], v59 offset:48
	ds_read2_b32 v[123:124], v109 offset0:4 offset1:5
	ds_read_b32 v119, v51
	v_mov_b32_e32 v125, 0
	ds_read2_b32 v[128:129], v109 offset0:6 offset1:7
	ds_read2_b32 v[42:43], v63 offset1:2
	v_mov_b32_e32 v126, 0
	ds_read2_b32 v[130:131], v112 offset1:1
	ds_read_b128 v[1:4], v62 offset:20560
	ds_read_b32 v120, v52 offset:128
	ds_read2_b32 v[132:133], v111 offset1:1
	v_mov_b32_e32 v127, 0
	ds_read_b32 v121, v53 offset:256
	ds_read_b32 v122, v54 offset:384
	ds_read2_b32 v[134:135], v109 offset0:8 offset1:9
	v_mov_b32_e32 v149, 0
	v_mov_b32_e32 v151, 0
	v_add_nc_u32_e32 v146, 0x3180, v109
	v_mov_b32_e32 v153, 0
	v_mov_b32_e32 v156, 0
	s_cmp_ge_i32 s4, s9
	s_waitcnt lgkmcnt(16)
	v_and_b32_e32 v136, 0xf0f0f0f, v44
	v_lshrrev_b32_e32 v44, 4, v44
	v_and_b32_e32 v137, 0xf0f0f0f, v45
	v_lshrrev_b32_e32 v45, 4, v45
	s_waitcnt lgkmcnt(13)
	v_and_b32_e32 v138, 0xf0f0f0f, v47
	v_dot4c_i32_i8 v125, v136, v17
	v_and_b32_e32 v44, 0xf0f0f0f, v44
	v_and_b32_e32 v136, 0xf0f0f0f, v46
	v_lshrrev_b32_e32 v46, 4, v46
	v_and_b32_e32 v45, 0xf0f0f0f, v45
	v_dot4c_i32_i8 v125, v137, v18
	s_waitcnt lgkmcnt(12)
	v_dot4c_i32_i8 v126, v44, v13
	v_lshrrev_b32_e32 v47, 4, v47
	v_and_b32_e32 v46, 0xf0f0f0f, v46
	s_waitcnt lgkmcnt(10)
	v_and_b32_e32 v139, 0xf0f0f0f, v123
	v_dot4c_i32_i8 v125, v136, v19
	v_dot4c_i32_i8 v126, v45, v14
	v_lshrrev_b32_e32 v45, 4, v123
	v_and_b32_e32 v47, 0xf0f0f0f, v47
	v_and_b32_e32 v137, 0xf0f0f0f, v124
	v_dot4c_i32_i8 v125, v138, v20
	v_dot4c_i32_i8 v126, v46, v15
	v_lshrrev_b32_e32 v123, 4, v124
	s_waitcnt lgkmcnt(3)
	v_and_b32_e32 v46, 0xf0f0f0f, v132
	v_and_b32_e32 v124, 0xf0f0f0f, v45
	v_dot4c_i32_i8 v125, v139, v9
	v_dot4c_i32_i8 v126, v47, v16
	v_and_b32_e32 v47, 0xf0f0f0f, v133
	v_dot4c_i32_i8 v127, v46, v17
	ds_read2_b32 v[45:46], v113 offset1:1
	v_and_b32_e32 v123, 0xf0f0f0f, v123
	v_dot4c_i32_i8 v126, v124, v5
	v_lshrrev_b32_e32 v124, 4, v128
	v_and_b32_e32 v44, 0xf0f0f0f, v128
	v_dot4c_i32_i8 v125, v137, v10
	v_dot4c_i32_i8 v127, v47, v18
	;; [unrolled: 1-line block ×3, first 2 shown]
	v_and_b32_e32 v47, 0xf0f0f0f, v124
	v_lshrrev_b32_e32 v123, 4, v129
	v_lshrrev_b32_e32 v124, 4, v132
	v_dot4c_i32_i8 v125, v44, v11
	v_add_nc_u32_e32 v44, 0x2100, v109
	ds_read2_b32 v[136:137], v114 offset1:1
	ds_read2_b32 v[138:139], v44 offset1:1
	v_and_b32_e32 v44, 0xf0f0f0f, v130
	v_dot4c_i32_i8 v126, v47, v7
	v_and_b32_e32 v47, 0xf0f0f0f, v123
	v_and_b32_e32 v123, 0xf0f0f0f, v124
	v_lshrrev_b32_e32 v124, 4, v133
	v_dot4c_i32_i8 v127, v44, v19
	v_and_b32_e32 v44, 0xf0f0f0f, v131
	v_dot4c_i32_i8 v126, v47, v8
	v_dot4c_i32_i8 v149, v123, v13
	v_and_b32_e32 v47, 0xf0f0f0f, v124
	v_lshrrev_b32_e32 v123, 4, v130
	v_dot4c_i32_i8 v127, v44, v20
	s_waitcnt lgkmcnt(2)
	v_and_b32_e32 v44, 0xf0f0f0f, v45
	v_lshrrev_b32_e32 v124, 4, v131
	v_dot4c_i32_i8 v149, v47, v14
	v_and_b32_e32 v47, 0xf0f0f0f, v123
	v_and_b32_e32 v140, 0xf0f0f0f, v129
	v_dot4c_i32_i8 v127, v44, v9
	v_and_b32_e32 v44, 0xf0f0f0f, v46
	v_lshrrev_b32_e32 v142, 4, v45
	v_dot4c_i32_i8 v149, v47, v15
	v_and_b32_e32 v47, 0xf0f0f0f, v124
	v_add_nc_u32_e32 v124, 0x2108, v109
	v_dot4c_i32_i8 v125, v140, v12
	v_dot4c_i32_i8 v127, v44, v10
	s_waitcnt lgkmcnt(1)
	v_and_b32_e32 v44, 0xf0f0f0f, v136
	ds_read2_b32 v[128:129], v109 offset0:10 offset1:11
	ds_read2_b32 v[130:131], v109 offset0:12 offset1:13
	;; [unrolled: 1-line block ×3, first 2 shown]
	v_dot4c_i32_i8 v149, v47, v16
	ds_read2_b32 v[140:141], v124 offset1:1
	v_and_b32_e32 v47, 0xf0f0f0f, v142
	v_dot4c_i32_i8 v127, v44, v11
	v_and_b32_e32 v143, 0xf0f0f0f, v137
	v_lshrrev_b32_e32 v46, 4, v46
	ds_read2_b32 v[44:45], v64 offset1:2
	v_dot4c_i32_i8 v149, v47, v5
	v_add_nc_u32_e32 v47, 0x2110, v109
	v_dot4c_i32_i8 v127, v143, v12
	v_and_b32_e32 v46, 0xf0f0f0f, v46
	v_lshrrev_b32_e32 v136, 4, v136
	v_cvt_f32_ubyte0_e32 v148, v43
	ds_read2_b32 v[142:143], v47 offset1:1
	s_waitcnt lgkmcnt(6)
	v_and_b32_e32 v124, 0xf0f0f0f, v138
	v_add_nc_u32_e32 v47, 0x2118, v109
	ds_read2_b32 v[144:145], v47 offset1:1
	ds_read2_b32 v[146:147], v146 offset1:1
	v_dot4c_i32_i8 v151, v124, v17
	v_and_b32_e32 v124, 0xf0f0f0f, v139
	s_waitcnt lgkmcnt(4)
	v_and_b32_e32 v47, 0xf0f0f0f, v140
	v_dot4c_i32_i8 v149, v46, v6
	v_and_b32_e32 v46, 0xf0f0f0f, v136
	v_lshrrev_b32_e32 v136, 4, v139
	v_dot4c_i32_i8 v151, v124, v18
	v_lshrrev_b32_e32 v124, 4, v138
	v_add_nc_u32_e32 v139, 0x3188, v109
	v_dot4c_i32_i8 v149, v46, v7
	v_lshrrev_b32_e32 v46, 4, v137
	v_dot4c_i32_i8 v151, v47, v19
	v_and_b32_e32 v47, 0xf0f0f0f, v141
	v_and_b32_e32 v124, 0xf0f0f0f, v124
	v_lshrrev_b32_e32 v137, 4, v141
	s_waitcnt lgkmcnt(2)
	v_and_b32_e32 v138, 0xf0f0f0f, v143
	v_lshrrev_b32_e32 v141, 4, v143
	v_dot4c_i32_i8 v151, v47, v20
	v_and_b32_e32 v47, 0xf0f0f0f, v142
	v_dot4c_i32_i8 v153, v124, v13
	v_and_b32_e32 v124, 0xf0f0f0f, v136
	v_lshrrev_b32_e32 v136, 4, v140
	v_and_b32_e32 v46, 0xf0f0f0f, v46
	v_dot4c_i32_i8 v151, v47, v9
	v_cvt_f32_ubyte1_e32 v150, v43
	v_dot4c_i32_i8 v153, v124, v14
	v_and_b32_e32 v136, 0xf0f0f0f, v136
	v_dot4c_i32_i8 v149, v46, v8
	v_dot4c_i32_i8 v151, v138, v10
	s_waitcnt lgkmcnt(1)
	v_and_b32_e32 v138, 0xf0f0f0f, v144
	ds_read2_b32 v[46:47], v65 offset1:2
	v_dot4c_i32_i8 v153, v136, v15
	v_and_b32_e32 v136, 0xf0f0f0f, v137
	v_lshrrev_b32_e32 v137, 4, v142
	v_dot4c_i32_i8 v151, v138, v11
	v_and_b32_e32 v138, 0xf0f0f0f, v145
	v_mov_b32_e32 v142, 0
	v_dot4c_i32_i8 v153, v136, v16
	v_and_b32_e32 v140, 0xf0f0f0f, v137
	ds_read2_b32 v[136:137], v139 offset1:1
	v_and_b32_e32 v139, 0xf0f0f0f, v141
	v_dot4c_i32_i8 v151, v138, v12
	v_add_nc_u32_e32 v138, 0x3190, v109
	v_dot4c_i32_i8 v153, v140, v5
	s_waitcnt lgkmcnt(2)
	v_and_b32_e32 v140, 0xf0f0f0f, v146
	v_lshrrev_b32_e32 v146, 4, v146
	v_add_nc_u32_e32 v141, 0x10a0, v109
	v_lshrrev_b32_e32 v144, 4, v144
	v_dot4c_i32_i8 v153, v139, v6
	ds_read2_b32 v[138:139], v138 offset1:1
	v_dot4c_i32_i8 v142, v140, v17
	v_and_b32_e32 v17, 0xf0f0f0f, v147
	v_add_nc_u32_e32 v140, 0x3198, v109
	v_and_b32_e32 v146, 0xf0f0f0f, v146
	v_lshrrev_b32_e32 v147, 4, v147
	v_and_b32_e32 v144, 0xf0f0f0f, v144
	v_dot4c_i32_i8 v142, v17, v18
	ds_read2_b32 v[17:18], v140 offset1:1
	ds_read2_b32 v[140:141], v141 offset1:1
	v_dot4c_i32_i8 v156, v146, v13
	s_waitcnt lgkmcnt(3)
	v_and_b32_e32 v155, 0xf0f0f0f, v136
	v_and_b32_e32 v13, 0xf0f0f0f, v147
	v_lshrrev_b32_e32 v136, 4, v136
	v_dot4c_i32_i8 v153, v144, v7
	v_cvt_f32_f16_sdwa v123, v119 dst_sel:DWORD dst_unused:UNUSED_PAD src0_sel:WORD_1
	v_dot4c_i32_i8 v142, v155, v19
	v_and_b32_e32 v19, 0xf0f0f0f, v137
	v_dot4c_i32_i8 v156, v13, v14
	v_and_b32_e32 v13, 0xf0f0f0f, v136
	v_lshrrev_b32_e32 v14, 4, v137
	ds_read2_b32 v[136:137], v66 offset1:2
	v_dot4c_i32_i8 v142, v19, v20
	s_waitcnt lgkmcnt(3)
	v_and_b32_e32 v19, 0xf0f0f0f, v138
	v_dot4c_i32_i8 v156, v13, v15
	v_and_b32_e32 v13, 0xf0f0f0f, v14
	v_lshrrev_b32_e32 v14, 4, v138
	v_lshrrev_b32_e32 v20, 4, v145
	v_dot4c_i32_i8 v142, v19, v9
	v_and_b32_e32 v9, 0xf0f0f0f, v139
	v_dot4c_i32_i8 v156, v13, v16
	v_lshrrev_b32_e32 v13, 4, v139
	v_and_b32_e32 v15, 0xf0f0f0f, v20
	v_cvt_f32_ubyte0_e32 v152, v45
	v_dot4c_i32_i8 v142, v9, v10
	v_and_b32_e32 v10, 0xf0f0f0f, v14
	s_waitcnt lgkmcnt(2)
	v_and_b32_e32 v9, 0xf0f0f0f, v17
	v_dot4c_i32_i8 v153, v15, v8
	v_cvt_f32_ubyte1_e32 v154, v45
	v_cvt_f32_ubyte0_e32 v143, v47
	v_dot4c_i32_i8 v156, v10, v5
	v_and_b32_e32 v5, 0xff, v42
	v_and_b32_e32 v10, 0xf0f0f0f, v13
	v_bfe_u32 v13, v42, 8, 8
	v_dot4c_i32_i8 v142, v9, v11
	v_lshrrev_b32_e32 v11, 4, v17
	v_mul_lo_u32 v5, v125, v5
	v_dot4c_i32_i8 v156, v10, v6
	v_mul_lo_u32 v10, v126, v13
	v_and_b32_e32 v9, 0xf0f0f0f, v18
	v_and_b32_e32 v6, 0xf0f0f0f, v11
	v_cvt_f32_f16_sdwa v124, v120 dst_sel:DWORD dst_unused:UNUSED_PAD src0_sel:WORD_1
	v_cvt_f32_ubyte1_e32 v11, v47
	v_fma_mix_f32 v13, v1, v143, 0 op_sel:[1,0,0] op_sel_hi:[1,0,0]
	v_cvt_f32_i32_e32 v5, v5
	v_dot4c_i32_i8 v156, v6, v7
	v_fma_mix_f32 v6, v1, v148, 0 op_sel:[1,0,0] op_sel_hi:[1,0,0]
	v_lshrrev_b32_e32 v7, 4, v18
	v_dot4c_i32_i8 v142, v9, v12
	v_cvt_f32_i32_e32 v9, v10
	v_and_b32_e32 v10, 0xff, v44
	v_fma_mix_f32 v5, v1, v5, 0 op_sel_hi:[1,0,0]
	v_fma_mix_f32 v6, v2, v150, v6 op_sel:[1,0,0] op_sel_hi:[1,0,0]
	v_and_b32_e32 v7, 0xf0f0f0f, v7
	v_bfe_u32 v12, v44, 8, 8
	v_mul_lo_u32 v10, v127, v10
	v_fma_mix_f32 v5, v2, v9, v5 op_sel_hi:[1,0,0]
	v_mul_f32_e32 v6, v6, v123
	v_dot4c_i32_i8 v156, v7, v8
	v_and_b32_e32 v7, 0xff, v46
	v_mul_lo_u32 v9, v149, v12
	v_fma_mix_f32 v8, v1, v152, 0 op_sel:[1,0,0] op_sel_hi:[1,0,0]
	v_fma_mix_f32 v5, v5, v119, -v6 op_sel_hi:[0,1,0]
	v_cvt_f32_i32_e32 v6, v10
	v_bfe_u32 v10, v46, 8, 8
	v_mul_lo_u32 v7, v151, v7
	v_fma_mix_f32 v8, v2, v154, v8 op_sel:[1,0,0] op_sel_hi:[1,0,0]
	v_add_f32_e32 v118, v118, v5
	v_cvt_f32_i32_e32 v9, v9
	v_mul_lo_u32 v10, v153, v10
	v_fma_mix_f32 v6, v1, v6, 0 op_sel_hi:[1,0,0]
	v_mul_f32_e32 v14, v8, v124
	v_fma_mix_f32 v11, v2, v11, v13 op_sel:[1,0,0] op_sel_hi:[1,0,0]
	v_cvt_f32_i32_e32 v12, v7
	s_waitcnt lgkmcnt(0)
	v_and_b32_e32 v13, 0xff, v136
	v_fma_mix_f32 v9, v2, v9, v6 op_sel_hi:[1,0,0]
	ds_read_b128 v[5:8], v59 offset:64
	v_cvt_f32_i32_e32 v10, v10
	v_fma_mix_f32 v12, v1, v12, 0 op_sel_hi:[1,0,0]
	v_cvt_f32_f16_sdwa v138, v121 dst_sel:DWORD dst_unused:UNUSED_PAD src0_sel:WORD_1
	v_fma_mix_f32 v9, v9, v120, -v14 op_sel_hi:[0,1,0]
	v_and_b32_e32 v19, 0xf0f0f0f, v134
	v_mov_b32_e32 v145, 0
	v_fma_mix_f32 v10, v2, v10, v12 op_sel_hi:[1,0,0]
	v_mul_lo_u32 v12, v142, v13
	v_mul_f32_e32 v11, v11, v138
	v_add_f32_e32 v142, v117, v9
	v_bfe_u32 v9, v136, 8, 8
	v_cvt_f32_ubyte0_e32 v17, v137
	v_and_b32_e32 v125, 0xf0f0f0f, v129
	v_fma_mix_f32 v18, v10, v121, -v11 op_sel_hi:[0,1,0]
	v_lshrrev_b32_e32 v127, 4, v135
	v_mul_lo_u32 v20, v156, v9
	v_cvt_f32_i32_e32 v117, v12
	ds_read_b128 v[9:12], v59 offset:80
	ds_read_b128 v[13:16], v59 offset:96
	v_add_f32_e32 v146, v116, v18
	s_waitcnt lgkmcnt(2)
	v_dot4c_i32_i8 v145, v19, v5
	v_and_b32_e32 v19, 0xf0f0f0f, v135
	v_cvt_f32_f16_sdwa v135, v122 dst_sel:DWORD dst_unused:UNUSED_PAD src0_sel:WORD_1
	v_mov_b32_e32 v149, 0
	v_cvt_f32_i32_e32 v18, v20
	v_fma_mix_f32 v20, v1, v117, 0 op_sel_hi:[1,0,0]
	v_dot4c_i32_i8 v145, v19, v6
	v_and_b32_e32 v19, 0xf0f0f0f, v128
	v_fma_mix_f32 v1, v1, v17, 0 op_sel:[1,0,0] op_sel_hi:[1,0,0]
	v_lshrrev_b32_e32 v17, 4, v134
	v_mov_b32_e32 v134, 0
	v_cvt_f32_ubyte1_e32 v117, v137
	v_dot4c_i32_i8 v145, v19, v7
	v_fma_mix_f32 v116, v2, v18, v20 op_sel_hi:[1,0,0]
	v_and_b32_e32 v126, 0xf0f0f0f, v17
	ds_read_b128 v[17:20], v59 offset:112
	v_fma_mix_f32 v1, v2, v117, v1 op_sel:[1,0,0] op_sel_hi:[1,0,0]
	v_dot4c_i32_i8 v145, v125, v8
	v_and_b32_e32 v125, 0xf0f0f0f, v130
	s_waitcnt lgkmcnt(1)
	v_dot4c_i32_i8 v134, v126, v13
	v_and_b32_e32 v126, 0xf0f0f0f, v127
	v_lshrrev_b32_e32 v127, 4, v128
	v_and_b32_e32 v2, 0xf0f0f0f, v131
	v_dot4c_i32_i8 v145, v125, v9
	v_lshrrev_b32_e32 v125, 4, v129
	v_dot4c_i32_i8 v134, v126, v14
	v_and_b32_e32 v117, 0xf0f0f0f, v127
	v_mul_f32_e32 v1, v1, v135
	v_dot4c_i32_i8 v145, v2, v10
	v_and_b32_e32 v2, 0xf0f0f0f, v132
	v_lshrrev_b32_e32 v126, 4, v131
	v_dot4c_i32_i8 v134, v117, v15
	v_and_b32_e32 v117, 0xf0f0f0f, v125
	v_lshrrev_b32_e32 v125, 4, v130
	v_dot4c_i32_i8 v145, v2, v11
	v_and_b32_e32 v2, 0xf0f0f0f, v133
	v_fma_mix_f32 v148, v116, v122, -v1 op_sel_hi:[0,1,0]
	v_dot4c_i32_i8 v134, v117, v16
	v_add_nc_u32_e32 v117, 0x10a8, v109
	v_and_b32_e32 v125, 0xf0f0f0f, v125
	v_dot4c_i32_i8 v145, v2, v12
	v_and_b32_e32 v116, 0xf0f0f0f, v126
	v_add_nc_u32_e32 v126, 0x10b0, v109
	ds_read2_b32 v[1:2], v117 offset1:1
	s_waitcnt lgkmcnt(1)
	v_dot4c_i32_i8 v134, v125, v17
	v_lshrrev_b32_e32 v117, 4, v132
	v_and_b32_e32 v125, 0xf0f0f0f, v140
	v_lshrrev_b32_e32 v129, 4, v140
	v_lshrrev_b32_e32 v131, 4, v133
	v_dot4c_i32_i8 v134, v116, v18
	v_and_b32_e32 v127, 0xf0f0f0f, v117
	ds_read2_b32 v[116:117], v126 offset1:1
	v_dot4c_i32_i8 v149, v125, v5
	v_and_b32_e32 v125, 0xf0f0f0f, v141
	v_add_nc_u32_e32 v126, 0x10b8, v109
	v_and_b32_e32 v129, 0xf0f0f0f, v129
	v_mov_b32_e32 v133, 0
	v_lshrrev_b32_e32 v132, 4, v141
	v_dot4c_i32_i8 v149, v125, v6
	v_add_nc_u32_e32 v128, 0x2120, v109
	v_dot4c_i32_i8 v134, v127, v19
	ds_read2_b32 v[125:126], v126 offset1:1
	ds_read2_b32 v[127:128], v128 offset1:1
	s_waitcnt lgkmcnt(3)
	v_and_b32_e32 v130, 0xf0f0f0f, v1
	v_dot4c_i32_i8 v133, v129, v13
	v_and_b32_e32 v129, 0xf0f0f0f, v132
	v_lshrrev_b32_e32 v1, 4, v1
	v_and_b32_e32 v131, 0xf0f0f0f, v131
	v_dot4c_i32_i8 v149, v130, v7
	v_and_b32_e32 v130, 0xf0f0f0f, v2
	v_dot4c_i32_i8 v133, v129, v14
	v_and_b32_e32 v1, 0xf0f0f0f, v1
	v_lshrrev_b32_e32 v2, 4, v2
	v_dot4c_i32_i8 v134, v131, v20
	v_dot4c_i32_i8 v149, v130, v8
	s_waitcnt lgkmcnt(2)
	v_and_b32_e32 v130, 0xf0f0f0f, v116
	v_dot4c_i32_i8 v133, v1, v15
	v_and_b32_e32 v131, 0xf0f0f0f, v2
	v_lshrrev_b32_e32 v116, 4, v116
	v_and_b32_e32 v129, 0xf0f0f0f, v117
	v_dot4c_i32_i8 v149, v130, v9
	v_add_nc_u32_e32 v130, 0x2128, v109
	v_dot4c_i32_i8 v133, v131, v16
	v_and_b32_e32 v116, 0xf0f0f0f, v116
	v_mov_b32_e32 v140, 0
	v_dot4c_i32_i8 v149, v129, v10
	ds_read2_b32 v[1:2], v130 offset1:1
	v_add_nc_u32_e32 v130, 0x2130, v109
	s_waitcnt lgkmcnt(1)
	v_and_b32_e32 v129, 0xf0f0f0f, v127
	v_dot4c_i32_i8 v133, v116, v17
	v_lshrrev_b32_e32 v131, 4, v117
	v_add_nc_u32_e32 v132, 0x31a0, v109
	ds_read2_b32 v[116:117], v130 offset1:1
	v_dot4c_i32_i8 v140, v129, v5
	v_and_b32_e32 v129, 0xf0f0f0f, v128
	v_add_nc_u32_e32 v130, 0x2138, v109
	v_and_b32_e32 v141, 0xf0f0f0f, v125
	v_and_b32_e32 v151, 0xf0f0f0f, v131
	v_lshrrev_b32_e32 v125, 4, v125
	v_dot4c_i32_i8 v140, v129, v6
	ds_read2_b32 v[129:130], v130 offset1:1
	ds_read2_b32 v[131:132], v132 offset1:1
	v_lshrrev_b32_e32 v127, 4, v127
	v_dot4c_i32_i8 v133, v151, v18
	v_and_b32_e32 v125, 0xf0f0f0f, v125
	v_dot4c_i32_i8 v149, v141, v11
	v_and_b32_e32 v141, 0xf0f0f0f, v126
	s_waitcnt lgkmcnt(3)
	v_and_b32_e32 v152, 0xf0f0f0f, v1
	v_and_b32_e32 v151, 0xf0f0f0f, v2
	v_dot4c_i32_i8 v133, v125, v19
	v_lshrrev_b32_e32 v126, 4, v126
	v_and_b32_e32 v127, 0xf0f0f0f, v127
	v_dot4c_i32_i8 v140, v152, v7
	s_waitcnt lgkmcnt(2)
	v_and_b32_e32 v125, 0xf0f0f0f, v116
	v_lshrrev_b32_e32 v128, 4, v128
	v_and_b32_e32 v126, 0xf0f0f0f, v126
	v_lshrrev_b32_e32 v1, 4, v1
	v_dot4c_i32_i8 v140, v151, v8
	v_mov_b32_e32 v151, 0
	v_lshrrev_b32_e32 v2, 4, v2
	v_dot4c_i32_i8 v133, v126, v20
	v_and_b32_e32 v1, 0xf0f0f0f, v1
	v_dot4c_i32_i8 v140, v125, v9
	v_and_b32_e32 v125, 0xf0f0f0f, v117
	;; [unrolled: 2-line block ×3, first 2 shown]
	v_add_nc_u32_e32 v126, 0x31a8, v109
	v_lshrrev_b32_e32 v116, 4, v116
	v_dot4c_i32_i8 v140, v125, v10
	s_waitcnt lgkmcnt(1)
	v_and_b32_e32 v125, 0xf0f0f0f, v129
	v_dot4c_i32_i8 v151, v127, v14
	v_and_b32_e32 v127, 0xf0f0f0f, v2
	v_and_b32_e32 v116, 0xf0f0f0f, v116
	v_lshrrev_b32_e32 v117, 4, v117
	v_dot4c_i32_i8 v140, v125, v11
	v_and_b32_e32 v125, 0xf0f0f0f, v130
	v_dot4c_i32_i8 v151, v1, v15
	ds_read2_b32 v[1:2], v126 offset1:1
	v_mov_b32_e32 v126, 0
	v_and_b32_e32 v128, 0xf0f0f0f, v117
	v_dot4c_i32_i8 v140, v125, v12
	v_dot4c_i32_i8 v151, v127, v16
	s_waitcnt lgkmcnt(1)
	v_and_b32_e32 v125, 0xf0f0f0f, v131
	v_add_nc_u32_e32 v127, 0x31b0, v109
	v_lshrrev_b32_e32 v129, 4, v129
	v_lshrrev_b32_e32 v139, 24, v42
	v_dot4c_i32_i8 v151, v116, v17
	v_dot4c_i32_i8 v126, v125, v5
	ds_read2_b32 v[116:117], v127 offset1:1
	v_and_b32_e32 v5, 0xf0f0f0f, v132
	v_add_nc_u32_e32 v125, 0x31b8, v109
	v_dot4c_i32_i8 v151, v128, v18
	v_and_b32_e32 v128, 0xf0f0f0f, v129
	v_mov_b32_e32 v129, 0
	v_dot4c_i32_i8 v126, v5, v6
	ds_read2_b32 v[5:6], v125 offset1:1
	v_lshrrev_b32_e32 v127, 4, v131
	s_waitcnt lgkmcnt(2)
	v_and_b32_e32 v125, 0xf0f0f0f, v1
	v_lshrrev_b32_e32 v131, 4, v132
	v_lshrrev_b32_e32 v1, 4, v1
	v_dot4c_i32_i8 v149, v141, v12
	v_and_b32_e32 v127, 0xf0f0f0f, v127
	v_dot4c_i32_i8 v126, v125, v7
	v_and_b32_e32 v7, 0xf0f0f0f, v2
	v_and_b32_e32 v1, 0xf0f0f0f, v1
	v_lshrrev_b32_e32 v2, 4, v2
	v_dot4c_i32_i8 v129, v127, v13
	v_and_b32_e32 v13, 0xf0f0f0f, v131
	v_dot4c_i32_i8 v126, v7, v8
	s_waitcnt lgkmcnt(1)
	v_and_b32_e32 v7, 0xf0f0f0f, v116
	v_lshrrev_b32_e32 v143, 24, v44
	v_lshrrev_b32_e32 v125, 4, v130
	v_dot4c_i32_i8 v129, v13, v14
	v_dot4c_i32_i8 v151, v128, v19
	;; [unrolled: 1-line block ×3, first 2 shown]
	v_and_b32_e32 v7, 0xf0f0f0f, v117
	v_and_b32_e32 v8, 0xf0f0f0f, v125
	v_dot4c_i32_i8 v129, v1, v15
	v_and_b32_e32 v1, 0xf0f0f0f, v2
	v_lshrrev_b32_e32 v2, 4, v116
	v_dot4c_i32_i8 v126, v7, v10
	s_waitcnt lgkmcnt(0)
	v_and_b32_e32 v7, 0xf0f0f0f, v5
	v_bfe_u32 v10, v42, 16, 8
	v_dot4c_i32_i8 v129, v1, v16
	v_and_b32_e32 v1, 0xf0f0f0f, v2
	v_lshrrev_b32_e32 v2, 4, v117
	v_dot4c_i32_i8 v126, v7, v11
	v_and_b32_e32 v7, 0xf0f0f0f, v6
	v_lshrrev_b32_e32 v6, 4, v6
	;; [unrolled: 3-line block ×3, first 2 shown]
	v_mul_lo_u32 v5, v145, v10
	v_dot4c_i32_i8 v126, v7, v12
	v_bfe_u32 v7, v44, 16, 8
	v_dot4c_i32_i8 v129, v1, v18
	v_mul_lo_u32 v1, v134, v139
	v_and_b32_e32 v2, 0xf0f0f0f, v2
	v_mul_lo_u32 v11, v133, v143
	v_bfe_u32 v12, v136, 16, 8
	v_cvt_f32_i32_e32 v5, v5
	v_cvt_f32_ubyte2_e32 v150, v43
	v_dot4c_i32_i8 v129, v2, v19
	v_and_b32_e32 v2, 0xf0f0f0f, v6
	v_mul_lo_u32 v6, v149, v7
	v_cvt_f32_i32_e32 v1, v1
	v_fma_mix_f32 v5, v3, v5, 0 op_sel_hi:[1,0,0]
	v_lshrrev_b32_e32 v144, 24, v46
	v_lshrrev_b32_e32 v147, 24, v136
	v_dot4c_i32_i8 v151, v8, v20
	v_dot4c_i32_i8 v129, v2, v20
	v_fma_mix_f32 v1, v4, v1, v5 op_sel_hi:[1,0,0]
	v_cvt_f32_i32_e32 v5, v6
	v_bfe_u32 v6, v46, 16, 8
	v_cvt_f32_i32_e32 v11, v11
	v_mul_lo_u32 v12, v126, v12
	v_cvt_f32_ubyte3_e32 v43, v43
	v_fma_mix_f32 v5, v3, v5, 0 op_sel_hi:[1,0,0]
	v_mul_lo_u32 v6, v140, v6
	v_cvt_f32_ubyte2_e32 v141, v45
	v_cvt_f32_ubyte2_e32 v9, v47
	v_fma_mix_f32 v7, v3, v150, 0 op_sel:[1,0,0] op_sel_hi:[1,0,0]
	v_cvt_f32_ubyte2_e32 v10, v137
	v_mul_lo_u32 v13, v151, v144
	v_fma_mix_f32 v5, v4, v11, v5 op_sel_hi:[1,0,0]
	v_mul_lo_u32 v11, v129, v147
	v_cvt_f32_ubyte3_e32 v45, v45
	v_cvt_f32_ubyte3_e32 v8, v47
	v_fma_mix_f32 v2, v4, v43, v7 op_sel:[1,0,0] op_sel_hi:[1,0,0]
	v_fma_mix_f32 v7, v3, v141, 0 op_sel:[1,0,0] op_sel_hi:[1,0,0]
	;; [unrolled: 1-line block ×3, first 2 shown]
	v_cvt_f32_i32_e32 v6, v6
	v_cvt_f32_i32_e32 v12, v12
	v_fma_mix_f32 v10, v3, v10, 0 op_sel:[1,0,0] op_sel_hi:[1,0,0]
	v_cvt_f32_ubyte3_e32 v14, v137
	v_fma_mix_f32 v7, v4, v45, v7 op_sel:[1,0,0] op_sel_hi:[1,0,0]
	v_cvt_f32_i32_e32 v13, v13
	v_fma_mix_f32 v6, v3, v6, 0 op_sel_hi:[1,0,0]
	v_fma_mix_f32 v8, v4, v8, v9 op_sel:[1,0,0] op_sel_hi:[1,0,0]
	v_cvt_f32_i32_e32 v9, v11
	v_fma_mix_f32 v3, v3, v12, 0 op_sel_hi:[1,0,0]
	v_fma_mix_f32 v10, v4, v14, v10 op_sel:[1,0,0] op_sel_hi:[1,0,0]
	v_mul_f32_e32 v2, v2, v123
	v_mul_f32_e32 v7, v7, v124
	v_fma_mix_f32 v6, v4, v13, v6 op_sel_hi:[1,0,0]
	v_mul_f32_e32 v8, v8, v138
	v_fma_mix_f32 v3, v4, v9, v3 op_sel_hi:[1,0,0]
	v_mul_f32_e32 v4, v10, v135
	v_add_f32_e32 v9, v39, v148
	v_fma_mix_f32 v1, v1, v119, -v2 op_sel_hi:[0,1,0]
	v_fma_mix_f32 v2, v5, v120, -v7 op_sel_hi:[0,1,0]
	;; [unrolled: 1-line block ×4, first 2 shown]
	v_add_f32_e32 v118, v118, v1
	v_add_f32_e32 v117, v142, v2
	;; [unrolled: 1-line block ×4, first 2 shown]
	s_barrier
	buffer_gl0_inv
	s_cbranch_scc1 .LBB212_5
; %bb.12:                               ;   in Loop: Header=BB212_6 Depth=1
	v_cmp_gt_i32_e64 s1, s10, v50
	s_and_b32 s5, s0, s1
	s_and_saveexec_b32 s1, s5
	s_cbranch_execz .LBB212_14
; %bb.13:                               ;   in Loop: Header=BB212_6 Depth=1
	v_add_nc_u32_e32 v1, v67, v50
	v_mad_i64_i32 v[1:2], null, v1, 36, v[37:38]
	global_load_dword v1, v[1:2], off offset:4
	s_waitcnt vmcnt(0)
	ds_write_b32 v61, v1
.LBB212_14:                             ;   in Loop: Header=BB212_6 Depth=1
	s_or_b32 exec_lo, exec_lo, s1
	s_and_saveexec_b32 s5, vcc_lo
	s_cbranch_execz .LBB212_4
; %bb.15:                               ;   in Loop: Header=BB212_6 Depth=1
	v_add_nc_u32_e32 v1, 4, v115
	v_cmp_gt_i32_e64 s1, s10, v1
	s_and_b32 s1, s0, s1
	s_and_b32 exec_lo, exec_lo, s1
	s_cbranch_execz .LBB212_4
; %bb.16:                               ;   in Loop: Header=BB212_6 Depth=1
	v_ashrrev_i32_e32 v1, 31, v115
	v_add_co_u32 v2, s1, v67, v115
	v_add_co_ci_u32_e64 v3, null, v110, v1, s1
	v_mad_u64_u32 v[1:2], null, v2, 36, s[6:7]
	v_mad_i32_i24 v2, v3, 36, v2
	global_load_dword v1, v[1:2], off offset:144
	s_waitcnt vmcnt(0)
	ds_write_b32 v108, v1
	s_branch .LBB212_4
.LBB212_17:
	s_mul_i32 s0, s14, s11
	s_waitcnt vmcnt(0)
	v_cmp_gt_i32_e32 vcc_lo, s0, v48
	s_and_saveexec_b32 s0, vcc_lo
	s_cbranch_execz .LBB212_26
; %bb.18:
	v_add_nc_u32_e32 v1, s15, v0
	v_mul_lo_u32 v0, v48, s13
	s_mov_b32 s0, exec_lo
	v_cmpx_gt_u32_e64 s13, v1
	s_cbranch_execz .LBB212_20
; %bb.19:
	v_add_nc_u32_e32 v2, v0, v1
	v_mov_b32_e32 v3, 0
	v_cvt_f16_f32_e32 v4, v118
	v_lshlrev_b64 v[2:3], 1, v[2:3]
	v_add_co_u32 v2, vcc_lo, s2, v2
	v_add_co_ci_u32_e64 v3, null, s3, v3, vcc_lo
	global_store_short v[2:3], v4, off
.LBB212_20:
	s_or_b32 exec_lo, exec_lo, s0
	v_add_nc_u32_e32 v2, 32, v1
	s_mov_b32 s0, exec_lo
	v_cmpx_gt_u32_e64 s13, v2
	s_cbranch_execz .LBB212_22
; %bb.21:
	v_add_nc_u32_e32 v2, v0, v2
	v_mov_b32_e32 v3, 0
	v_cvt_f16_f32_e32 v4, v117
	v_lshlrev_b64 v[2:3], 1, v[2:3]
	v_add_co_u32 v2, vcc_lo, s2, v2
	v_add_co_ci_u32_e64 v3, null, s3, v3, vcc_lo
	global_store_short v[2:3], v4, off
.LBB212_22:
	s_or_b32 exec_lo, exec_lo, s0
	v_add_nc_u32_e32 v2, 64, v1
	;; [unrolled: 14-line block ×3, first 2 shown]
	v_cmp_gt_u32_e32 vcc_lo, s13, v1
	s_and_b32 exec_lo, exec_lo, vcc_lo
	s_cbranch_execz .LBB212_26
; %bb.25:
	v_add_nc_u32_e32 v0, v0, v1
	v_mov_b32_e32 v1, 0
	v_cvt_f16_f32_e32 v2, v39
	v_lshlrev_b64 v[0:1], 1, v[0:1]
	v_add_co_u32 v0, vcc_lo, s2, v0
	v_add_co_ci_u32_e64 v1, null, s3, v1, vcc_lo
	global_store_short v[0:1], v2, off
.LBB212_26:
	s_endpgm
	.section	.rodata,"a",@progbits
	.p2align	6, 0x0
	.amdhsa_kernel _ZL8moe_q4_KIN3c104HalfELb1EEvPKvS3_PT_PKiS7_S7_iiiiiii
		.amdhsa_group_segment_fixed_size 20688
		.amdhsa_private_segment_fixed_size 0
		.amdhsa_kernarg_size 76
		.amdhsa_user_sgpr_count 6
		.amdhsa_user_sgpr_private_segment_buffer 1
		.amdhsa_user_sgpr_dispatch_ptr 0
		.amdhsa_user_sgpr_queue_ptr 0
		.amdhsa_user_sgpr_kernarg_segment_ptr 1
		.amdhsa_user_sgpr_dispatch_id 0
		.amdhsa_user_sgpr_flat_scratch_init 0
		.amdhsa_user_sgpr_private_segment_size 0
		.amdhsa_wavefront_size32 1
		.amdhsa_uses_dynamic_stack 0
		.amdhsa_system_sgpr_private_segment_wavefront_offset 0
		.amdhsa_system_sgpr_workgroup_id_x 1
		.amdhsa_system_sgpr_workgroup_id_y 1
		.amdhsa_system_sgpr_workgroup_id_z 0
		.amdhsa_system_sgpr_workgroup_info 0
		.amdhsa_system_vgpr_workitem_id 1
		.amdhsa_next_free_vgpr 157
		.amdhsa_next_free_sgpr 20
		.amdhsa_reserve_vcc 1
		.amdhsa_reserve_flat_scratch 0
		.amdhsa_float_round_mode_32 0
		.amdhsa_float_round_mode_16_64 0
		.amdhsa_float_denorm_mode_32 3
		.amdhsa_float_denorm_mode_16_64 3
		.amdhsa_dx10_clamp 1
		.amdhsa_ieee_mode 1
		.amdhsa_fp16_overflow 0
		.amdhsa_workgroup_processor_mode 1
		.amdhsa_memory_ordered 1
		.amdhsa_forward_progress 1
		.amdhsa_shared_vgpr_count 0
		.amdhsa_exception_fp_ieee_invalid_op 0
		.amdhsa_exception_fp_denorm_src 0
		.amdhsa_exception_fp_ieee_div_zero 0
		.amdhsa_exception_fp_ieee_overflow 0
		.amdhsa_exception_fp_ieee_underflow 0
		.amdhsa_exception_fp_ieee_inexact 0
		.amdhsa_exception_int_div_zero 0
	.end_amdhsa_kernel
	.section	.text._ZL8moe_q4_KIN3c104HalfELb1EEvPKvS3_PT_PKiS7_S7_iiiiiii,"axG",@progbits,_ZL8moe_q4_KIN3c104HalfELb1EEvPKvS3_PT_PKiS7_S7_iiiiiii,comdat
.Lfunc_end212:
	.size	_ZL8moe_q4_KIN3c104HalfELb1EEvPKvS3_PT_PKiS7_S7_iiiiiii, .Lfunc_end212-_ZL8moe_q4_KIN3c104HalfELb1EEvPKvS3_PT_PKiS7_S7_iiiiiii
                                        ; -- End function
	.set _ZL8moe_q4_KIN3c104HalfELb1EEvPKvS3_PT_PKiS7_S7_iiiiiii.num_vgpr, 157
	.set _ZL8moe_q4_KIN3c104HalfELb1EEvPKvS3_PT_PKiS7_S7_iiiiiii.num_agpr, 0
	.set _ZL8moe_q4_KIN3c104HalfELb1EEvPKvS3_PT_PKiS7_S7_iiiiiii.numbered_sgpr, 20
	.set _ZL8moe_q4_KIN3c104HalfELb1EEvPKvS3_PT_PKiS7_S7_iiiiiii.num_named_barrier, 0
	.set _ZL8moe_q4_KIN3c104HalfELb1EEvPKvS3_PT_PKiS7_S7_iiiiiii.private_seg_size, 0
	.set _ZL8moe_q4_KIN3c104HalfELb1EEvPKvS3_PT_PKiS7_S7_iiiiiii.uses_vcc, 1
	.set _ZL8moe_q4_KIN3c104HalfELb1EEvPKvS3_PT_PKiS7_S7_iiiiiii.uses_flat_scratch, 0
	.set _ZL8moe_q4_KIN3c104HalfELb1EEvPKvS3_PT_PKiS7_S7_iiiiiii.has_dyn_sized_stack, 0
	.set _ZL8moe_q4_KIN3c104HalfELb1EEvPKvS3_PT_PKiS7_S7_iiiiiii.has_recursion, 0
	.set _ZL8moe_q4_KIN3c104HalfELb1EEvPKvS3_PT_PKiS7_S7_iiiiiii.has_indirect_call, 0
	.section	.AMDGPU.csdata,"",@progbits
; Kernel info:
; codeLenInByte = 11248
; TotalNumSgprs: 22
; NumVgprs: 157
; ScratchSize: 0
; MemoryBound: 0
; FloatMode: 240
; IeeeMode: 1
; LDSByteSize: 20688 bytes/workgroup (compile time only)
; SGPRBlocks: 0
; VGPRBlocks: 19
; NumSGPRsForWavesPerEU: 22
; NumVGPRsForWavesPerEU: 157
; Occupancy: 6
; WaveLimiterHint : 1
; COMPUTE_PGM_RSRC2:SCRATCH_EN: 0
; COMPUTE_PGM_RSRC2:USER_SGPR: 6
; COMPUTE_PGM_RSRC2:TRAP_HANDLER: 0
; COMPUTE_PGM_RSRC2:TGID_X_EN: 1
; COMPUTE_PGM_RSRC2:TGID_Y_EN: 1
; COMPUTE_PGM_RSRC2:TGID_Z_EN: 0
; COMPUTE_PGM_RSRC2:TIDIG_COMP_CNT: 1
	.section	.text._ZL8moe_q5_KIN3c104HalfELb0EEvPKvS3_PT_PKiS7_S7_iiiiiii,"axG",@progbits,_ZL8moe_q5_KIN3c104HalfELb0EEvPKvS3_PT_PKiS7_S7_iiiiiii,comdat
	.globl	_ZL8moe_q5_KIN3c104HalfELb0EEvPKvS3_PT_PKiS7_S7_iiiiiii ; -- Begin function _ZL8moe_q5_KIN3c104HalfELb0EEvPKvS3_PT_PKiS7_S7_iiiiiii
	.p2align	8
	.type	_ZL8moe_q5_KIN3c104HalfELb0EEvPKvS3_PT_PKiS7_S7_iiiiiii,@function
_ZL8moe_q5_KIN3c104HalfELb0EEvPKvS3_PT_PKiS7_S7_iiiiiii: ; @_ZL8moe_q5_KIN3c104HalfELb0EEvPKvS3_PT_PKiS7_S7_iiiiiii
; %bb.0:
	s_load_dwordx4 s[0:3], s[4:5], 0x18
	s_mov_b32 s8, s7
	s_mov_b32 s9, 0
	s_lshl_b64 s[10:11], s[8:9], 2
	s_waitcnt lgkmcnt(0)
	s_add_u32 s2, s2, s10
	s_addc_u32 s3, s3, s11
	s_load_dword s14, s[2:3], 0x0
	s_waitcnt lgkmcnt(0)
	s_cmpk_gt_u32 s14, 0xff
	s_cbranch_scc1 .LBB213_26
; %bb.1:
	s_load_dwordx2 s[2:3], s[4:5], 0x28
	s_waitcnt lgkmcnt(0)
	s_load_dword s3, s[2:3], 0x0
	s_lshl_b32 s2, s8, 3
	s_waitcnt lgkmcnt(0)
	s_cmp_gt_u32 s2, s3
	s_cbranch_scc1 .LBB213_26
; %bb.2:
	v_add_nc_u32_e32 v6, s2, v1
	v_mov_b32_e32 v7, 0
	s_lshl_b32 s16, s6, 7
	v_lshlrev_b64 v[2:3], 2, v[6:7]
	v_mov_b32_e32 v121, v7
	v_mov_b32_e32 v122, v7
	v_mov_b32_e32 v105, v7
	v_add_co_u32 v2, vcc_lo, s0, v2
	v_add_co_ci_u32_e64 v3, null, s1, v3, vcc_lo
	global_load_dword v12, v[2:3], off
	s_clause 0x2
	s_load_dwordx2 s[2:3], s[4:5], 0x30
	s_load_dwordx2 s[12:13], s[4:5], 0x10
	s_load_dwordx4 s[8:11], s[4:5], 0x3c
	s_waitcnt lgkmcnt(0)
	s_cmpk_lt_i32 s3, 0x100
	s_cbranch_scc1 .LBB213_17
; %bb.3:
	s_ashr_i32 s0, s3, 31
	s_mul_i32 s17, s14, s2
	s_lshr_b32 s0, s0, 24
	s_abs_i32 s2, s11
	s_add_i32 s0, s3, s0
	v_cvt_f32_u32_e32 v14, s2
	s_ashr_i32 s18, s0, 8
	v_and_b32_e32 v5, 7, v0
	s_lshl_b32 s0, s18, 3
	v_lshlrev_b32_e32 v7, 3, v0
	v_mad_i32_i24 v9, s18, v1, s0
	v_rcp_iflag_f32_e32 v21, v14
	v_lshlrev_b32_e32 v5, 2, v5
	s_ashr_i32 s1, s9, 31
	v_lshlrev_b32_e32 v4, 2, v0
	v_add_nc_u32_e32 v10, s0, v9
	v_lshl_add_u32 v8, v1, 5, v0
	v_and_b32_e32 v18, 3, v0
	v_and_or_b32 v5, 0xc0, v7, v5
	s_lshr_b32 s1, s1, 27
	v_add_nc_u32_e32 v45, s0, v10
	v_mul_f32_e32 v7, 0x4f7ffffe, v21
	s_add_i32 s1, s9, s1
	v_and_b32_e32 v15, 0x7f, v8
	v_and_b32_e32 v20, 4, v4
	v_add_nc_u32_e32 v49, s0, v45
	s_ashr_i32 s9, s1, 5
	v_cvt_u32_f32_e32 v7, v7
	v_cmp_lt_u32_e64 s1, 1, v18
	v_lshrrev_b32_e32 v3, 2, v0
	v_add_nc_u32_e32 v53, s0, v49
	v_lshlrev_b32_e32 v11, 3, v1
	s_sub_i32 s14, 0, s2
	v_add_nc_u32_e32 v17, 0xfe, v18
	v_mul_i32_i24_e32 v101, s18, v15
	v_lshlrev_b32_e32 v21, 2, v15
	v_cndmask_b32_e64 v15, 0, v20, s1
	v_mul_lo_u32 v20, s14, v7
	v_add_nc_u32_e32 v57, s0, v53
	v_mul_u32_u24_e32 v6, 0x41, v1
	v_add_nc_u32_e32 v16, v3, v11
	v_and_b32_e32 v23, 0xff, v17
	v_cmp_gt_u32_e32 vcc_lo, 2, v18
	v_add_nc_u32_e32 v61, s0, v57
	v_and_b32_e32 v13, 6, v3
	v_and_b32_e32 v24, 0x7f, v16
	v_lshl_add_u32 v16, v6, 2, v5
	v_mul_hi_u32 v6, v7, v20
	v_lshrrev_b32_e32 v8, 3, v8
	v_add_nc_u16 v3, v3, v11
	v_cndmask_b32_e32 v5, v23, v18, vcc_lo
	v_cmp_ne_u32_e32 vcc_lo, 0, v18
	s_waitcnt vmcnt(0)
	v_sub_nc_u32_e32 v19, 0, v12
	v_add_nc_u32_e32 v11, s0, v61
	v_lshlrev_b32_e32 v22, 2, v18
	v_and_b32_e32 v8, 12, v8
	v_lshrrev_b16 v3, 1, v3
	v_add_co_ci_u32_e64 v102, null, 0, v5, vcc_lo
	v_lshlrev_b32_e32 v18, 1, v5
	v_xor_b32_e32 v5, 64, v24
	v_max_i32_e32 v27, v12, v19
	v_add_nc_u32_e32 v6, v7, v6
	v_add_nc_u32_e32 v69, s0, v11
	v_add3_u32 v17, v21, v8, 0x8e40
	v_lshl_or_b32 v8, v24, 4, v22
	v_and_b32_e32 v3, 60, v3
	v_lshrrev_b32_e32 v7, 1, v5
	v_mul_hi_u32 v6, v27, v6
	v_add_nc_u32_e32 v73, s0, v69
	v_lshrrev_b32_e32 v20, 3, v0
	v_add3_u32 v19, v8, v3, 0x8200
	v_lshl_or_b32 v3, v5, 4, v22
	v_and_b32_e32 v7, 60, v7
	v_add_nc_u32_e32 v77, s0, v73
	v_lshrrev_b32_e32 v2, 5, v0
	v_mul_i32_i24_e32 v103, s18, v5
	v_and_b32_e32 v5, 31, v0
	v_add3_u32 v22, v3, v7, 0x8200
	v_mul_lo_u32 v7, v6, s2
	v_add_nc_u32_e32 v81, s0, v77
	v_lshl_add_u32 v21, v1, 7, 0x8a40
	v_add_nc_u32_e32 v3, v20, v4
	v_mul_i32_i24_e32 v100, s18, v24
	v_add_nc_u32_e32 v8, 1, v6
	v_add_nc_u32_e32 v85, s0, v81
	v_lshl_add_u32 v24, v5, 2, v21
	v_lshlrev_b32_e32 v5, 2, v2
	v_sub_nc_u32_e32 v7, v27, v7
	v_lshl_add_u32 v26, v3, 2, 0x8200
	v_add_nc_u32_e32 v3, 32, v0
	v_add_nc_u32_e32 v89, s0, v85
	v_add3_u32 v29, v4, v5, 0x8e40
	v_subrev_nc_u32_e32 v5, s2, v7
	v_cmp_le_u32_e64 s0, s2, v7
	v_lshrrev_b32_e32 v28, 3, v3
	v_xor_b32_e32 v30, s11, v12
	v_add_nc_u32_e32 v33, 0x60, v0
	v_add_nc_u32_e32 v32, 64, v0
	v_cndmask_b32_e64 v6, v6, v8, s0
	v_cndmask_b32_e64 v5, v7, v5, s0
	v_lshl_add_u32 v3, v3, 2, v28
	s_load_dwordx4 s[4:7], s[4:5], 0x0
	v_and_b32_e32 v8, 60, v28
	v_add_nc_u32_e32 v7, 1, v6
	v_cmp_le_u32_e64 s0, s2, v5
	v_ashrrev_i32_e32 v34, 31, v30
	v_lshl_add_u32 v30, v3, 2, 0x8200
	v_lshrrev_b32_e32 v3, 3, v33
	s_mul_i32 s20, s18, s16
	v_cndmask_b32_e64 v5, v6, v7, s0
	v_lshrrev_b32_e32 v6, 3, v32
	s_mul_hi_i32 s15, s20, 0xb0
	s_mul_i32 s14, s20, 0xb0
	v_add3_u32 v31, v4, v8, 0x8e40
	v_lshl_add_u32 v8, v33, 2, v3
	v_and_b32_e32 v35, 60, v3
	v_mad_u64_u32 v[2:3], null, 0xb0, v2, s[14:15]
	v_mul_i32_i24_e32 v36, s18, v1
	v_xor_b32_e32 v5, v5, v34
	v_lshl_add_u32 v7, v32, 2, v6
	v_and_b32_e32 v95, 28, v4
	v_and_b32_e32 v6, 60, v6
	v_and_b32_e32 v99, 0x7c, v4
	v_sub_nc_u32_e32 v5, v5, v34
	v_lshl_add_u32 v32, v7, 2, 0x8200
	v_lshl_add_u32 v34, v8, 2, 0x8200
	v_mad_u64_u32 v[7:8], null, 0xb0, v36, v[2:3]
	v_cmp_gt_i32_e64 s0, s8, v5
	v_mul_lo_u32 v36, v5, s9
	s_waitcnt lgkmcnt(0)
	v_add_co_u32 v5, s2, s6, v95
	v_add_nc_u32_e32 v23, 0x9050, v4
	v_add3_u32 v33, v4, v6, 0x8e40
	v_add3_u32 v35, v4, v35, 0x8e40
	v_add_co_ci_u32_e64 v6, null, s7, 0, s2
	v_add_co_u32 v4, s2, v7, v95
	v_add_co_ci_u32_e64 v37, null, 0, v8, s2
	v_add_co_u32 v7, s2, v7, v99
	v_add_co_ci_u32_e64 v8, null, 0, v8, s2
	v_add_co_u32 v4, s2, s4, v4
	v_add_co_ci_u32_e64 v38, null, s5, v37, s2
	v_add_co_u32 v39, s2, s4, v7
	v_add_co_ci_u32_e64 v40, null, s5, v8, s2
	v_mad_u64_u32 v[7:8], null, 0xb0, v9, v[2:3]
	v_add_co_u32 v37, s2, v4, 16
	v_add_co_ci_u32_e64 v38, null, 0, v38, s2
	v_add_co_u32 v39, s2, v39, 48
	v_add_co_ci_u32_e64 v40, null, 0, v40, s2
	v_add_co_u32 v4, s2, v7, v95
	v_add_co_ci_u32_e64 v9, null, 0, v8, s2
	v_add_co_u32 v7, s2, v7, v99
	v_add_co_ci_u32_e64 v8, null, 0, v8, s2
	v_add_co_u32 v4, s2, s4, v4
	v_add_co_ci_u32_e64 v9, null, s5, v9, s2
	v_add_co_u32 v43, s2, s4, v7
	v_add_co_ci_u32_e64 v44, null, s5, v8, s2
	v_mad_u64_u32 v[7:8], null, 0xb0, v10, v[2:3]
	v_add_co_u32 v41, s2, v4, 16
	v_add_co_ci_u32_e64 v42, null, 0, v9, s2
	v_add_co_u32 v43, s2, v43, 48
	;; [unrolled: 13-line block ×14, first 2 shown]
	s_mul_i32 s21, s18, 0x78
	v_add_co_ci_u32_e64 v92, null, 0, v11, s2
	v_add_co_u32 v4, s2, v7, v95
	v_lshlrev_b32_e32 v25, 4, v1
	v_mad_i32_i24 v1, s18, v1, s21
	v_add_co_ci_u32_e64 v9, null, 0, v8, s2
	v_add_co_u32 v4, s2, s4, v4
	v_mad_u64_u32 v[1:2], null, 0xb0, v1, v[2:3]
	v_add_co_ci_u32_e64 v9, null, s5, v9, s2
	v_add_co_u32 v93, s2, v4, 16
	v_cmp_gt_u32_e32 vcc_lo, 4, v0
	v_add_co_ci_u32_e64 v94, null, 0, v9, s2
	v_add_co_u32 v3, s2, v7, v99
	v_add_co_ci_u32_e64 v4, null, 0, v8, s2
	v_add_co_u32 v7, s2, v1, v95
	;; [unrolled: 2-line block ×7, first 2 shown]
	v_add_co_ci_u32_e64 v4, null, 0, v2, s2
	v_mad_u64_u32 v[1:2], null, 0xb0, v100, 0
	v_add_co_u32 v3, s2, s4, v3
	v_add_co_ci_u32_e64 v4, null, s5, v4, s2
	v_cndmask_b32_e64 v7, 0, 1, s1
	v_add_co_u32 v99, s1, v3, 48
	v_add_co_ci_u32_e64 v100, null, 0, v4, s1
	v_add_co_u32 v1, s1, s14, v1
	v_lshlrev_b32_e32 v3, 2, v7
	v_add_co_ci_u32_e64 v2, null, s15, v2, s1
	v_lshlrev_b32_e32 v7, 2, v102
	s_ashr_i32 s19, s17, 31
	v_or_b32_e32 v4, v1, v3
	s_and_b32 s20, vcc_lo, s0
	s_add_u32 s22, s4, s14
	s_addc_u32 s23, s5, s15
	v_mov_b32_e32 v105, 0
	v_add_co_u32 v4, s1, s4, v4
	v_add_co_ci_u32_e64 v10, null, s5, v2, s1
	v_add_co_u32 v11, s1, v1, v7
	v_add_co_ci_u32_e64 v104, null, 0, v2, s1
	v_mad_u64_u32 v[1:2], null, 0xb0, v103, 0
	v_mad_u64_u32 v[8:9], null, 0xb0, v101, s[22:23]
	v_add_co_u32 v101, s1, v4, 4
	v_add_co_ci_u32_e64 v102, null, 0, v10, s1
	v_add_co_u32 v4, s1, s4, v11
	v_add_co_ci_u32_e64 v10, null, s5, v104, s1
	;; [unrolled: 2-line block ×3, first 2 shown]
	v_add_co_u32 v103, s2, v4, 4
	v_or_b32_e32 v3, v1, v3
	v_add_co_u32 v1, s1, v1, v7
	v_add_co_ci_u32_e64 v4, null, 0, v2, s1
	v_add_co_u32 v3, s1, s4, v3
	v_add_co_ci_u32_e64 v2, null, s5, v2, s1
	;; [unrolled: 2-line block ×4, first 2 shown]
	v_add_co_u32 v108, s1, v1, 4
	v_or_b32_e32 v14, 1, v13
	v_mul_u32_u24_e32 v27, 0x104, v0
	v_add_co_ci_u32_e64 v104, null, 0, v10, s2
	v_add_co_ci_u32_e64 v109, null, 0, v4, s1
	v_add_nc_u32_e32 v110, 0x3000, v16
	v_add_nc_u32_e32 v111, 0x3800, v16
	;; [unrolled: 1-line block ×10, first 2 shown]
	v_mov_b32_e32 v120, v0
	v_mov_b32_e32 v122, 0
	;; [unrolled: 1-line block ×4, first 2 shown]
	s_movk_i32 s2, 0x80
	s_branch .LBB213_6
.LBB213_4:                              ;   in Loop: Header=BB213_6 Depth=1
	s_or_b32 exec_lo, exec_lo, s4
	s_waitcnt lgkmcnt(0)
	s_barrier
	buffer_gl0_inv
	ds_read2_b32 v[123:124], v27 offset0:32 offset1:33
	ds_read_b128 v[127:130], v21
	ds_read_b128 v[131:134], v21 offset:16
	ds_read2_b32 v[125:126], v27 offset0:34 offset1:35
	ds_read_b128 v[135:138], v21 offset:32
	ds_read_b128 v[139:142], v21 offset:48
	v_mov_b32_e32 v175, 0
	ds_read2_b32 v[143:144], v27 offset0:36 offset1:37
	ds_read2_b32 v[145:146], v27 offset0:38 offset1:39
	;; [unrolled: 1-line block ×3, first 2 shown]
	v_add_nc_u32_e32 v149, 0x2100, v27
	ds_read2_b32 v[10:11], v26 offset0:1 offset1:3
	ds_read_b128 v[1:4], v25 offset:36944
	ds_read2_b32 v[149:150], v149 offset1:1
	ds_read2_b32 v[151:152], v27 offset0:42 offset1:43
	ds_read2_b32 v[153:154], v27 offset0:44 offset1:45
	v_add_nc_u32_e32 v159, 0x2118, v27
	v_add_nc_u32_e32 v161, 0x2120, v27
	v_mov_b32_e32 v176, 0
	v_mov_b32_e32 v177, 0
	;; [unrolled: 1-line block ×4, first 2 shown]
	v_add_nc_u32_e32 v165, 0x41b0, v27
	s_waitcnt lgkmcnt(12)
	v_dot4c_i32_i8 v175, v123, v127
	v_add_nc_u32_e32 v123, 0x2108, v27
	v_add_nc_u32_e32 v167, 0x41b8, v27
	;; [unrolled: 1-line block ×4, first 2 shown]
	v_dot4c_i32_i8 v175, v124, v128
	v_add_nc_u32_e32 v124, 0x2110, v27
	ds_read2_b32 v[155:156], v123 offset1:1
	ds_read2_b32 v[157:158], v124 offset1:1
	;; [unrolled: 1-line block ×4, first 2 shown]
	s_waitcnt lgkmcnt(14)
	v_dot4c_i32_i8 v175, v125, v129
	s_waitcnt lgkmcnt(9)
	v_dot4c_i32_i8 v176, v147, v135
	ds_read_b32 v123, v31 offset:128
	ds_read_b32 v124, v33 offset:256
	;; [unrolled: 1-line block ×3, first 2 shown]
	s_waitcnt lgkmcnt(9)
	v_dot4c_i32_i8 v177, v149, v127
	v_add_nc_u32_e32 v149, 0x2138, v27
	v_dot4c_i32_i8 v175, v126, v130
	v_dot4c_i32_i8 v176, v148, v136
	ds_read2_b32 v[147:148], v27 offset0:46 offset1:47
	ds_read2_b32 v[163:164], v27 offset0:48 offset1:49
	ds_read_b32 v126, v29
	v_dot4c_i32_i8 v177, v150, v128
	v_dot4c_i32_i8 v175, v143, v131
	v_add_nc_u32_e32 v143, 0x2128, v27
	s_waitcnt lgkmcnt(11)
	v_dot4c_i32_i8 v176, v151, v137
	v_add_nc_u32_e32 v151, 0x4180, v27
	v_add_nc_u32_e32 v173, 0x6220, v27
	v_dot4c_i32_i8 v175, v144, v132
	ds_read2_b32 v[143:144], v143 offset1:1
	v_dot4c_i32_i8 v176, v152, v138
	s_waitcnt lgkmcnt(10)
	v_dot4c_i32_i8 v177, v155, v129
	s_waitcnt lgkmcnt(7)
	v_dot4c_i32_i8 v178, v161, v135
	v_dot4c_i32_i8 v175, v145, v133
	v_add_nc_u32_e32 v145, 0x2130, v27
	v_dot4c_i32_i8 v176, v153, v139
	v_dot4c_i32_i8 v177, v156, v130
	;; [unrolled: 1-line block ×4, first 2 shown]
	ds_read2_b32 v[145:146], v145 offset1:1
	ds_read2_b32 v[149:150], v149 offset1:1
	;; [unrolled: 1-line block ×3, first 2 shown]
	v_dot4c_i32_i8 v176, v154, v140
	v_dot4c_i32_i8 v177, v157, v131
	v_add_nc_u32_e32 v161, 0x41a0, v27
	v_mov_b32_e32 v184, 0
	v_mov_b32_e32 v186, 0
	s_waitcnt lgkmcnt(6)
	v_dot4c_i32_i8 v176, v147, v141
	v_dot4c_i32_i8 v177, v158, v132
	v_cvt_f32_ubyte0_e32 v179, v11
	s_waitcnt lgkmcnt(3)
	v_dot4c_i32_i8 v178, v143, v137
	v_add_nc_u32_e32 v143, 0x4188, v27
	v_dot4c_i32_i8 v176, v148, v142
	v_dot4c_i32_i8 v177, v159, v133
	v_add_nc_u32_e32 v159, 0x4198, v27
	v_dot4c_i32_i8 v178, v144, v138
	ds_read2_b32 v[143:144], v143 offset1:1
	ds_read2_b32 v[147:148], v27 offset0:58 offset1:59
	ds_read2_b32 v[153:154], v27 offset0:60 offset1:61
	;; [unrolled: 1-line block ×4, first 2 shown]
	v_dot4c_i32_i8 v177, v160, v134
	v_cvt_f32_ubyte1_e32 v180, v11
	s_waitcnt lgkmcnt(7)
	v_dot4c_i32_i8 v178, v145, v139
	v_add_nc_u32_e32 v145, 0x4190, v27
	s_waitcnt lgkmcnt(5)
	v_dot4c_i32_i8 v182, v151, v127
	v_cvt_f32_f16_sdwa v181, v126 dst_sel:DWORD dst_unused:UNUSED_PAD src0_sel:WORD_1
	v_cvt_f32_f16_sdwa v187, v123 dst_sel:DWORD dst_unused:UNUSED_PAD src0_sel:WORD_1
	v_dot4c_i32_i8 v178, v146, v140
	ds_read2_b32 v[145:146], v145 offset1:1
	ds_read2_b32 v[159:160], v159 offset1:1
	;; [unrolled: 1-line block ×3, first 2 shown]
	v_dot4c_i32_i8 v182, v152, v128
	v_mov_b32_e32 v188, 0
	v_mov_b32_e32 v191, 0
	v_dot4c_i32_i8 v178, v149, v141
	v_add_nc_u32_e32 v149, 0x41a8, v27
	ds_read2_b32 v[151:152], v149 offset1:1
	ds_read2_b32 v[165:166], v165 offset1:1
	;; [unrolled: 1-line block ×4, first 2 shown]
	s_waitcnt lgkmcnt(11)
	v_dot4c_i32_i8 v182, v143, v129
	v_add_nc_u32_e32 v143, 0x6208, v27
	v_add_nc_u32_e32 v149, 0x6210, v27
	v_dot4c_i32_i8 v178, v150, v142
	s_waitcnt lgkmcnt(7)
	v_cvt_f32_ubyte0_e32 v183, v158
	v_dot4c_i32_i8 v182, v144, v130
	ds_read2_b32 v[143:144], v143 offset1:1
	ds_read2_b32 v[149:150], v149 offset1:1
	;; [unrolled: 1-line block ×4, first 2 shown]
	v_cvt_f32_ubyte1_e32 v185, v158
	v_cvt_f32_ubyte2_e32 v190, v11
	s_waitcnt lgkmcnt(8)
	v_dot4c_i32_i8 v184, v161, v135
	v_dot4c_i32_i8 v182, v145, v131
	v_add_nc_u32_e32 v161, 0x6228, v27
	v_cvt_f32_ubyte3_e32 v11, v11
	v_dot4c_i32_i8 v184, v162, v136
	v_dot4c_i32_i8 v182, v146, v132
	ds_read2_b32 v[145:146], v32 offset0:1 offset1:3
	ds_read2_b32 v[161:162], v161 offset1:1
	s_waitcnt lgkmcnt(6)
	v_dot4c_i32_i8 v186, v169, v127
	v_dot4c_i32_i8 v182, v159, v133
	v_mov_b32_e32 v159, 0
	v_add_nc_u32_e32 v127, 0x6230, v27
	v_dot4c_i32_i8 v184, v151, v137
	v_dot4c_i32_i8 v186, v170, v128
	;; [unrolled: 1-line block ×3, first 2 shown]
	s_waitcnt lgkmcnt(2)
	v_dot4c_i32_i8 v159, v173, v135
	ds_read2_b32 v[127:128], v127 offset1:1
	v_add_nc_u32_e32 v135, 0x2140, v27
	v_dot4c_i32_i8 v186, v143, v129
	v_add_nc_u32_e32 v129, 0x6238, v27
	v_dot4c_i32_i8 v159, v174, v136
	v_dot4c_i32_i8 v184, v152, v138
	v_add_nc_u32_e32 v169, 0x2160, v27
	v_dot4c_i32_i8 v186, v144, v130
	ds_read2_b32 v[143:144], v34 offset0:1 offset1:3
	ds_read2_b32 v[129:130], v129 offset1:1
	ds_read2_b32 v[151:152], v135 offset1:1
	s_waitcnt lgkmcnt(4)
	v_dot4c_i32_i8 v159, v161, v137
	v_and_b32_e32 v135, 0xff, v10
	v_dot4c_i32_i8 v184, v165, v139
	v_dot4c_i32_i8 v186, v149, v131
	v_bfe_u32 v136, v145, 8, 8
	v_dot4c_i32_i8 v159, v162, v138
	v_mul_lo_u32 v135, v175, v135
	v_dot4c_i32_i8 v184, v166, v140
	v_dot4c_i32_i8 v186, v150, v132
	v_bfe_u32 v132, v10, 8, 8
	v_cvt_f32_ubyte0_e32 v131, v146
	s_waitcnt lgkmcnt(3)
	v_dot4c_i32_i8 v159, v127, v139
	v_dot4c_i32_i8 v184, v167, v141
	;; [unrolled: 1-line block ×3, first 2 shown]
	v_mul_lo_u32 v127, v176, v132
	v_cvt_f32_i32_e32 v133, v135
	v_dot4c_i32_i8 v159, v128, v140
	v_fma_mix_f32 v128, v1, v179, 0 op_sel:[1,0,0] op_sel_hi:[1,0,0]
	v_dot4c_i32_i8 v186, v172, v134
	v_bfe_u32 v134, v157, 8, 8
	v_fma_mix_f32 v133, v1, v133, 0 op_sel_hi:[1,0,0]
	s_waitcnt lgkmcnt(1)
	v_dot4c_i32_i8 v159, v129, v141
	v_cvt_f32_i32_e32 v127, v127
	v_and_b32_e32 v129, 0xff, v157
	v_fma_mix_f32 v128, v2, v180, v128 op_sel:[1,0,0] op_sel_hi:[1,0,0]
	v_dot4c_i32_i8 v184, v168, v142
	v_mul_lo_u32 v134, v178, v134
	v_fma_mix_f32 v127, v2, v127, v133 op_sel_hi:[1,0,0]
	v_and_b32_e32 v133, 0xff, v145
	v_mul_lo_u32 v129, v177, v129
	v_mul_f32_e32 v128, v128, v181
	v_dot4c_i32_i8 v159, v130, v142
	v_fma_mix_f32 v130, v1, v183, 0 op_sel:[1,0,0] op_sel_hi:[1,0,0]
	v_mul_lo_u32 v133, v182, v133
	v_cvt_f32_i32_e32 v134, v134
	v_fma_mix_f32 v127, v127, v126, -v128 op_sel_hi:[0,1,0]
	v_mul_lo_u32 v128, v184, v136
	v_cvt_f32_i32_e32 v129, v129
	v_fma_mix_f32 v130, v2, v185, v130 op_sel:[1,0,0] op_sel_hi:[1,0,0]
	v_cvt_f32_ubyte1_e32 v132, v146
	v_fma_mix_f32 v131, v1, v131, 0 op_sel:[1,0,0] op_sel_hi:[1,0,0]
	v_cvt_f32_i32_e32 v133, v133
	v_fma_mix_f32 v129, v1, v129, 0 op_sel_hi:[1,0,0]
	v_mul_f32_e32 v130, v130, v187
	v_cvt_f32_i32_e32 v128, v128
	v_fma_mix_f32 v131, v2, v132, v131 op_sel:[1,0,0] op_sel_hi:[1,0,0]
	v_fma_mix_f32 v133, v1, v133, 0 op_sel_hi:[1,0,0]
	v_fma_mix_f32 v129, v2, v134, v129 op_sel_hi:[1,0,0]
	v_and_b32_e32 v132, 0xff, v143
	v_cvt_f32_f16_sdwa v175, v124 dst_sel:DWORD dst_unused:UNUSED_PAD src0_sel:WORD_1
	v_add_f32_e32 v105, v105, v127
	v_fma_mix_f32 v133, v2, v128, v133 op_sel_hi:[1,0,0]
	v_fma_mix_f32 v136, v129, v123, -v130 op_sel_hi:[0,1,0]
	ds_read_b128 v[127:130], v21 offset:64
	v_bfe_u32 v134, v143, 8, 8
	v_mul_lo_u32 v132, v186, v132
	v_mul_f32_e32 v131, v131, v175
	v_add_f32_e32 v178, v122, v136
	v_mov_b32_e32 v183, 0
	v_mul_lo_u32 v134, v159, v134
	v_cvt_f32_ubyte0_e32 v135, v144
	v_fma_mix_f32 v131, v133, v124, -v131 op_sel_hi:[0,1,0]
	v_add_nc_u32_e32 v142, 0x2148, v27
	v_cvt_f32_i32_e32 v122, v132
	v_add_nc_u32_e32 v165, 0x2150, v27
	v_add_nc_u32_e32 v167, 0x2158, v27
	v_add_f32_e32 v180, v121, v131
	v_cvt_f32_i32_e32 v139, v134
	v_fma_mix_f32 v140, v1, v122, 0 op_sel_hi:[1,0,0]
	ds_read_b128 v[131:134], v21 offset:96
	ds_read2_b32 v[121:122], v27 offset0:50 offset1:51
	ds_read2_b32 v[149:150], v27 offset0:52 offset1:53
	;; [unrolled: 1-line block ×4, first 2 shown]
	v_fma_mix_f32 v1, v1, v135, 0 op_sel:[1,0,0] op_sel_hi:[1,0,0]
	v_cvt_f32_ubyte1_e32 v141, v144
	s_waitcnt lgkmcnt(5)
	v_dot4c_i32_i8 v183, v163, v127
	ds_read_b128 v[135:138], v21 offset:80
	v_mov_b32_e32 v184, 0
	v_fma_mix_f32 v171, v2, v139, v140 op_sel_hi:[1,0,0]
	v_fma_mix_f32 v172, v2, v141, v1 op_sel:[1,0,0] op_sel_hi:[1,0,0]
	v_dot4c_i32_i8 v183, v164, v128
	ds_read2_b32 v[163:164], v142 offset1:1
	ds_read2_b32 v[165:166], v165 offset1:1
	;; [unrolled: 1-line block ×4, first 2 shown]
	v_add_nc_u32_e32 v1, 0x2168, v27
	ds_read_b128 v[139:142], v21 offset:112
	v_mov_b32_e32 v185, 0
	v_cvt_f32_f16_sdwa v186, v125 dst_sel:DWORD dst_unused:UNUSED_PAD src0_sel:WORD_1
	v_add_nc_u32_e32 v173, 0x6260, v27
	ds_read2_b32 v[1:2], v1 offset1:1
	v_lshrrev_b32_e32 v176, 24, v10
	s_waitcnt lgkmcnt(10)
	v_dot4c_i32_i8 v183, v121, v129
	v_add_nc_u32_e32 v121, 0x2170, v27
	v_dot4c_i32_i8 v185, v151, v127
	s_waitcnt lgkmcnt(7)
	v_dot4c_i32_i8 v184, v161, v131
	v_add_nc_u32_e32 v151, 0x41d8, v27
	v_dot4c_i32_i8 v183, v122, v130
	ds_read2_b32 v[121:122], v121 offset1:1
	v_dot4c_i32_i8 v185, v152, v128
	v_dot4c_i32_i8 v184, v162, v132
	v_add_nc_u32_e32 v161, 0x41f8, v27
	s_waitcnt lgkmcnt(7)
	v_dot4c_i32_i8 v183, v149, v135
	v_add_nc_u32_e32 v149, 0x41c0, v27
	s_waitcnt lgkmcnt(3)
	v_dot4c_i32_i8 v188, v169, v131
	v_dot4c_i32_i8 v184, v147, v133
	;; [unrolled: 1-line block ×3, first 2 shown]
	v_add_nc_u32_e32 v147, 0x2178, v27
	v_dot4c_i32_i8 v183, v150, v136
	v_dot4c_i32_i8 v188, v170, v132
	;; [unrolled: 1-line block ×4, first 2 shown]
	ds_read2_b32 v[147:148], v147 offset1:1
	ds_read2_b32 v[149:150], v149 offset1:1
	v_dot4c_i32_i8 v183, v159, v137
	s_waitcnt lgkmcnt(3)
	v_dot4c_i32_i8 v188, v1, v133
	v_dot4c_i32_i8 v184, v153, v139
	v_mul_f32_e32 v1, v172, v186
	v_dot4c_i32_i8 v185, v165, v135
	v_add_nc_u32_e32 v153, 0x41e0, v27
	v_dot4c_i32_i8 v188, v2, v134
	v_dot4c_i32_i8 v184, v154, v140
	v_fma_mix_f32 v189, v171, v125, -v1 op_sel_hi:[0,1,0]
	v_add_nc_u32_e32 v1, 0x41c8, v27
	v_dot4c_i32_i8 v185, v166, v136
	s_waitcnt lgkmcnt(2)
	v_dot4c_i32_i8 v188, v121, v139
	v_dot4c_i32_i8 v184, v155, v141
	v_add_nc_u32_e32 v121, 0x41d0, v27
	v_add_nc_u32_e32 v155, 0x41e8, v27
	;; [unrolled: 1-line block ×4, first 2 shown]
	v_dot4c_i32_i8 v183, v160, v138
	v_dot4c_i32_i8 v184, v156, v142
	;; [unrolled: 1-line block ×3, first 2 shown]
	ds_read2_b32 v[1:2], v1 offset1:1
	ds_read2_b32 v[121:122], v121 offset1:1
	;; [unrolled: 1-line block ×8, first 2 shown]
	v_add_nc_u32_e32 v165, 0x6248, v27
	v_dot4c_i32_i8 v185, v167, v137
	v_add_nc_u32_e32 v167, 0x6250, v27
	v_add_nc_u32_e32 v171, 0x6258, v27
	ds_read2_b32 v[165:166], v165 offset1:1
	ds_read2_b32 v[169:170], v167 offset1:1
	ds_read2_b32 v[171:172], v171 offset1:1
	ds_read2_b32 v[173:174], v173 offset1:1
	s_waitcnt lgkmcnt(12)
	v_dot4c_i32_i8 v191, v149, v127
	v_dot4c_i32_i8 v188, v147, v141
	v_add_nc_u32_e32 v147, 0x6268, v27
	v_mov_b32_e32 v149, 0
	v_bfe_u32 v10, v10, 16, 8
	v_dot4c_i32_i8 v191, v150, v128
	v_mov_b32_e32 v150, 0
	v_dot4c_i32_i8 v188, v148, v142
	ds_read2_b32 v[147:148], v147 offset1:1
	s_waitcnt lgkmcnt(9)
	v_dot4c_i32_i8 v149, v153, v131
	v_dot4c_i32_i8 v191, v1, v129
	v_add_nc_u32_e32 v1, 0x6270, v27
	s_waitcnt lgkmcnt(5)
	v_dot4c_i32_i8 v150, v163, v127
	v_mov_b32_e32 v127, 0
	v_dot4c_i32_i8 v149, v154, v132
	v_dot4c_i32_i8 v191, v2, v130
	ds_read2_b32 v[1:2], v1 offset1:1
	v_dot4c_i32_i8 v150, v164, v128
	v_dot4c_i32_i8 v185, v168, v138
	s_waitcnt lgkmcnt(2)
	v_dot4c_i32_i8 v127, v173, v131
	v_dot4c_i32_i8 v191, v121, v135
	v_add_nc_u32_e32 v121, 0x6278, v27
	v_dot4c_i32_i8 v150, v165, v129
	v_dot4c_i32_i8 v149, v155, v133
	;; [unrolled: 1-line block ×4, first 2 shown]
	ds_read2_b32 v[121:122], v121 offset1:1
	v_dot4c_i32_i8 v150, v166, v130
	v_dot4c_i32_i8 v149, v156, v134
	s_waitcnt lgkmcnt(2)
	v_dot4c_i32_i8 v127, v147, v133
	v_mul_lo_u32 v129, v184, v176
	v_bfe_u32 v130, v157, 16, 8
	v_dot4c_i32_i8 v150, v169, v135
	v_dot4c_i32_i8 v149, v159, v139
	;; [unrolled: 1-line block ×3, first 2 shown]
	v_lshrrev_b32_e32 v177, 24, v157
	v_dot4c_i32_i8 v191, v151, v137
	v_dot4c_i32_i8 v150, v170, v136
	;; [unrolled: 1-line block ×3, first 2 shown]
	s_waitcnt lgkmcnt(1)
	v_dot4c_i32_i8 v127, v1, v139
	v_mul_lo_u32 v1, v183, v10
	v_dot4c_i32_i8 v191, v152, v138
	v_dot4c_i32_i8 v150, v171, v137
	;; [unrolled: 1-line block ×4, first 2 shown]
	v_mul_lo_u32 v132, v188, v177
	v_lshrrev_b32_e32 v179, 24, v145
	v_dot4c_i32_i8 v150, v172, v138
	v_cvt_f32_i32_e32 v1, v1
	s_waitcnt lgkmcnt(0)
	v_dot4c_i32_i8 v127, v121, v141
	v_cvt_f32_i32_e32 v121, v129
	v_mul_lo_u32 v129, v185, v130
	v_fma_mix_f32 v130, v3, v190, 0 op_sel:[1,0,0] op_sel_hi:[1,0,0]
	v_fma_mix_f32 v1, v3, v1, 0 op_sel_hi:[1,0,0]
	v_dot4c_i32_i8 v127, v122, v142
	v_bfe_u32 v122, v145, 16, 8
	v_lshrrev_b32_e32 v182, 24, v143
	v_fma_mix_f32 v11, v4, v11, v130 op_sel:[1,0,0] op_sel_hi:[1,0,0]
	v_bfe_u32 v130, v143, 16, 8
	v_fma_mix_f32 v1, v4, v121, v1 op_sel_hi:[1,0,0]
	v_cvt_f32_i32_e32 v121, v129
	v_dot4c_i32_i8 v149, v162, v142
	v_mul_lo_u32 v122, v191, v122
	v_mul_lo_u32 v130, v150, v130
	v_cvt_f32_ubyte2_e32 v167, v158
	v_cvt_f32_ubyte2_e32 v10, v146
	;; [unrolled: 1-line block ×3, first 2 shown]
	v_cvt_f32_i32_e32 v132, v132
	v_fma_mix_f32 v121, v3, v121, 0 op_sel_hi:[1,0,0]
	v_mul_lo_u32 v133, v149, v179
	v_mul_lo_u32 v127, v127, v182
	v_cvt_f32_ubyte3_e32 v128, v158
	v_cvt_f32_ubyte3_e32 v2, v146
	v_fma_mix_f32 v129, v3, v167, 0 op_sel:[1,0,0] op_sel_hi:[1,0,0]
	v_fma_mix_f32 v121, v4, v132, v121 op_sel_hi:[1,0,0]
	v_fma_mix_f32 v10, v3, v10, 0 op_sel:[1,0,0] op_sel_hi:[1,0,0]
	v_cvt_f32_i32_e32 v122, v122
	v_cvt_f32_i32_e32 v130, v130
	v_fma_mix_f32 v131, v3, v131, 0 op_sel:[1,0,0] op_sel_hi:[1,0,0]
	v_cvt_f32_ubyte3_e32 v132, v144
	v_fma_mix_f32 v128, v4, v128, v129 op_sel:[1,0,0] op_sel_hi:[1,0,0]
	v_cvt_f32_i32_e32 v129, v133
	v_fma_mix_f32 v122, v3, v122, 0 op_sel_hi:[1,0,0]
	v_fma_mix_f32 v2, v4, v2, v10 op_sel:[1,0,0] op_sel_hi:[1,0,0]
	v_cvt_f32_i32_e32 v10, v127
	v_fma_mix_f32 v3, v3, v130, 0 op_sel_hi:[1,0,0]
	v_fma_mix_f32 v127, v4, v132, v131 op_sel:[1,0,0] op_sel_hi:[1,0,0]
	v_mul_f32_e32 v11, v11, v181
	v_mul_f32_e32 v128, v128, v187
	v_fma_mix_f32 v122, v4, v129, v122 op_sel_hi:[1,0,0]
	v_mul_f32_e32 v2, v2, v175
	v_fma_mix_f32 v3, v4, v10, v3 op_sel_hi:[1,0,0]
	v_mul_f32_e32 v4, v127, v186
	v_add_f32_e32 v7, v7, v189
	v_fma_mix_f32 v1, v1, v126, -v11 op_sel_hi:[0,1,0]
	v_fma_mix_f32 v10, v121, v123, -v128 op_sel_hi:[0,1,0]
	;; [unrolled: 1-line block ×4, first 2 shown]
	v_add_f32_e32 v105, v105, v1
	v_add_f32_e32 v122, v178, v10
	;; [unrolled: 1-line block ×4, first 2 shown]
	s_barrier
	buffer_gl0_inv
.LBB213_5:                              ;   in Loop: Header=BB213_6 Depth=1
	v_add_co_u32 v37, s1, 0xb0, v37
	v_add_co_ci_u32_e64 v38, null, 0, v38, s1
	v_add_co_u32 v39, s1, 0xb0, v39
	v_add_co_ci_u32_e64 v40, null, 0, v40, s1
	;; [unrolled: 2-line block ×36, first 2 shown]
	v_add_co_u32 v108, s1, 0xb0, v108
	v_add_nc_u32_e32 v28, 8, v28
	v_add_nc_u32_e32 v20, 8, v20
	v_add_nc_u32_e32 v120, 8, v120
	v_add_co_ci_u32_e64 v109, null, 0, v109, s1
	s_add_i32 s18, s18, -1
	s_addk_i32 s2, 0x100
	s_cmp_eq_u32 s18, 0
	s_cbranch_scc1 .LBB213_17
.LBB213_6:                              ; =>This Inner Loop Header: Depth=1
	v_add_co_u32 v1, s1, v39, s17
	v_add_co_ci_u32_e64 v2, null, s19, v40, s1
	v_add_co_u32 v10, s1, v37, s17
	v_add_co_ci_u32_e64 v11, null, s19, v38, s1
	;; [unrolled: 2-line block ×4, first 2 shown]
	global_load_dword v4, v[1:2], off
	global_load_dword v2, v[10:11], off
	global_load_dword v1, v[123:124], off
	global_load_dword v3, v[125:126], off
	v_add_co_u32 v10, s1, v47, s17
	v_add_co_ci_u32_e64 v11, null, s19, v48, s1
	v_add_co_u32 v123, s1, v45, s17
	v_add_co_ci_u32_e64 v124, null, s19, v46, s1
	v_add_co_u32 v125, s1, v51, s17
	v_add_co_ci_u32_e64 v126, null, s19, v52, s1
	v_add_co_u32 v127, s1, v49, s17
	v_add_co_ci_u32_e64 v128, null, s19, v50, s1
	v_add_co_u32 v129, s1, v55, s17
	v_add_co_ci_u32_e64 v130, null, s19, v56, s1
	global_load_dword v131, v[10:11], off
	global_load_dword v132, v[123:124], off
	global_load_dword v133, v[125:126], off
	global_load_dword v134, v[127:128], off
	global_load_dword v135, v[129:130], off
	v_add_co_u32 v10, s1, v53, s17
	v_add_co_ci_u32_e64 v11, null, s19, v54, s1
	v_add_co_u32 v123, s1, v59, s17
	v_add_co_ci_u32_e64 v124, null, s19, v60, s1
	v_add_co_u32 v125, s1, v57, s17
	v_add_co_ci_u32_e64 v126, null, s19, v58, s1
	v_add_co_u32 v127, s1, v63, s17
	v_add_co_ci_u32_e64 v128, null, s19, v64, s1
	v_add_co_u32 v129, s1, v61, s17
	v_add_co_ci_u32_e64 v130, null, s19, v62, s1
	global_load_dword v136, v[10:11], off
	;; [unrolled: 15-line block ×4, first 2 shown]
	global_load_dword v147, v[123:124], off
	global_load_dword v148, v[125:126], off
	global_load_dword v149, v[127:128], off
	v_add_co_u32 v10, s1, v87, s17
	v_add_co_ci_u32_e64 v11, null, s19, v88, s1
	v_add_co_u32 v123, s1, v85, s17
	v_add_co_ci_u32_e64 v124, null, s19, v86, s1
	;; [unrolled: 2-line block ×4, first 2 shown]
	global_load_dword v129, v[129:130], off
	global_load_dword v130, v[10:11], off
	;; [unrolled: 1-line block ×5, first 2 shown]
	v_add_co_u32 v10, s1, v95, s17
	v_add_co_ci_u32_e64 v11, null, s19, v96, s1
	v_add_co_u32 v123, s1, v93, s17
	v_add_co_ci_u32_e64 v124, null, s19, v94, s1
	;; [unrolled: 2-line block ×3, first 2 shown]
	global_load_dword v128, v[10:11], off
	global_load_dword v152, v[123:124], off
	v_add_co_u32 v10, s1, v97, s17
	v_add_co_ci_u32_e64 v11, null, s19, v98, s1
	v_add_co_u32 v123, s1, v103, s17
	v_add_co_ci_u32_e64 v124, null, s19, v104, s1
	global_load_dword v153, v[125:126], off
	global_load_dword v154, v[10:11], off
	;; [unrolled: 1-line block ×3, first 2 shown]
	v_add_co_u32 v10, s1, v101, s17
	v_add_co_ci_u32_e64 v11, null, s19, v102, s1
	v_add_co_u32 v123, s1, v108, s17
	v_add_co_ci_u32_e64 v124, null, s19, v109, s1
	v_add_co_u32 v125, s1, v106, s17
	v_add_co_ci_u32_e64 v126, null, s19, v107, s1
	global_load_dword v123, v[123:124], off
	global_load_dword v124, v[10:11], off
	global_load_dword v125, v[125:126], off
	v_add_co_u32 v10, s1, v8, s17
	v_add_co_ci_u32_e64 v11, null, s19, v9, s1
	v_add_nc_u32_e32 v126, 0x1000, v16
	v_add_nc_u32_e32 v156, 0x1800, v16
	;; [unrolled: 1-line block ×3, first 2 shown]
	global_load_dword v10, v[10:11], off
	v_add_nc_u32_e32 v11, 0x800, v16
	v_add_nc_u32_e32 v158, 0x2800, v16
	s_add_i32 s1, s2, 0xffffff80
	s_cmp_lt_i32 s1, s3
	s_waitcnt vmcnt(36)
	v_and_b32_e32 v159, 0xf0f0f0f, v4
	v_lshrrev_b32_e32 v4, 4, v4
	s_waitcnt vmcnt(35)
	v_ashrrev_i32_e32 v160, v13, v2
	v_ashrrev_i32_e32 v2, v14, v2
	s_waitcnt vmcnt(34)
	v_and_b32_e32 v161, 0xf0f0f0f, v1
	v_lshrrev_b32_e32 v1, 4, v1
	s_waitcnt vmcnt(33)
	v_ashrrev_i32_e32 v162, v13, v3
	v_ashrrev_i32_e32 v3, v14, v3
	v_lshlrev_b32_e32 v160, 4, v160
	v_and_b32_e32 v4, 0xf0f0f0f, v4
	v_lshlrev_b32_e32 v2, 4, v2
	v_lshlrev_b32_e32 v162, 4, v162
	v_and_b32_e32 v1, 0xf0f0f0f, v1
	v_lshlrev_b32_e32 v3, 4, v3
	v_and_or_b32 v159, 0x10101010, v160, v159
	v_and_or_b32 v2, 0x10101010, v2, v4
	;; [unrolled: 1-line block ×4, first 2 shown]
	s_waitcnt vmcnt(32)
	v_and_b32_e32 v163, 0xf0f0f0f, v131
	v_lshrrev_b32_e32 v131, 4, v131
	s_waitcnt vmcnt(31)
	v_ashrrev_i32_e32 v164, v13, v132
	v_ashrrev_i32_e32 v132, v14, v132
	s_waitcnt vmcnt(30)
	v_and_b32_e32 v165, 0xf0f0f0f, v133
	v_lshrrev_b32_e32 v133, 4, v133
	s_waitcnt vmcnt(29)
	v_ashrrev_i32_e32 v166, v13, v134
	v_ashrrev_i32_e32 v134, v14, v134
	s_waitcnt vmcnt(28)
	v_and_b32_e32 v167, 0xf0f0f0f, v135
	v_lshrrev_b32_e32 v135, 4, v135
	v_lshlrev_b32_e32 v164, 4, v164
	v_and_b32_e32 v131, 0xf0f0f0f, v131
	v_lshlrev_b32_e32 v132, 4, v132
	v_lshlrev_b32_e32 v166, 4, v166
	v_and_b32_e32 v133, 0xf0f0f0f, v133
	v_lshlrev_b32_e32 v134, 4, v134
	v_and_b32_e32 v135, 0xf0f0f0f, v135
	v_and_or_b32 v3, 0x10101010, v164, v163
	v_and_or_b32 v131, 0x10101010, v132, v131
	;; [unrolled: 1-line block ×4, first 2 shown]
	s_waitcnt vmcnt(27)
	v_ashrrev_i32_e32 v168, v13, v136
	v_ashrrev_i32_e32 v136, v14, v136
	s_waitcnt vmcnt(26)
	v_and_b32_e32 v169, 0xf0f0f0f, v137
	v_lshrrev_b32_e32 v137, 4, v137
	s_waitcnt vmcnt(25)
	v_ashrrev_i32_e32 v170, v13, v138
	v_ashrrev_i32_e32 v138, v14, v138
	s_waitcnt vmcnt(24)
	v_and_b32_e32 v171, 0xf0f0f0f, v139
	v_lshrrev_b32_e32 v139, 4, v139
	s_waitcnt vmcnt(23)
	v_ashrrev_i32_e32 v172, v13, v140
	v_ashrrev_i32_e32 v140, v14, v140
	v_lshlrev_b32_e32 v168, 4, v168
	v_lshlrev_b32_e32 v136, 4, v136
	v_and_b32_e32 v137, 0xf0f0f0f, v137
	v_lshlrev_b32_e32 v170, 4, v170
	v_lshlrev_b32_e32 v138, 4, v138
	v_and_b32_e32 v139, 0xf0f0f0f, v139
	v_lshlrev_b32_e32 v172, 4, v172
	v_lshlrev_b32_e32 v140, 4, v140
	v_and_or_b32 v134, 0x10101010, v168, v167
	v_and_or_b32 v135, 0x10101010, v136, v135
	;; [unrolled: 1-line block ×3, first 2 shown]
	s_waitcnt vmcnt(22)
	v_and_b32_e32 v173, 0xf0f0f0f, v141
	v_lshrrev_b32_e32 v141, 4, v141
	s_waitcnt vmcnt(21)
	v_ashrrev_i32_e32 v174, v13, v142
	v_ashrrev_i32_e32 v142, v14, v142
	s_waitcnt vmcnt(20)
	v_and_b32_e32 v175, 0xf0f0f0f, v143
	v_lshrrev_b32_e32 v143, 4, v143
	s_waitcnt vmcnt(19)
	v_ashrrev_i32_e32 v176, v13, v144
	v_ashrrev_i32_e32 v144, v14, v144
	s_waitcnt vmcnt(18)
	v_and_b32_e32 v177, 0xf0f0f0f, v145
	v_lshrrev_b32_e32 v145, 4, v145
	v_and_b32_e32 v141, 0xf0f0f0f, v141
	v_lshlrev_b32_e32 v174, 4, v174
	v_lshlrev_b32_e32 v142, 4, v142
	v_and_b32_e32 v143, 0xf0f0f0f, v143
	v_lshlrev_b32_e32 v176, 4, v176
	v_lshlrev_b32_e32 v144, 4, v144
	v_and_b32_e32 v145, 0xf0f0f0f, v145
	v_and_or_b32 v137, 0x10101010, v138, v137
	v_and_or_b32 v138, 0x10101010, v172, v171
	v_and_or_b32 v139, 0x10101010, v140, v139
	v_and_or_b32 v140, 0x10101010, v174, v173
	v_and_or_b32 v141, 0x10101010, v142, v141
	s_waitcnt vmcnt(17)
	v_ashrrev_i32_e32 v178, v13, v146
	v_ashrrev_i32_e32 v146, v14, v146
	s_waitcnt vmcnt(16)
	v_and_b32_e32 v179, 0xf0f0f0f, v147
	v_lshrrev_b32_e32 v147, 4, v147
	s_waitcnt vmcnt(15)
	v_ashrrev_i32_e32 v180, v13, v148
	v_ashrrev_i32_e32 v148, v14, v148
	s_waitcnt vmcnt(14)
	v_and_b32_e32 v181, 0xf0f0f0f, v149
	v_lshrrev_b32_e32 v149, 4, v149
	v_lshlrev_b32_e32 v178, 4, v178
	v_lshlrev_b32_e32 v146, 4, v146
	v_and_b32_e32 v147, 0xf0f0f0f, v147
	v_lshlrev_b32_e32 v180, 4, v180
	v_lshlrev_b32_e32 v148, 4, v148
	v_and_b32_e32 v149, 0xf0f0f0f, v149
	v_and_or_b32 v142, 0x10101010, v176, v175
	v_and_or_b32 v143, 0x10101010, v144, v143
	s_waitcnt vmcnt(13)
	v_ashrrev_i32_e32 v182, v13, v129
	v_ashrrev_i32_e32 v129, v14, v129
	s_waitcnt vmcnt(12)
	v_and_b32_e32 v183, 0xf0f0f0f, v130
	v_lshrrev_b32_e32 v130, 4, v130
	s_waitcnt vmcnt(11)
	v_ashrrev_i32_e32 v184, v13, v150
	v_ashrrev_i32_e32 v150, v14, v150
	s_waitcnt vmcnt(10)
	v_and_b32_e32 v185, 0xf0f0f0f, v151
	v_lshrrev_b32_e32 v151, 4, v151
	s_waitcnt vmcnt(9)
	v_ashrrev_i32_e32 v186, v13, v127
	v_ashrrev_i32_e32 v127, v14, v127
	v_lshlrev_b32_e32 v182, 4, v182
	v_lshlrev_b32_e32 v129, 4, v129
	v_and_b32_e32 v130, 0xf0f0f0f, v130
	v_lshlrev_b32_e32 v184, 4, v184
	v_lshlrev_b32_e32 v150, 4, v150
	v_and_b32_e32 v151, 0xf0f0f0f, v151
	s_waitcnt vmcnt(8)
	v_and_b32_e32 v187, 0xf0f0f0f, v128
	v_lshrrev_b32_e32 v128, 4, v128
	s_waitcnt vmcnt(7)
	v_ashrrev_i32_e32 v188, v13, v152
	v_ashrrev_i32_e32 v152, v14, v152
	v_lshlrev_b32_e32 v186, 4, v186
	v_lshlrev_b32_e32 v127, 4, v127
	v_and_b32_e32 v128, 0xf0f0f0f, v128
	v_lshlrev_b32_e32 v188, 4, v188
	v_lshlrev_b32_e32 v152, 4, v152
	s_waitcnt vmcnt(6)
	v_and_b32_e32 v189, 0xf0f0f0f, v153
	v_lshrrev_b32_e32 v153, 4, v153
	s_waitcnt vmcnt(5)
	v_ashrrev_i32_e32 v190, v13, v154
	v_ashrrev_i32_e32 v154, v14, v154
	s_waitcnt vmcnt(4)
	v_ashrrev_i32_e32 v155, v15, v155
	v_and_or_b32 v144, 0x10101010, v178, v177
	v_and_or_b32 v145, 0x10101010, v146, v145
	;; [unrolled: 1-line block ×8, first 2 shown]
	ds_write2_b32 v16, v159, v2 offset1:8
	ds_write2_b32 v11, v4, v1 offset0:8 offset1:16
	ds_write2_b32 v126, v3, v131 offset0:16 offset1:24
	ds_write2_b32 v156, v132, v133 offset0:24 offset1:32
	ds_write2_b32 v157, v134, v135 offset0:32 offset1:40
	ds_write2_b32 v158, v136, v137 offset0:40 offset1:48
	ds_write2_b32 v110, v138, v139 offset0:48 offset1:56
	ds_write2_b32 v111, v140, v141 offset0:56 offset1:64
	ds_write2_b32 v112, v142, v143 offset0:64 offset1:72
	ds_write2_b32 v113, v144, v145 offset0:72 offset1:80
	ds_write2_b32 v114, v146, v147 offset0:80 offset1:88
	ds_write2_b32 v115, v148, v129 offset0:88 offset1:96
	ds_write2_b32 v116, v149, v130 offset0:96 offset1:104
	s_waitcnt vmcnt(3)
	v_ashrrev_i32_e32 v1, v15, v123
	v_and_b32_e32 v153, 0xf0f0f0f, v153
	v_lshlrev_b32_e32 v190, 4, v190
	v_lshlrev_b32_e32 v154, 4, v154
	v_and_or_b32 v150, 0x10101010, v186, v185
	v_and_or_b32 v127, 0x10101010, v127, v151
	v_and_b32_e32 v4, 0xf0f0f0f, v155
	s_waitcnt vmcnt(2)
	v_ashrrev_i32_e32 v11, v18, v124
	v_and_or_b32 v151, 0x10101010, v188, v187
	v_and_or_b32 v128, 0x10101010, v152, v128
	v_and_b32_e32 v1, 0xf0f0f0f, v1
	s_waitcnt vmcnt(1)
	v_ashrrev_i32_e32 v123, v18, v125
	v_and_or_b32 v2, 0x10101010, v190, v189
	v_and_or_b32 v3, 0x10101010, v154, v153
	ds_write2_b32 v117, v150, v127 offset0:104 offset1:112
	ds_write2_b32 v118, v151, v128 offset0:112 offset1:120
	;; [unrolled: 1-line block ×3, first 2 shown]
	v_and_or_b32 v2, 0x30303030, v11, v4
	v_and_or_b32 v1, 0x30303030, v123, v1
	s_waitcnt vmcnt(0)
	ds_write_b32 v17, v10
	ds_write_b32 v19, v2
	;; [unrolled: 1-line block ×3, first 2 shown]
	s_cbranch_scc0 .LBB213_5
; %bb.7:                                ;   in Loop: Header=BB213_6 Depth=1
	v_cmp_gt_i32_e64 s1, s9, v20
	s_and_b32 s4, s0, s1
	s_and_saveexec_b32 s1, s4
	s_cbranch_execz .LBB213_9
; %bb.8:                                ;   in Loop: Header=BB213_6 Depth=1
	v_add_nc_u32_e32 v1, v36, v20
	v_mad_i64_i32 v[1:2], null, v1, 36, v[5:6]
	global_load_dword v1, v[1:2], off offset:4
	s_waitcnt vmcnt(0)
	ds_write_b32 v24, v1
.LBB213_9:                              ;   in Loop: Header=BB213_6 Depth=1
	s_or_b32 exec_lo, exec_lo, s1
	v_cmp_gt_i32_e64 s1, s9, v120
	s_and_b32 s4, s20, s1
	s_and_saveexec_b32 s1, s4
	s_cbranch_execz .LBB213_11
; %bb.10:                               ;   in Loop: Header=BB213_6 Depth=1
	v_add_nc_u32_e32 v1, v36, v120
	v_mad_i64_i32 v[1:2], null, v1, 36, s[6:7]
	global_load_dword v1, v[1:2], off
	v_add_nc_u32_e32 v2, v23, v25
	s_waitcnt vmcnt(0)
	ds_write_b32 v2, v1
.LBB213_11:                             ;   in Loop: Header=BB213_6 Depth=1
	s_or_b32 exec_lo, exec_lo, s1
	s_waitcnt lgkmcnt(0)
	s_barrier
	buffer_gl0_inv
	ds_read2_b32 v[123:124], v27 offset1:1
	ds_read_b128 v[127:130], v21
	ds_read_b128 v[131:134], v21 offset:16
	ds_read_b128 v[135:138], v21 offset:32
	;; [unrolled: 1-line block ×3, first 2 shown]
	ds_read2_b32 v[125:126], v27 offset0:2 offset1:3
	ds_read2_b32 v[143:144], v27 offset0:4 offset1:5
	;; [unrolled: 1-line block ×4, first 2 shown]
	v_add_nc_u32_e32 v151, 0x2080, v27
	v_mov_b32_e32 v175, 0
	ds_read2_b32 v[10:11], v26 offset1:2
	ds_read_b128 v[1:4], v25 offset:36944
	ds_read2_b32 v[149:150], v27 offset0:10 offset1:11
	v_mov_b32_e32 v176, 0
	ds_read2_b32 v[151:152], v151 offset1:1
	v_add_nc_u32_e32 v161, 0x2090, v27
	v_add_nc_u32_e32 v162, 0x20a0, v27
	v_mov_b32_e32 v177, 0
	v_add_nc_u32_e32 v163, 0x2098, v27
	v_mov_b32_e32 v178, 0
	v_mov_b32_e32 v182, 0
	s_waitcnt lgkmcnt(11)
	v_dot4c_i32_i8 v175, v123, v127
	v_add_nc_u32_e32 v123, 0x2088, v27
	ds_read2_b32 v[153:154], v27 offset0:12 offset1:13
	ds_read2_b32 v[155:156], v27 offset0:14 offset1:15
	;; [unrolled: 1-line block ×3, first 2 shown]
	ds_read2_b32 v[159:160], v123 offset1:1
	v_add_nc_u32_e32 v165, 0x4130, v27
	v_dot4c_i32_i8 v175, v124, v128
	v_add_nc_u32_e32 v167, 0x4138, v27
	s_waitcnt lgkmcnt(8)
	v_dot4c_i32_i8 v176, v147, v135
	v_add_nc_u32_e32 v169, 0x6180, v27
	v_add_nc_u32_e32 v171, 0x6198, v27
	v_dot4c_i32_i8 v175, v125, v129
	ds_read_b32 v123, v31 offset:128
	ds_read_b32 v124, v33 offset:256
	;; [unrolled: 1-line block ×3, first 2 shown]
	v_dot4c_i32_i8 v176, v148, v136
	ds_read2_b32 v[147:148], v161 offset1:1
	ds_read2_b32 v[161:162], v162 offset1:1
	s_waitcnt lgkmcnt(9)
	v_dot4c_i32_i8 v177, v151, v127
	v_dot4c_i32_i8 v175, v126, v130
	ds_read_b32 v126, v29
	v_dot4c_i32_i8 v176, v149, v137
	v_add_nc_u32_e32 v151, 0x4100, v27
	v_dot4c_i32_i8 v177, v152, v128
	v_dot4c_i32_i8 v175, v143, v131
	v_add_nc_u32_e32 v143, 0x20a8, v27
	v_dot4c_i32_i8 v176, v150, v138
	ds_read2_b32 v[149:150], v163 offset1:1
	s_waitcnt lgkmcnt(7)
	v_dot4c_i32_i8 v177, v159, v129
	v_dot4c_i32_i8 v175, v144, v132
	ds_read2_b32 v[143:144], v143 offset1:1
	v_dot4c_i32_i8 v176, v153, v139
	v_add_nc_u32_e32 v173, 0x61a0, v27
	v_dot4c_i32_i8 v177, v160, v130
	v_dot4c_i32_i8 v175, v145, v133
	v_add_nc_u32_e32 v145, 0x20b0, v27
	v_dot4c_i32_i8 v176, v154, v140
	s_waitcnt lgkmcnt(3)
	v_dot4c_i32_i8 v178, v161, v135
	v_dot4c_i32_i8 v177, v147, v131
	;; [unrolled: 1-line block ×3, first 2 shown]
	ds_read2_b32 v[145:146], v145 offset1:1
	v_add_nc_u32_e32 v147, 0x20b8, v27
	v_dot4c_i32_i8 v178, v162, v136
	v_dot4c_i32_i8 v177, v148, v132
	ds_read2_b32 v[147:148], v147 offset1:1
	ds_read2_b32 v[151:152], v151 offset1:1
	v_dot4c_i32_i8 v176, v155, v141
	s_waitcnt lgkmcnt(4)
	v_dot4c_i32_i8 v177, v149, v133
	v_add_nc_u32_e32 v161, 0x4118, v27
	s_waitcnt lgkmcnt(3)
	v_dot4c_i32_i8 v178, v143, v137
	v_add_nc_u32_e32 v143, 0x4108, v27
	v_dot4c_i32_i8 v176, v156, v142
	v_add_nc_u32_e32 v163, 0x4120, v27
	v_dot4c_i32_i8 v177, v150, v134
	v_dot4c_i32_i8 v178, v144, v138
	ds_read2_b32 v[143:144], v143 offset1:1
	ds_read2_b32 v[153:154], v27 offset0:26 offset1:27
	ds_read2_b32 v[155:156], v27 offset0:28 offset1:29
	;; [unrolled: 1-line block ×3, first 2 shown]
	ds_read2_b32 v[149:150], v30 offset1:2
	v_mov_b32_e32 v184, 0
	v_mov_b32_e32 v186, 0
	s_waitcnt lgkmcnt(7)
	v_dot4c_i32_i8 v178, v145, v139
	v_add_nc_u32_e32 v145, 0x4110, v27
	v_cvt_f32_ubyte0_e32 v179, v11
	v_cvt_f32_ubyte1_e32 v180, v11
	v_cvt_f32_f16_sdwa v181, v126 dst_sel:DWORD dst_unused:UNUSED_PAD src0_sel:WORD_1
	v_dot4c_i32_i8 v178, v146, v140
	s_waitcnt lgkmcnt(5)
	v_dot4c_i32_i8 v182, v151, v127
	ds_read2_b32 v[145:146], v145 offset1:1
	ds_read2_b32 v[161:162], v161 offset1:1
	;; [unrolled: 1-line block ×3, first 2 shown]
	v_cvt_f32_f16_sdwa v187, v123 dst_sel:DWORD dst_unused:UNUSED_PAD src0_sel:WORD_1
	v_mov_b32_e32 v188, 0
	v_dot4c_i32_i8 v178, v147, v141
	v_add_nc_u32_e32 v147, 0x4128, v27
	v_dot4c_i32_i8 v182, v152, v128
	ds_read2_b32 v[151:152], v147 offset1:1
	ds_read2_b32 v[165:166], v165 offset1:1
	;; [unrolled: 1-line block ×4, first 2 shown]
	s_waitcnt lgkmcnt(11)
	v_dot4c_i32_i8 v182, v143, v129
	v_add_nc_u32_e32 v143, 0x6188, v27
	v_add_nc_u32_e32 v147, 0x6190, v27
	v_dot4c_i32_i8 v178, v148, v142
	s_waitcnt lgkmcnt(7)
	v_cvt_f32_ubyte0_e32 v183, v150
	v_dot4c_i32_i8 v182, v144, v130
	ds_read2_b32 v[143:144], v143 offset1:1
	ds_read2_b32 v[147:148], v147 offset1:1
	;; [unrolled: 1-line block ×4, first 2 shown]
	v_cvt_f32_ubyte1_e32 v185, v150
	v_mov_b32_e32 v191, 0
	v_cvt_f32_ubyte2_e32 v190, v11
	s_waitcnt lgkmcnt(8)
	v_dot4c_i32_i8 v184, v163, v135
	v_dot4c_i32_i8 v182, v145, v131
	v_add_nc_u32_e32 v163, 0x61a8, v27
	v_cvt_f32_ubyte3_e32 v11, v11
	s_cmp_ge_i32 s2, s3
	v_dot4c_i32_i8 v184, v164, v136
	v_dot4c_i32_i8 v182, v146, v132
	ds_read2_b32 v[145:146], v32 offset1:2
	ds_read2_b32 v[163:164], v163 offset1:1
	s_waitcnt lgkmcnt(6)
	v_dot4c_i32_i8 v186, v169, v127
	v_add_nc_u32_e32 v127, 0x61b0, v27
	v_dot4c_i32_i8 v182, v161, v133
	v_mov_b32_e32 v161, 0
	v_dot4c_i32_i8 v184, v151, v137
	v_dot4c_i32_i8 v186, v170, v128
	ds_read2_b32 v[127:128], v127 offset1:1
	v_dot4c_i32_i8 v182, v162, v134
	s_waitcnt lgkmcnt(3)
	v_dot4c_i32_i8 v161, v173, v135
	v_add_nc_u32_e32 v135, 0x20c0, v27
	v_dot4c_i32_i8 v186, v143, v129
	v_add_nc_u32_e32 v129, 0x61b8, v27
	v_dot4c_i32_i8 v184, v152, v138
	v_dot4c_i32_i8 v161, v174, v136
	v_add_nc_u32_e32 v169, 0x20e0, v27
	v_dot4c_i32_i8 v186, v144, v130
	ds_read2_b32 v[143:144], v34 offset1:2
	ds_read2_b32 v[129:130], v129 offset1:1
	;; [unrolled: 1-line block ×3, first 2 shown]
	v_and_b32_e32 v135, 0xff, v10
	s_waitcnt lgkmcnt(4)
	v_dot4c_i32_i8 v161, v163, v137
	v_dot4c_i32_i8 v184, v165, v139
	;; [unrolled: 1-line block ×3, first 2 shown]
	v_bfe_u32 v136, v145, 8, 8
	v_mul_lo_u32 v135, v175, v135
	v_dot4c_i32_i8 v161, v164, v138
	v_dot4c_i32_i8 v184, v166, v140
	;; [unrolled: 1-line block ×3, first 2 shown]
	v_bfe_u32 v132, v10, 8, 8
	v_cvt_f32_ubyte0_e32 v131, v146
	s_waitcnt lgkmcnt(3)
	v_dot4c_i32_i8 v161, v127, v139
	v_dot4c_i32_i8 v184, v167, v141
	;; [unrolled: 1-line block ×3, first 2 shown]
	v_mul_lo_u32 v127, v176, v132
	v_cvt_f32_i32_e32 v133, v135
	v_dot4c_i32_i8 v161, v128, v140
	v_fma_mix_f32 v128, v1, v179, 0 op_sel:[1,0,0] op_sel_hi:[1,0,0]
	v_dot4c_i32_i8 v186, v172, v134
	v_bfe_u32 v134, v149, 8, 8
	v_fma_mix_f32 v133, v1, v133, 0 op_sel_hi:[1,0,0]
	s_waitcnt lgkmcnt(1)
	v_dot4c_i32_i8 v161, v129, v141
	v_cvt_f32_i32_e32 v127, v127
	v_and_b32_e32 v129, 0xff, v149
	v_fma_mix_f32 v128, v2, v180, v128 op_sel:[1,0,0] op_sel_hi:[1,0,0]
	v_dot4c_i32_i8 v184, v168, v142
	v_mul_lo_u32 v134, v178, v134
	v_fma_mix_f32 v127, v2, v127, v133 op_sel_hi:[1,0,0]
	v_and_b32_e32 v133, 0xff, v145
	v_mul_lo_u32 v129, v177, v129
	v_mul_f32_e32 v128, v128, v181
	v_dot4c_i32_i8 v161, v130, v142
	v_fma_mix_f32 v130, v1, v183, 0 op_sel:[1,0,0] op_sel_hi:[1,0,0]
	v_mul_lo_u32 v133, v182, v133
	v_cvt_f32_i32_e32 v134, v134
	v_fma_mix_f32 v127, v127, v126, -v128 op_sel_hi:[0,1,0]
	v_mul_lo_u32 v128, v184, v136
	v_cvt_f32_i32_e32 v129, v129
	v_fma_mix_f32 v130, v2, v185, v130 op_sel:[1,0,0] op_sel_hi:[1,0,0]
	v_cvt_f32_ubyte1_e32 v132, v146
	v_fma_mix_f32 v131, v1, v131, 0 op_sel:[1,0,0] op_sel_hi:[1,0,0]
	v_cvt_f32_i32_e32 v133, v133
	v_fma_mix_f32 v129, v1, v129, 0 op_sel_hi:[1,0,0]
	v_mul_f32_e32 v130, v130, v187
	v_cvt_f32_i32_e32 v128, v128
	v_fma_mix_f32 v131, v2, v132, v131 op_sel:[1,0,0] op_sel_hi:[1,0,0]
	v_fma_mix_f32 v133, v1, v133, 0 op_sel_hi:[1,0,0]
	v_fma_mix_f32 v129, v2, v134, v129 op_sel_hi:[1,0,0]
	v_and_b32_e32 v132, 0xff, v143
	v_cvt_f32_f16_sdwa v175, v124 dst_sel:DWORD dst_unused:UNUSED_PAD src0_sel:WORD_1
	v_add_f32_e32 v105, v105, v127
	v_fma_mix_f32 v133, v2, v128, v133 op_sel_hi:[1,0,0]
	v_fma_mix_f32 v136, v129, v123, -v130 op_sel_hi:[0,1,0]
	ds_read_b128 v[127:130], v21 offset:64
	v_bfe_u32 v134, v143, 8, 8
	v_mul_lo_u32 v132, v186, v132
	v_mul_f32_e32 v131, v131, v175
	v_add_f32_e32 v178, v122, v136
	v_mov_b32_e32 v183, 0
	v_mul_lo_u32 v134, v161, v134
	v_cvt_f32_ubyte0_e32 v135, v144
	v_fma_mix_f32 v131, v133, v124, -v131 op_sel_hi:[0,1,0]
	v_add_nc_u32_e32 v142, 0x20c8, v27
	v_cvt_f32_i32_e32 v122, v132
	v_add_nc_u32_e32 v165, 0x20d0, v27
	v_add_nc_u32_e32 v167, 0x20d8, v27
	v_add_f32_e32 v180, v121, v131
	v_cvt_f32_i32_e32 v139, v134
	v_fma_mix_f32 v140, v1, v122, 0 op_sel_hi:[1,0,0]
	ds_read_b128 v[131:134], v21 offset:96
	ds_read2_b32 v[121:122], v27 offset0:18 offset1:19
	ds_read2_b32 v[147:148], v27 offset0:20 offset1:21
	;; [unrolled: 1-line block ×4, first 2 shown]
	v_fma_mix_f32 v1, v1, v135, 0 op_sel:[1,0,0] op_sel_hi:[1,0,0]
	v_cvt_f32_ubyte1_e32 v141, v144
	s_waitcnt lgkmcnt(5)
	v_dot4c_i32_i8 v183, v157, v127
	ds_read_b128 v[135:138], v21 offset:80
	v_mov_b32_e32 v184, 0
	v_fma_mix_f32 v171, v2, v139, v140 op_sel_hi:[1,0,0]
	v_fma_mix_f32 v172, v2, v141, v1 op_sel:[1,0,0] op_sel_hi:[1,0,0]
	v_dot4c_i32_i8 v183, v158, v128
	ds_read2_b32 v[157:158], v142 offset1:1
	ds_read2_b32 v[165:166], v165 offset1:1
	;; [unrolled: 1-line block ×4, first 2 shown]
	v_add_nc_u32_e32 v1, 0x20e8, v27
	ds_read_b128 v[139:142], v21 offset:112
	v_mov_b32_e32 v185, 0
	v_cvt_f32_f16_sdwa v186, v125 dst_sel:DWORD dst_unused:UNUSED_PAD src0_sel:WORD_1
	v_add_nc_u32_e32 v173, 0x61e0, v27
	ds_read2_b32 v[1:2], v1 offset1:1
	v_lshrrev_b32_e32 v176, 24, v10
	s_waitcnt lgkmcnt(10)
	v_dot4c_i32_i8 v183, v121, v129
	v_add_nc_u32_e32 v121, 0x20f0, v27
	v_dot4c_i32_i8 v185, v151, v127
	s_waitcnt lgkmcnt(7)
	v_dot4c_i32_i8 v184, v163, v131
	v_add_nc_u32_e32 v151, 0x4140, v27
	v_dot4c_i32_i8 v183, v122, v130
	ds_read2_b32 v[121:122], v121 offset1:1
	v_dot4c_i32_i8 v185, v152, v128
	v_dot4c_i32_i8 v184, v164, v132
	v_add_nc_u32_e32 v163, 0x61c0, v27
	s_waitcnt lgkmcnt(7)
	v_dot4c_i32_i8 v183, v147, v135
	v_add_nc_u32_e32 v147, 0x20f8, v27
	s_waitcnt lgkmcnt(3)
	v_dot4c_i32_i8 v188, v169, v131
	v_dot4c_i32_i8 v184, v153, v133
	;; [unrolled: 1-line block ×4, first 2 shown]
	ds_read2_b32 v[147:148], v147 offset1:1
	ds_read2_b32 v[151:152], v151 offset1:1
	v_dot4c_i32_i8 v188, v170, v132
	v_dot4c_i32_i8 v184, v154, v134
	;; [unrolled: 1-line block ×4, first 2 shown]
	v_add_nc_u32_e32 v153, 0x4158, v27
	s_waitcnt lgkmcnt(3)
	v_dot4c_i32_i8 v188, v1, v133
	v_dot4c_i32_i8 v184, v155, v139
	v_mul_f32_e32 v1, v172, v186
	v_dot4c_i32_i8 v185, v165, v135
	v_add_nc_u32_e32 v155, 0x4160, v27
	v_dot4c_i32_i8 v188, v2, v134
	v_dot4c_i32_i8 v184, v156, v140
	v_fma_mix_f32 v189, v171, v125, -v1 op_sel_hi:[0,1,0]
	v_add_nc_u32_e32 v1, 0x4148, v27
	v_dot4c_i32_i8 v185, v166, v136
	s_waitcnt lgkmcnt(2)
	v_dot4c_i32_i8 v188, v121, v139
	v_dot4c_i32_i8 v184, v159, v141
	v_add_nc_u32_e32 v121, 0x4150, v27
	v_add_nc_u32_e32 v157, 0x4168, v27
	v_add_nc_u32_e32 v159, 0x4170, v27
	v_add_nc_u32_e32 v161, 0x4178, v27
	v_dot4c_i32_i8 v183, v162, v138
	v_dot4c_i32_i8 v184, v160, v142
	;; [unrolled: 1-line block ×3, first 2 shown]
	ds_read2_b32 v[1:2], v1 offset1:1
	ds_read2_b32 v[121:122], v121 offset1:1
	;; [unrolled: 1-line block ×8, first 2 shown]
	v_add_nc_u32_e32 v165, 0x61c8, v27
	v_dot4c_i32_i8 v185, v167, v137
	v_add_nc_u32_e32 v167, 0x61d0, v27
	v_add_nc_u32_e32 v171, 0x61d8, v27
	ds_read2_b32 v[165:166], v165 offset1:1
	ds_read2_b32 v[169:170], v167 offset1:1
	;; [unrolled: 1-line block ×4, first 2 shown]
	s_waitcnt lgkmcnt(12)
	v_dot4c_i32_i8 v191, v151, v127
	v_dot4c_i32_i8 v188, v147, v141
	v_add_nc_u32_e32 v147, 0x61e8, v27
	v_mov_b32_e32 v151, 0
	v_bfe_u32 v10, v10, 16, 8
	v_dot4c_i32_i8 v191, v152, v128
	v_mov_b32_e32 v152, 0
	v_dot4c_i32_i8 v188, v148, v142
	ds_read2_b32 v[147:148], v147 offset1:1
	s_waitcnt lgkmcnt(9)
	v_dot4c_i32_i8 v151, v155, v131
	v_dot4c_i32_i8 v191, v1, v129
	v_add_nc_u32_e32 v1, 0x61f0, v27
	s_waitcnt lgkmcnt(5)
	v_dot4c_i32_i8 v152, v163, v127
	v_mov_b32_e32 v127, 0
	v_dot4c_i32_i8 v151, v156, v132
	v_dot4c_i32_i8 v191, v2, v130
	ds_read2_b32 v[1:2], v1 offset1:1
	v_dot4c_i32_i8 v152, v164, v128
	v_dot4c_i32_i8 v185, v168, v138
	s_waitcnt lgkmcnt(2)
	v_dot4c_i32_i8 v127, v173, v131
	v_dot4c_i32_i8 v191, v121, v135
	v_add_nc_u32_e32 v121, 0x61f8, v27
	v_dot4c_i32_i8 v152, v165, v129
	v_dot4c_i32_i8 v151, v157, v133
	;; [unrolled: 1-line block ×4, first 2 shown]
	ds_read2_b32 v[121:122], v121 offset1:1
	v_dot4c_i32_i8 v152, v166, v130
	v_dot4c_i32_i8 v151, v158, v134
	s_waitcnt lgkmcnt(2)
	v_dot4c_i32_i8 v127, v147, v133
	v_mul_lo_u32 v129, v184, v176
	v_bfe_u32 v130, v149, 16, 8
	v_dot4c_i32_i8 v152, v169, v135
	v_dot4c_i32_i8 v151, v159, v139
	;; [unrolled: 1-line block ×3, first 2 shown]
	v_lshrrev_b32_e32 v177, 24, v149
	v_dot4c_i32_i8 v191, v153, v137
	v_dot4c_i32_i8 v152, v170, v136
	;; [unrolled: 1-line block ×3, first 2 shown]
	s_waitcnt lgkmcnt(1)
	v_dot4c_i32_i8 v127, v1, v139
	v_mul_lo_u32 v1, v183, v10
	v_dot4c_i32_i8 v191, v154, v138
	v_dot4c_i32_i8 v152, v171, v137
	;; [unrolled: 1-line block ×4, first 2 shown]
	v_mul_lo_u32 v132, v188, v177
	v_lshrrev_b32_e32 v179, 24, v145
	v_dot4c_i32_i8 v152, v172, v138
	v_cvt_f32_i32_e32 v1, v1
	s_waitcnt lgkmcnt(0)
	v_dot4c_i32_i8 v127, v121, v141
	v_cvt_f32_i32_e32 v121, v129
	v_mul_lo_u32 v129, v185, v130
	v_fma_mix_f32 v130, v3, v190, 0 op_sel:[1,0,0] op_sel_hi:[1,0,0]
	v_fma_mix_f32 v1, v3, v1, 0 op_sel_hi:[1,0,0]
	v_dot4c_i32_i8 v127, v122, v142
	v_bfe_u32 v122, v145, 16, 8
	v_lshrrev_b32_e32 v182, 24, v143
	v_fma_mix_f32 v11, v4, v11, v130 op_sel:[1,0,0] op_sel_hi:[1,0,0]
	v_bfe_u32 v130, v143, 16, 8
	v_fma_mix_f32 v1, v4, v121, v1 op_sel_hi:[1,0,0]
	v_cvt_f32_i32_e32 v121, v129
	v_dot4c_i32_i8 v151, v162, v142
	v_mul_lo_u32 v122, v191, v122
	v_mul_lo_u32 v130, v152, v130
	v_cvt_f32_ubyte2_e32 v167, v150
	v_cvt_f32_ubyte2_e32 v10, v146
	v_cvt_f32_ubyte2_e32 v131, v144
	v_cvt_f32_i32_e32 v132, v132
	v_fma_mix_f32 v121, v3, v121, 0 op_sel_hi:[1,0,0]
	v_mul_lo_u32 v133, v151, v179
	v_mul_lo_u32 v127, v127, v182
	v_cvt_f32_ubyte3_e32 v128, v150
	v_cvt_f32_ubyte3_e32 v2, v146
	v_fma_mix_f32 v129, v3, v167, 0 op_sel:[1,0,0] op_sel_hi:[1,0,0]
	v_fma_mix_f32 v121, v4, v132, v121 op_sel_hi:[1,0,0]
	v_fma_mix_f32 v10, v3, v10, 0 op_sel:[1,0,0] op_sel_hi:[1,0,0]
	v_cvt_f32_i32_e32 v122, v122
	v_cvt_f32_i32_e32 v130, v130
	v_fma_mix_f32 v131, v3, v131, 0 op_sel:[1,0,0] op_sel_hi:[1,0,0]
	v_cvt_f32_ubyte3_e32 v132, v144
	v_fma_mix_f32 v128, v4, v128, v129 op_sel:[1,0,0] op_sel_hi:[1,0,0]
	v_cvt_f32_i32_e32 v129, v133
	v_fma_mix_f32 v122, v3, v122, 0 op_sel_hi:[1,0,0]
	v_fma_mix_f32 v2, v4, v2, v10 op_sel:[1,0,0] op_sel_hi:[1,0,0]
	v_cvt_f32_i32_e32 v10, v127
	v_fma_mix_f32 v3, v3, v130, 0 op_sel_hi:[1,0,0]
	v_fma_mix_f32 v127, v4, v132, v131 op_sel:[1,0,0] op_sel_hi:[1,0,0]
	v_mul_f32_e32 v11, v11, v181
	v_mul_f32_e32 v128, v128, v187
	v_fma_mix_f32 v122, v4, v129, v122 op_sel_hi:[1,0,0]
	v_mul_f32_e32 v2, v2, v175
	v_fma_mix_f32 v3, v4, v10, v3 op_sel_hi:[1,0,0]
	v_mul_f32_e32 v4, v127, v186
	v_add_f32_e32 v7, v7, v189
	v_fma_mix_f32 v1, v1, v126, -v11 op_sel_hi:[0,1,0]
	v_fma_mix_f32 v10, v121, v123, -v128 op_sel_hi:[0,1,0]
	v_fma_mix_f32 v2, v122, v124, -v2 op_sel_hi:[0,1,0]
	v_fma_mix_f32 v3, v3, v125, -v4 op_sel_hi:[0,1,0]
	v_add_f32_e32 v105, v105, v1
	v_add_f32_e32 v122, v178, v10
	;; [unrolled: 1-line block ×4, first 2 shown]
	s_barrier
	buffer_gl0_inv
	s_cbranch_scc1 .LBB213_5
; %bb.12:                               ;   in Loop: Header=BB213_6 Depth=1
	v_cmp_gt_i32_e64 s1, s9, v28
	s_and_b32 s4, s0, s1
	s_and_saveexec_b32 s1, s4
	s_cbranch_execz .LBB213_14
; %bb.13:                               ;   in Loop: Header=BB213_6 Depth=1
	v_add_nc_u32_e32 v1, v36, v28
	v_mad_i64_i32 v[1:2], null, v1, 36, v[5:6]
	global_load_dword v1, v[1:2], off offset:4
	s_waitcnt vmcnt(0)
	ds_write_b32 v24, v1
.LBB213_14:                             ;   in Loop: Header=BB213_6 Depth=1
	s_or_b32 exec_lo, exec_lo, s1
	s_and_saveexec_b32 s4, vcc_lo
	s_cbranch_execz .LBB213_4
; %bb.15:                               ;   in Loop: Header=BB213_6 Depth=1
	v_add_nc_u32_e32 v1, 4, v120
	v_cmp_gt_i32_e64 s1, s9, v1
	s_and_b32 s1, s0, s1
	s_and_b32 exec_lo, exec_lo, s1
	s_cbranch_execz .LBB213_4
; %bb.16:                               ;   in Loop: Header=BB213_6 Depth=1
	v_ashrrev_i32_e32 v1, 31, v120
	v_ashrrev_i32_e32 v2, 31, v36
	v_add_co_u32 v3, s1, v36, v120
	v_add_co_ci_u32_e64 v4, null, v2, v1, s1
	v_mad_u64_u32 v[1:2], null, v3, 36, s[6:7]
	v_mad_i32_i24 v2, v4, 36, v2
	global_load_dword v1, v[1:2], off offset:144
	v_add_nc_u32_e32 v2, v23, v25
	s_waitcnt vmcnt(0)
	ds_write_b32 v2, v1
	s_branch .LBB213_4
.LBB213_17:
	s_mul_i32 s0, s11, s8
	s_waitcnt vmcnt(0)
	v_cmp_gt_i32_e32 vcc_lo, s0, v12
	s_and_saveexec_b32 s0, vcc_lo
	s_cbranch_execz .LBB213_26
; %bb.18:
	v_add_nc_u32_e32 v1, s16, v0
	v_mul_lo_u32 v0, v12, s10
	s_mov_b32 s0, exec_lo
	v_cmpx_gt_u32_e64 s10, v1
	s_cbranch_execz .LBB213_20
; %bb.19:
	v_add_nc_u32_e32 v2, v0, v1
	v_mov_b32_e32 v3, 0
	v_cvt_f16_f32_e32 v4, v105
	v_lshlrev_b64 v[2:3], 1, v[2:3]
	v_add_co_u32 v2, vcc_lo, s12, v2
	v_add_co_ci_u32_e64 v3, null, s13, v3, vcc_lo
	global_store_short v[2:3], v4, off
.LBB213_20:
	s_or_b32 exec_lo, exec_lo, s0
	v_add_nc_u32_e32 v2, 32, v1
	s_mov_b32 s0, exec_lo
	v_cmpx_gt_u32_e64 s10, v2
	s_cbranch_execz .LBB213_22
; %bb.21:
	v_add_nc_u32_e32 v2, v0, v2
	v_mov_b32_e32 v3, 0
	v_cvt_f16_f32_e32 v4, v122
	v_lshlrev_b64 v[2:3], 1, v[2:3]
	v_add_co_u32 v2, vcc_lo, s12, v2
	v_add_co_ci_u32_e64 v3, null, s13, v3, vcc_lo
	global_store_short v[2:3], v4, off
.LBB213_22:
	s_or_b32 exec_lo, exec_lo, s0
	v_add_nc_u32_e32 v2, 64, v1
	;; [unrolled: 14-line block ×3, first 2 shown]
	v_cmp_gt_u32_e32 vcc_lo, s10, v1
	s_and_b32 exec_lo, exec_lo, vcc_lo
	s_cbranch_execz .LBB213_26
; %bb.25:
	v_add_nc_u32_e32 v0, v0, v1
	v_mov_b32_e32 v1, 0
	v_cvt_f16_f32_e32 v2, v7
	v_lshlrev_b64 v[0:1], 1, v[0:1]
	v_add_co_u32 v0, vcc_lo, s12, v0
	v_add_co_ci_u32_e64 v1, null, s13, v1, vcc_lo
	global_store_short v[0:1], v2, off
.LBB213_26:
	s_endpgm
	.section	.rodata,"a",@progbits
	.p2align	6, 0x0
	.amdhsa_kernel _ZL8moe_q5_KIN3c104HalfELb0EEvPKvS3_PT_PKiS7_S7_iiiiiii
		.amdhsa_group_segment_fixed_size 37072
		.amdhsa_private_segment_fixed_size 0
		.amdhsa_kernarg_size 76
		.amdhsa_user_sgpr_count 6
		.amdhsa_user_sgpr_private_segment_buffer 1
		.amdhsa_user_sgpr_dispatch_ptr 0
		.amdhsa_user_sgpr_queue_ptr 0
		.amdhsa_user_sgpr_kernarg_segment_ptr 1
		.amdhsa_user_sgpr_dispatch_id 0
		.amdhsa_user_sgpr_flat_scratch_init 0
		.amdhsa_user_sgpr_private_segment_size 0
		.amdhsa_wavefront_size32 1
		.amdhsa_uses_dynamic_stack 0
		.amdhsa_system_sgpr_private_segment_wavefront_offset 0
		.amdhsa_system_sgpr_workgroup_id_x 1
		.amdhsa_system_sgpr_workgroup_id_y 1
		.amdhsa_system_sgpr_workgroup_id_z 0
		.amdhsa_system_sgpr_workgroup_info 0
		.amdhsa_system_vgpr_workitem_id 1
		.amdhsa_next_free_vgpr 192
		.amdhsa_next_free_sgpr 24
		.amdhsa_reserve_vcc 1
		.amdhsa_reserve_flat_scratch 0
		.amdhsa_float_round_mode_32 0
		.amdhsa_float_round_mode_16_64 0
		.amdhsa_float_denorm_mode_32 3
		.amdhsa_float_denorm_mode_16_64 3
		.amdhsa_dx10_clamp 1
		.amdhsa_ieee_mode 1
		.amdhsa_fp16_overflow 0
		.amdhsa_workgroup_processor_mode 1
		.amdhsa_memory_ordered 1
		.amdhsa_forward_progress 1
		.amdhsa_shared_vgpr_count 0
		.amdhsa_exception_fp_ieee_invalid_op 0
		.amdhsa_exception_fp_denorm_src 0
		.amdhsa_exception_fp_ieee_div_zero 0
		.amdhsa_exception_fp_ieee_overflow 0
		.amdhsa_exception_fp_ieee_underflow 0
		.amdhsa_exception_fp_ieee_inexact 0
		.amdhsa_exception_int_div_zero 0
	.end_amdhsa_kernel
	.section	.text._ZL8moe_q5_KIN3c104HalfELb0EEvPKvS3_PT_PKiS7_S7_iiiiiii,"axG",@progbits,_ZL8moe_q5_KIN3c104HalfELb0EEvPKvS3_PT_PKiS7_S7_iiiiiii,comdat
.Lfunc_end213:
	.size	_ZL8moe_q5_KIN3c104HalfELb0EEvPKvS3_PT_PKiS7_S7_iiiiiii, .Lfunc_end213-_ZL8moe_q5_KIN3c104HalfELb0EEvPKvS3_PT_PKiS7_S7_iiiiiii
                                        ; -- End function
	.set _ZL8moe_q5_KIN3c104HalfELb0EEvPKvS3_PT_PKiS7_S7_iiiiiii.num_vgpr, 192
	.set _ZL8moe_q5_KIN3c104HalfELb0EEvPKvS3_PT_PKiS7_S7_iiiiiii.num_agpr, 0
	.set _ZL8moe_q5_KIN3c104HalfELb0EEvPKvS3_PT_PKiS7_S7_iiiiiii.numbered_sgpr, 24
	.set _ZL8moe_q5_KIN3c104HalfELb0EEvPKvS3_PT_PKiS7_S7_iiiiiii.num_named_barrier, 0
	.set _ZL8moe_q5_KIN3c104HalfELb0EEvPKvS3_PT_PKiS7_S7_iiiiiii.private_seg_size, 0
	.set _ZL8moe_q5_KIN3c104HalfELb0EEvPKvS3_PT_PKiS7_S7_iiiiiii.uses_vcc, 1
	.set _ZL8moe_q5_KIN3c104HalfELb0EEvPKvS3_PT_PKiS7_S7_iiiiiii.uses_flat_scratch, 0
	.set _ZL8moe_q5_KIN3c104HalfELb0EEvPKvS3_PT_PKiS7_S7_iiiiiii.has_dyn_sized_stack, 0
	.set _ZL8moe_q5_KIN3c104HalfELb0EEvPKvS3_PT_PKiS7_S7_iiiiiii.has_recursion, 0
	.set _ZL8moe_q5_KIN3c104HalfELb0EEvPKvS3_PT_PKiS7_S7_iiiiiii.has_indirect_call, 0
	.section	.AMDGPU.csdata,"",@progbits
; Kernel info:
; codeLenInByte = 11840
; TotalNumSgprs: 26
; NumVgprs: 192
; ScratchSize: 0
; MemoryBound: 0
; FloatMode: 240
; IeeeMode: 1
; LDSByteSize: 37072 bytes/workgroup (compile time only)
; SGPRBlocks: 0
; VGPRBlocks: 23
; NumSGPRsForWavesPerEU: 26
; NumVGPRsForWavesPerEU: 192
; Occupancy: 5
; WaveLimiterHint : 1
; COMPUTE_PGM_RSRC2:SCRATCH_EN: 0
; COMPUTE_PGM_RSRC2:USER_SGPR: 6
; COMPUTE_PGM_RSRC2:TRAP_HANDLER: 0
; COMPUTE_PGM_RSRC2:TGID_X_EN: 1
; COMPUTE_PGM_RSRC2:TGID_Y_EN: 1
; COMPUTE_PGM_RSRC2:TGID_Z_EN: 0
; COMPUTE_PGM_RSRC2:TIDIG_COMP_CNT: 1
	.section	.text._ZL8moe_q5_KIN3c104HalfELb1EEvPKvS3_PT_PKiS7_S7_iiiiiii,"axG",@progbits,_ZL8moe_q5_KIN3c104HalfELb1EEvPKvS3_PT_PKiS7_S7_iiiiiii,comdat
	.globl	_ZL8moe_q5_KIN3c104HalfELb1EEvPKvS3_PT_PKiS7_S7_iiiiiii ; -- Begin function _ZL8moe_q5_KIN3c104HalfELb1EEvPKvS3_PT_PKiS7_S7_iiiiiii
	.p2align	8
	.type	_ZL8moe_q5_KIN3c104HalfELb1EEvPKvS3_PT_PKiS7_S7_iiiiiii,@function
_ZL8moe_q5_KIN3c104HalfELb1EEvPKvS3_PT_PKiS7_S7_iiiiiii: ; @_ZL8moe_q5_KIN3c104HalfELb1EEvPKvS3_PT_PKiS7_S7_iiiiiii
; %bb.0:
	s_load_dwordx4 s[0:3], s[4:5], 0x18
	s_mov_b32 s8, s7
	s_mov_b32 s9, 0
	s_lshl_b64 s[10:11], s[8:9], 2
	s_waitcnt lgkmcnt(0)
	s_add_u32 s2, s2, s10
	s_addc_u32 s3, s3, s11
	s_load_dword s2, s[2:3], 0x0
	s_waitcnt lgkmcnt(0)
	s_cmpk_gt_u32 s2, 0xff
	s_cbranch_scc1 .LBB214_26
; %bb.1:
	s_load_dwordx2 s[10:11], s[4:5], 0x28
	s_lshl_b32 s3, s8, 3
	s_waitcnt lgkmcnt(0)
	s_load_dword s7, s[10:11], 0x0
	s_waitcnt lgkmcnt(0)
	s_cmp_gt_u32 s3, s7
	s_cbranch_scc1 .LBB214_26
; %bb.2:
	v_add_nc_u32_e32 v22, s3, v1
	v_mov_b32_e32 v23, 0
	s_lshl_b32 s3, s6, 7
	v_lshlrev_b64 v[2:3], 2, v[22:23]
	v_mov_b32_e32 v127, v23
	v_mov_b32_e32 v128, v23
	;; [unrolled: 1-line block ×3, first 2 shown]
	v_add_co_u32 v2, vcc_lo, s0, v2
	v_add_co_ci_u32_e64 v3, null, s1, v3, vcc_lo
	global_load_dword v28, v[2:3], off
	s_clause 0x1
	s_load_dwordx8 s[8:15], s[4:5], 0x30
	s_load_dwordx2 s[16:17], s[4:5], 0x10
	s_waitcnt lgkmcnt(0)
	s_cmpk_lt_i32 s9, 0x100
	s_cbranch_scc1 .LBB214_17
; %bb.3:
	s_ashr_i32 s0, s9, 31
	s_ashr_i32 s1, s12, 31
	s_lshr_b32 s0, s0, 24
	v_lshlrev_b32_e32 v3, 1, v0
	v_and_b32_e32 v4, 7, v0
	s_add_i32 s0, s9, s0
	s_lshr_b32 s1, s1, 27
	s_ashr_i32 s15, s0, 8
	s_add_i32 s0, s12, s1
	v_and_or_b32 v4, v3, 48, v4
	s_ashr_i32 s12, s0, 5
	s_not_b32 s0, s3
	v_add_nc_u32_e32 v6, 8, v1
	s_add_i32 s0, s10, s0
	v_lshlrev_b32_e32 v4, 2, v4
	v_min_i32_e32 v5, s0, v1
	v_add_nc_u32_e32 v8, 16, v1
	v_lshl_add_u32 v18, v1, 5, v0
	v_min_i32_e32 v7, s0, v6
	v_add_nc_u32_e32 v9, 24, v1
	v_mul_lo_u32 v25, v5, s15
	v_mad_u64_u32 v[5:6], null, 0x104, v5, v[4:5]
	v_add_nc_u32_e32 v10, 32, v1
	v_add_nc_u32_e32 v11, 40, v1
	;; [unrolled: 1-line block ×3, first 2 shown]
	v_min_i32_e32 v8, s0, v8
	v_add_nc_u32_e32 v13, 56, v1
	v_and_b32_e32 v18, 0x7f, v18
	v_min_i32_e32 v9, s0, v9
	v_add_nc_u32_e32 v14, 64, v1
	v_min_i32_e32 v10, s0, v10
	v_add_nc_u32_e32 v15, 0x48, v1
	;; [unrolled: 2-line block ×3, first 2 shown]
	v_mul_lo_u32 v27, v7, s15
	v_mad_u64_u32 v[6:7], null, 0x104, v7, v[4:5]
	v_min_i32_e32 v12, s0, v12
	v_add_nc_u32_e32 v17, 0x58, v1
	v_mul_lo_u32 v55, v8, s15
	v_mad_u64_u32 v[7:8], null, 0x104, v8, v[4:5]
	v_min_i32_e32 v13, s0, v13
	v_add_nc_u32_e32 v20, 0x60, v1
	v_min_i32_e32 v24, s0, v18
	v_mul_lo_u32 v59, v9, s15
	v_mad_u64_u32 v[8:9], null, 0x104, v9, v[4:5]
	v_min_i32_e32 v14, s0, v14
	v_mul_lo_u32 v63, v10, s15
	v_mad_u64_u32 v[9:10], null, 0x104, v10, v[4:5]
	;; [unrolled: 3-line block ×5, first 2 shown]
	v_min_i32_e32 v20, s0, v20
	v_add_nc_u32_e32 v21, 0x68, v1
	v_add_nc_u32_e32 v26, 0x70, v1
	v_ashrrev_i32_e32 v31, 31, v24
	v_mul_lo_u32 v79, v14, s15
	v_mad_u64_u32 v[13:14], null, 0x104, v14, v[4:5]
	v_mul_lo_u32 v83, v15, s15
	v_mad_u64_u32 v[14:15], null, 0x104, v15, v[4:5]
	;; [unrolled: 2-line block ×4, first 2 shown]
	v_lshrrev_b32_e32 v19, 2, v0
	v_mul_lo_u32 v95, v20, s15
	v_min_i32_e32 v21, s0, v21
	v_mad_u64_u32 v[17:18], null, 0x104, v20, v[4:5]
	v_min_i32_e32 v20, s0, v26
	v_add_nc_u32_e32 v26, 0x78, v1
	v_lshrrev_b32_e32 v31, 27, v31
	v_and_b32_e32 v29, 6, v19
	v_mul_lo_u32 v99, v21, s15
	v_lshl_add_u32 v32, v1, 3, v19
	v_mad_u64_u32 v[18:19], null, 0x104, v21, v[4:5]
	v_min_i32_e32 v21, s0, v26
	v_add_nc_u32_e32 v26, v24, v31
	s_abs_i32 s10, s14
	v_and_b32_e32 v31, 0x7f, v32
	v_cvt_f32_u32_e32 v32, s10
	v_mul_lo_u32 v103, v20, s15
	v_ashrrev_i32_e32 v26, 5, v26
	v_mad_u64_u32 v[19:20], null, 0x104, v20, v[4:5]
	v_mul_lo_u32 v108, v21, s15
	v_mad_u64_u32 v[20:21], null, 0x104, v21, v[4:5]
	v_lshlrev_b32_e32 v21, 2, v26
	v_rcp_iflag_f32_e32 v26, v32
	v_and_b32_e32 v4, 3, v0
	v_min_i32_e32 v34, s0, v31
	v_xor_b32_e32 v36, 64, v31
	v_lshlrev_b32_e32 v33, 2, v24
	v_lshlrev_b32_e32 v22, 2, v0
	v_add_nc_u32_e32 v35, 0xfe, v4
	v_ashrrev_i32_e32 v32, 31, v34
	v_min_i32_e32 v36, s0, v36
	s_sub_i32 s0, 0, s10
	v_mul_f32_e32 v26, 0x4f7ffffe, v26
	v_add3_u32 v31, v21, v33, 0x8e40
	v_and_b32_e32 v21, 0xff, v35
	v_mul_lo_u32 v116, v24, s15
	v_lshrrev_b32_e32 v24, 29, v32
	v_cvt_u32_f32_e32 v26, v26
	v_cmp_gt_u32_e32 vcc_lo, 2, v4
	v_ashrrev_i32_e32 v32, 31, v36
	v_and_b32_e32 v33, 4, v22
	v_cmp_lt_u32_e64 s1, 1, v4
	v_mul_lo_u32 v35, s0, v26
	v_cndmask_b32_e32 v21, v21, v4, vcc_lo
	v_lshrrev_b32_e32 v32, 29, v32
	v_cmp_ne_u32_e32 vcc_lo, 0, v4
	v_add_nc_u32_e32 v24, v34, v24
	v_lshlrev_b32_e32 v4, 2, v4
	v_mul_lo_u32 v114, v34, s15
	v_add_nc_u32_e32 v37, v36, v32
	v_mul_hi_u32 v35, v26, v35
	v_add_co_ci_u32_e64 v117, null, 0, v21, vcc_lo
	v_cndmask_b32_e64 v32, 0, v33, s1
	v_lshlrev_b32_e32 v33, 1, v21
	s_waitcnt vmcnt(0)
	v_sub_nc_u32_e32 v21, 0, v28
	v_ashrrev_i32_e32 v24, 3, v24
	v_ashrrev_i32_e32 v37, 3, v37
	v_add_nc_u32_e32 v26, v26, v35
	v_lshlrev_b32_e32 v125, 4, v34
	v_max_i32_e32 v21, v28, v21
	v_lshlrev_b32_e32 v24, 2, v24
	v_lshl_add_u32 v34, v1, 7, 0x8a40
	v_lshrrev_b32_e32 v35, 3, v0
	v_add_nc_u32_e32 v42, 32, v0
	v_mul_hi_u32 v26, v21, v26
	v_add3_u32 v124, v24, v4, 0x8200
	v_lshlrev_b32_e32 v24, 2, v37
	v_lshrrev_b32_e32 v23, 5, v0
	v_lshrrev_b32_e32 v38, 3, v42
	v_lshlrev_b32_e32 v39, 4, v1
	v_xor_b32_e32 v46, s14, v28
	v_add3_u32 v4, v24, v4, 0x8200
	v_and_b32_e32 v24, 31, v0
	v_mul_lo_u32 v43, v26, s10
	v_lshlrev_b32_e32 v1, 2, v23
	s_load_dwordx4 s[4:7], s[4:5], 0x0
	s_mul_i32 s8, s2, s8
	v_lshl_add_u32 v37, v24, 2, v34
	v_add_nc_u32_e32 v24, v35, v22
	s_mul_i32 s2, s15, s3
	v_ashrrev_i32_e32 v46, 31, v46
	v_sub_nc_u32_e32 v21, v21, v43
	s_mul_hi_i32 s19, s2, 0xb0
	v_lshl_add_u32 v40, v24, 2, 0x8200
	v_lshl_add_u32 v24, v42, 2, v38
	v_add3_u32 v42, v22, v1, 0x8e40
	v_add_nc_u32_e32 v1, 1, v26
	v_cmp_le_u32_e64 s0, s10, v21
	s_mul_i32 s18, s2, 0xb0
	v_lshl_add_u32 v43, v24, 2, 0x8200
	v_subrev_nc_u32_e32 v24, s10, v21
	v_add_nc_u32_e32 v45, 0x60, v0
	v_cndmask_b32_e64 v1, v26, v1, s0
	v_add_nc_u32_e32 v26, 64, v0
	v_and_b32_e32 v3, 28, v22
	v_cndmask_b32_e64 v21, v21, v24, s0
	v_lshrrev_b32_e32 v48, 3, v45
	v_add_nc_u32_e32 v24, 1, v1
	v_lshrrev_b32_e32 v47, 3, v26
	v_and_b32_e32 v44, 60, v38
	v_cmp_le_u32_e64 s0, s10, v21
	v_and_b32_e32 v2, 0x7c, v22
	v_mul_lo_u32 v118, v36, s15
	v_lshl_add_u32 v21, v26, 2, v47
	v_and_b32_e32 v26, 60, v47
	v_cndmask_b32_e64 v1, v1, v24, s0
	v_mad_u64_u32 v[23:24], null, 0xb0, v23, s[18:19]
	v_lshl_add_u32 v47, v45, 2, v48
	v_and_b32_e32 v48, 60, v48
	v_xor_b32_e32 v1, v1, v46
	v_lshl_add_u32 v45, v21, 2, 0x8200
	s_waitcnt lgkmcnt(0)
	v_add_co_u32 v21, s2, s6, v3
	v_lshlrev_b32_e32 v126, 4, v36
	v_sub_nc_u32_e32 v1, v1, v46
	v_add3_u32 v46, v22, v26, 0x8e40
	v_mad_i64_i32 v[25:26], null, 0xb0, v25, v[23:24]
	v_add_nc_u32_e32 v36, 0x9050, v22
	v_add3_u32 v44, v22, v44, 0x8e40
	v_add3_u32 v48, v22, v48, 0x8e40
	v_cmp_gt_i32_e64 s0, s11, v1
	v_mul_lo_u32 v49, v1, s12
	v_add_co_ci_u32_e64 v22, null, s7, 0, s2
	v_add_co_u32 v1, s2, v25, v3
	v_add_co_ci_u32_e64 v51, null, 0, v26, s2
	v_cmp_gt_u32_e32 vcc_lo, 4, v0
	v_add_co_u32 v1, s2, s4, v1
	v_add_co_ci_u32_e64 v52, null, s5, v51, s2
	v_add_co_u32 v53, s2, v25, v2
	v_add_co_ci_u32_e64 v54, null, 0, v26, s2
	v_mad_i64_i32 v[25:26], null, 0xb0, v27, v[23:24]
	v_add_co_u32 v51, s2, v1, 16
	v_add_co_ci_u32_e64 v52, null, 0, v52, s2
	v_add_co_u32 v1, s2, s4, v53
	v_add_co_ci_u32_e64 v27, null, s5, v54, s2
	v_add_co_u32 v56, s2, v25, v3
	v_add_co_ci_u32_e64 v57, null, 0, v26, s2
	v_add_co_u32 v53, s2, v1, 48
	v_add_co_ci_u32_e64 v54, null, 0, v27, s2
	v_add_co_u32 v1, s2, s4, v56
	v_add_co_ci_u32_e64 v27, null, s5, v57, s2
	v_add_co_u32 v57, s2, v25, v2
	v_add_co_ci_u32_e64 v58, null, 0, v26, s2
	v_mad_i64_i32 v[25:26], null, 0xb0, v55, v[23:24]
	v_add_co_u32 v55, s2, v1, 16
	v_add_co_ci_u32_e64 v56, null, 0, v27, s2
	v_add_co_u32 v1, s2, s4, v57
	v_add_co_ci_u32_e64 v27, null, s5, v58, s2
	v_add_co_u32 v60, s2, v25, v3
	v_add_co_ci_u32_e64 v61, null, 0, v26, s2
	v_add_co_u32 v57, s2, v1, 48
	v_add_co_ci_u32_e64 v58, null, 0, v27, s2
	;; [unrolled: 13-line block ×14, first 2 shown]
	v_add_co_u32 v1, s2, s4, v109
	v_mad_i64_i32 v[23:24], null, 0xb0, v108, v[23:24]
	v_add_co_ci_u32_e64 v27, null, s5, v110, s2
	v_add_co_u32 v108, s2, v1, 16
	s_ashr_i32 s20, s8, 31
	v_add_co_ci_u32_e64 v109, null, 0, v27, s2
	v_add_co_u32 v1, s2, v25, v2
	v_add_co_ci_u32_e64 v25, null, 0, v26, s2
	v_add_co_u32 v3, s2, v23, v3
	;; [unrolled: 2-line block ×7, first 2 shown]
	v_add_co_ci_u32_e64 v23, null, 0, v24, s2
	v_mad_i64_i32 v[1:2], null, 0xb0, v114, 0
	v_add_co_u32 v3, s2, s4, v3
	v_add_co_ci_u32_e64 v23, null, s5, v23, s2
	v_cndmask_b32_e64 v24, 0, 1, s1
	v_add_co_u32 v114, s1, v3, 48
	v_add_co_ci_u32_e64 v115, null, 0, v23, s1
	v_add_co_u32 v1, s1, s18, v1
	v_lshlrev_b32_e32 v3, 2, v24
	v_add_co_ci_u32_e64 v2, null, s19, v2, s1
	v_lshlrev_b32_e32 v26, 2, v117
	s_and_b32 s10, vcc_lo, s0
	v_or_b32_e32 v23, v1, v3
	s_add_u32 s22, s4, s18
	s_addc_u32 s23, s5, s19
	v_mov_b32_e32 v107, 0
	v_mad_i64_i32 v[24:25], null, 0xb0, v116, s[22:23]
	v_add_co_u32 v23, s1, s4, v23
	v_add_co_ci_u32_e64 v27, null, s5, v2, s1
	v_add_co_u32 v119, s1, v1, v26
	v_add_co_ci_u32_e64 v120, null, 0, v2, s1
	v_mad_i64_i32 v[1:2], null, 0xb0, v118, 0
	v_add_co_u32 v116, s1, v23, 4
	v_add_co_ci_u32_e64 v117, null, 0, v27, s1
	v_add_co_u32 v23, s1, s4, v119
	v_add_co_ci_u32_e64 v27, null, s5, v120, s1
	;; [unrolled: 2-line block ×3, first 2 shown]
	v_add_co_u32 v118, s2, v23, 4
	v_or_b32_e32 v3, v1, v3
	v_add_co_u32 v1, s1, v1, v26
	v_add_co_ci_u32_e64 v23, null, 0, v2, s1
	v_add_co_u32 v3, s1, s4, v3
	v_add_co_ci_u32_e64 v2, null, s5, v2, s1
	;; [unrolled: 2-line block ×4, first 2 shown]
	v_add_co_u32 v122, s1, v1, 4
	v_or_b32_e32 v30, 1, v29
	v_mul_u32_u24_e32 v41, 0x104, v0
	v_lshl_add_u32 v47, v47, 2, 0x8200
	v_ashrrev_i32_e32 v50, 31, v49
	v_add_co_ci_u32_e64 v119, null, 0, v27, s2
	v_add_co_ci_u32_e64 v123, null, 0, v23, s1
	v_add_nc_u32_e32 v124, v124, v125
	v_add_nc_u32_e32 v125, v4, v126
	v_mov_b32_e32 v126, v0
	v_mov_b32_e32 v128, 0
	;; [unrolled: 1-line block ×4, first 2 shown]
	s_movk_i32 s2, 0x80
	s_branch .LBB214_6
.LBB214_4:                              ;   in Loop: Header=BB214_6 Depth=1
	s_or_b32 exec_lo, exec_lo, s4
	s_waitcnt lgkmcnt(0)
	s_barrier
	buffer_gl0_inv
	ds_read2_b32 v[129:130], v41 offset0:32 offset1:33
	ds_read_b128 v[133:136], v34
	ds_read_b128 v[137:140], v34 offset:16
	ds_read2_b32 v[131:132], v41 offset0:34 offset1:35
	ds_read_b128 v[141:144], v34 offset:32
	ds_read_b128 v[145:148], v34 offset:48
	v_mov_b32_e32 v181, 0
	ds_read2_b32 v[149:150], v41 offset0:36 offset1:37
	ds_read2_b32 v[151:152], v41 offset0:38 offset1:39
	ds_read2_b32 v[153:154], v41 offset0:40 offset1:41
	v_add_nc_u32_e32 v155, 0x2100, v41
	ds_read2_b32 v[26:27], v40 offset0:1 offset1:3
	ds_read_b128 v[1:4], v39 offset:36944
	ds_read2_b32 v[155:156], v155 offset1:1
	ds_read2_b32 v[157:158], v41 offset0:42 offset1:43
	ds_read2_b32 v[159:160], v41 offset0:44 offset1:45
	v_add_nc_u32_e32 v165, 0x2118, v41
	v_add_nc_u32_e32 v167, 0x2120, v41
	v_mov_b32_e32 v182, 0
	v_mov_b32_e32 v183, 0
	;; [unrolled: 1-line block ×4, first 2 shown]
	v_add_nc_u32_e32 v171, 0x41b0, v41
	s_waitcnt lgkmcnt(12)
	v_dot4c_i32_i8 v181, v129, v133
	v_add_nc_u32_e32 v129, 0x2108, v41
	v_add_nc_u32_e32 v173, 0x41b8, v41
	;; [unrolled: 1-line block ×4, first 2 shown]
	v_dot4c_i32_i8 v181, v130, v134
	v_add_nc_u32_e32 v130, 0x2110, v41
	ds_read2_b32 v[161:162], v129 offset1:1
	ds_read2_b32 v[163:164], v130 offset1:1
	;; [unrolled: 1-line block ×4, first 2 shown]
	s_waitcnt lgkmcnt(14)
	v_dot4c_i32_i8 v181, v131, v135
	s_waitcnt lgkmcnt(9)
	v_dot4c_i32_i8 v182, v153, v141
	ds_read_b32 v129, v44 offset:128
	ds_read_b32 v130, v46 offset:256
	;; [unrolled: 1-line block ×3, first 2 shown]
	s_waitcnt lgkmcnt(9)
	v_dot4c_i32_i8 v183, v155, v133
	v_add_nc_u32_e32 v155, 0x2138, v41
	v_dot4c_i32_i8 v181, v132, v136
	v_dot4c_i32_i8 v182, v154, v142
	ds_read2_b32 v[153:154], v41 offset0:46 offset1:47
	ds_read2_b32 v[169:170], v41 offset0:48 offset1:49
	ds_read_b32 v132, v42
	v_dot4c_i32_i8 v183, v156, v134
	v_dot4c_i32_i8 v181, v149, v137
	v_add_nc_u32_e32 v149, 0x2128, v41
	s_waitcnt lgkmcnt(11)
	v_dot4c_i32_i8 v182, v157, v143
	v_add_nc_u32_e32 v157, 0x4180, v41
	v_add_nc_u32_e32 v179, 0x6220, v41
	v_dot4c_i32_i8 v181, v150, v138
	ds_read2_b32 v[149:150], v149 offset1:1
	v_dot4c_i32_i8 v182, v158, v144
	s_waitcnt lgkmcnt(10)
	v_dot4c_i32_i8 v183, v161, v135
	s_waitcnt lgkmcnt(7)
	v_dot4c_i32_i8 v184, v167, v141
	v_dot4c_i32_i8 v181, v151, v139
	v_add_nc_u32_e32 v151, 0x2130, v41
	v_dot4c_i32_i8 v182, v159, v145
	v_dot4c_i32_i8 v183, v162, v136
	;; [unrolled: 1-line block ×4, first 2 shown]
	ds_read2_b32 v[151:152], v151 offset1:1
	ds_read2_b32 v[155:156], v155 offset1:1
	;; [unrolled: 1-line block ×3, first 2 shown]
	v_dot4c_i32_i8 v182, v160, v146
	v_dot4c_i32_i8 v183, v163, v137
	v_add_nc_u32_e32 v167, 0x41a0, v41
	v_mov_b32_e32 v190, 0
	v_mov_b32_e32 v192, 0
	s_waitcnt lgkmcnt(6)
	v_dot4c_i32_i8 v182, v153, v147
	v_dot4c_i32_i8 v183, v164, v138
	v_cvt_f32_ubyte0_e32 v185, v27
	s_waitcnt lgkmcnt(3)
	v_dot4c_i32_i8 v184, v149, v143
	v_add_nc_u32_e32 v149, 0x4188, v41
	v_dot4c_i32_i8 v182, v154, v148
	v_dot4c_i32_i8 v183, v165, v139
	v_add_nc_u32_e32 v165, 0x4198, v41
	v_dot4c_i32_i8 v184, v150, v144
	ds_read2_b32 v[149:150], v149 offset1:1
	ds_read2_b32 v[153:154], v41 offset0:58 offset1:59
	ds_read2_b32 v[159:160], v41 offset0:60 offset1:61
	;; [unrolled: 1-line block ×4, first 2 shown]
	v_dot4c_i32_i8 v183, v166, v140
	v_cvt_f32_ubyte1_e32 v186, v27
	s_waitcnt lgkmcnt(7)
	v_dot4c_i32_i8 v184, v151, v145
	v_add_nc_u32_e32 v151, 0x4190, v41
	s_waitcnt lgkmcnt(5)
	v_dot4c_i32_i8 v188, v157, v133
	v_cvt_f32_f16_sdwa v187, v132 dst_sel:DWORD dst_unused:UNUSED_PAD src0_sel:WORD_1
	v_cvt_f32_f16_sdwa v193, v129 dst_sel:DWORD dst_unused:UNUSED_PAD src0_sel:WORD_1
	v_dot4c_i32_i8 v184, v152, v146
	ds_read2_b32 v[151:152], v151 offset1:1
	ds_read2_b32 v[165:166], v165 offset1:1
	;; [unrolled: 1-line block ×3, first 2 shown]
	v_dot4c_i32_i8 v188, v158, v134
	v_mov_b32_e32 v194, 0
	v_mov_b32_e32 v197, 0
	v_dot4c_i32_i8 v184, v155, v147
	v_add_nc_u32_e32 v155, 0x41a8, v41
	ds_read2_b32 v[157:158], v155 offset1:1
	ds_read2_b32 v[171:172], v171 offset1:1
	;; [unrolled: 1-line block ×4, first 2 shown]
	s_waitcnt lgkmcnt(11)
	v_dot4c_i32_i8 v188, v149, v135
	v_add_nc_u32_e32 v149, 0x6208, v41
	v_add_nc_u32_e32 v155, 0x6210, v41
	v_dot4c_i32_i8 v184, v156, v148
	s_waitcnt lgkmcnt(7)
	v_cvt_f32_ubyte0_e32 v189, v164
	v_dot4c_i32_i8 v188, v150, v136
	ds_read2_b32 v[149:150], v149 offset1:1
	ds_read2_b32 v[155:156], v155 offset1:1
	;; [unrolled: 1-line block ×4, first 2 shown]
	v_cvt_f32_ubyte1_e32 v191, v164
	v_cvt_f32_ubyte2_e32 v196, v27
	s_waitcnt lgkmcnt(8)
	v_dot4c_i32_i8 v190, v167, v141
	v_dot4c_i32_i8 v188, v151, v137
	v_add_nc_u32_e32 v167, 0x6228, v41
	v_cvt_f32_ubyte3_e32 v27, v27
	v_dot4c_i32_i8 v190, v168, v142
	v_dot4c_i32_i8 v188, v152, v138
	ds_read2_b32 v[151:152], v45 offset0:1 offset1:3
	ds_read2_b32 v[167:168], v167 offset1:1
	s_waitcnt lgkmcnt(6)
	v_dot4c_i32_i8 v192, v175, v133
	v_dot4c_i32_i8 v188, v165, v139
	v_mov_b32_e32 v165, 0
	v_add_nc_u32_e32 v133, 0x6230, v41
	v_dot4c_i32_i8 v190, v157, v143
	v_dot4c_i32_i8 v192, v176, v134
	;; [unrolled: 1-line block ×3, first 2 shown]
	s_waitcnt lgkmcnt(2)
	v_dot4c_i32_i8 v165, v179, v141
	ds_read2_b32 v[133:134], v133 offset1:1
	v_add_nc_u32_e32 v141, 0x2140, v41
	v_dot4c_i32_i8 v192, v149, v135
	v_add_nc_u32_e32 v135, 0x6238, v41
	v_dot4c_i32_i8 v165, v180, v142
	v_dot4c_i32_i8 v190, v158, v144
	v_add_nc_u32_e32 v175, 0x2160, v41
	v_dot4c_i32_i8 v192, v150, v136
	ds_read2_b32 v[149:150], v47 offset0:1 offset1:3
	ds_read2_b32 v[135:136], v135 offset1:1
	ds_read2_b32 v[157:158], v141 offset1:1
	s_waitcnt lgkmcnt(4)
	v_dot4c_i32_i8 v165, v167, v143
	v_and_b32_e32 v141, 0xff, v26
	v_dot4c_i32_i8 v190, v171, v145
	v_dot4c_i32_i8 v192, v155, v137
	v_bfe_u32 v142, v151, 8, 8
	v_dot4c_i32_i8 v165, v168, v144
	v_mul_lo_u32 v141, v181, v141
	v_dot4c_i32_i8 v190, v172, v146
	v_dot4c_i32_i8 v192, v156, v138
	v_bfe_u32 v138, v26, 8, 8
	v_cvt_f32_ubyte0_e32 v137, v152
	s_waitcnt lgkmcnt(3)
	v_dot4c_i32_i8 v165, v133, v145
	v_dot4c_i32_i8 v190, v173, v147
	;; [unrolled: 1-line block ×3, first 2 shown]
	v_mul_lo_u32 v133, v182, v138
	v_cvt_f32_i32_e32 v139, v141
	v_dot4c_i32_i8 v165, v134, v146
	v_fma_mix_f32 v134, v1, v185, 0 op_sel:[1,0,0] op_sel_hi:[1,0,0]
	v_dot4c_i32_i8 v192, v178, v140
	v_bfe_u32 v140, v163, 8, 8
	v_fma_mix_f32 v139, v1, v139, 0 op_sel_hi:[1,0,0]
	s_waitcnt lgkmcnt(1)
	v_dot4c_i32_i8 v165, v135, v147
	v_cvt_f32_i32_e32 v133, v133
	v_and_b32_e32 v135, 0xff, v163
	v_fma_mix_f32 v134, v2, v186, v134 op_sel:[1,0,0] op_sel_hi:[1,0,0]
	v_dot4c_i32_i8 v190, v174, v148
	v_mul_lo_u32 v140, v184, v140
	v_fma_mix_f32 v133, v2, v133, v139 op_sel_hi:[1,0,0]
	v_and_b32_e32 v139, 0xff, v151
	v_mul_lo_u32 v135, v183, v135
	v_mul_f32_e32 v134, v134, v187
	v_dot4c_i32_i8 v165, v136, v148
	v_fma_mix_f32 v136, v1, v189, 0 op_sel:[1,0,0] op_sel_hi:[1,0,0]
	v_mul_lo_u32 v139, v188, v139
	v_cvt_f32_i32_e32 v140, v140
	v_fma_mix_f32 v133, v133, v132, -v134 op_sel_hi:[0,1,0]
	v_mul_lo_u32 v134, v190, v142
	v_cvt_f32_i32_e32 v135, v135
	v_fma_mix_f32 v136, v2, v191, v136 op_sel:[1,0,0] op_sel_hi:[1,0,0]
	v_cvt_f32_ubyte1_e32 v138, v152
	v_fma_mix_f32 v137, v1, v137, 0 op_sel:[1,0,0] op_sel_hi:[1,0,0]
	v_cvt_f32_i32_e32 v139, v139
	v_fma_mix_f32 v135, v1, v135, 0 op_sel_hi:[1,0,0]
	v_mul_f32_e32 v136, v136, v193
	v_cvt_f32_i32_e32 v134, v134
	v_fma_mix_f32 v137, v2, v138, v137 op_sel:[1,0,0] op_sel_hi:[1,0,0]
	v_fma_mix_f32 v139, v1, v139, 0 op_sel_hi:[1,0,0]
	v_fma_mix_f32 v135, v2, v140, v135 op_sel_hi:[1,0,0]
	v_and_b32_e32 v138, 0xff, v149
	v_cvt_f32_f16_sdwa v181, v130 dst_sel:DWORD dst_unused:UNUSED_PAD src0_sel:WORD_1
	v_add_f32_e32 v107, v107, v133
	v_fma_mix_f32 v139, v2, v134, v139 op_sel_hi:[1,0,0]
	v_fma_mix_f32 v142, v135, v129, -v136 op_sel_hi:[0,1,0]
	ds_read_b128 v[133:136], v34 offset:64
	v_bfe_u32 v140, v149, 8, 8
	v_mul_lo_u32 v138, v192, v138
	v_mul_f32_e32 v137, v137, v181
	v_add_f32_e32 v184, v128, v142
	v_mov_b32_e32 v189, 0
	v_mul_lo_u32 v140, v165, v140
	v_cvt_f32_ubyte0_e32 v141, v150
	v_fma_mix_f32 v137, v139, v130, -v137 op_sel_hi:[0,1,0]
	v_add_nc_u32_e32 v148, 0x2148, v41
	v_cvt_f32_i32_e32 v128, v138
	v_add_nc_u32_e32 v171, 0x2150, v41
	v_add_nc_u32_e32 v173, 0x2158, v41
	v_add_f32_e32 v186, v127, v137
	v_cvt_f32_i32_e32 v145, v140
	v_fma_mix_f32 v146, v1, v128, 0 op_sel_hi:[1,0,0]
	ds_read_b128 v[137:140], v34 offset:96
	ds_read2_b32 v[127:128], v41 offset0:50 offset1:51
	ds_read2_b32 v[155:156], v41 offset0:52 offset1:53
	;; [unrolled: 1-line block ×4, first 2 shown]
	v_fma_mix_f32 v1, v1, v141, 0 op_sel:[1,0,0] op_sel_hi:[1,0,0]
	v_cvt_f32_ubyte1_e32 v147, v150
	s_waitcnt lgkmcnt(5)
	v_dot4c_i32_i8 v189, v169, v133
	ds_read_b128 v[141:144], v34 offset:80
	v_mov_b32_e32 v190, 0
	v_fma_mix_f32 v177, v2, v145, v146 op_sel_hi:[1,0,0]
	v_fma_mix_f32 v178, v2, v147, v1 op_sel:[1,0,0] op_sel_hi:[1,0,0]
	v_dot4c_i32_i8 v189, v170, v134
	ds_read2_b32 v[169:170], v148 offset1:1
	ds_read2_b32 v[171:172], v171 offset1:1
	;; [unrolled: 1-line block ×4, first 2 shown]
	v_add_nc_u32_e32 v1, 0x2168, v41
	ds_read_b128 v[145:148], v34 offset:112
	v_mov_b32_e32 v191, 0
	v_cvt_f32_f16_sdwa v192, v131 dst_sel:DWORD dst_unused:UNUSED_PAD src0_sel:WORD_1
	v_add_nc_u32_e32 v179, 0x6260, v41
	ds_read2_b32 v[1:2], v1 offset1:1
	v_lshrrev_b32_e32 v182, 24, v26
	s_waitcnt lgkmcnt(10)
	v_dot4c_i32_i8 v189, v127, v135
	v_add_nc_u32_e32 v127, 0x2170, v41
	v_dot4c_i32_i8 v191, v157, v133
	s_waitcnt lgkmcnt(7)
	v_dot4c_i32_i8 v190, v167, v137
	v_add_nc_u32_e32 v157, 0x41d8, v41
	v_dot4c_i32_i8 v189, v128, v136
	ds_read2_b32 v[127:128], v127 offset1:1
	v_dot4c_i32_i8 v191, v158, v134
	v_dot4c_i32_i8 v190, v168, v138
	v_add_nc_u32_e32 v167, 0x41f8, v41
	s_waitcnt lgkmcnt(7)
	v_dot4c_i32_i8 v189, v155, v141
	v_add_nc_u32_e32 v155, 0x41c0, v41
	s_waitcnt lgkmcnt(3)
	v_dot4c_i32_i8 v194, v175, v137
	v_dot4c_i32_i8 v190, v153, v139
	v_dot4c_i32_i8 v191, v169, v135
	v_add_nc_u32_e32 v153, 0x2178, v41
	v_dot4c_i32_i8 v189, v156, v142
	v_dot4c_i32_i8 v194, v176, v138
	v_dot4c_i32_i8 v190, v154, v140
	v_dot4c_i32_i8 v191, v170, v136
	ds_read2_b32 v[153:154], v153 offset1:1
	ds_read2_b32 v[155:156], v155 offset1:1
	v_dot4c_i32_i8 v189, v165, v143
	s_waitcnt lgkmcnt(3)
	v_dot4c_i32_i8 v194, v1, v139
	v_dot4c_i32_i8 v190, v159, v145
	v_mul_f32_e32 v1, v178, v192
	v_dot4c_i32_i8 v191, v171, v141
	v_add_nc_u32_e32 v159, 0x41e0, v41
	v_dot4c_i32_i8 v194, v2, v140
	v_dot4c_i32_i8 v190, v160, v146
	v_fma_mix_f32 v195, v177, v131, -v1 op_sel_hi:[0,1,0]
	v_add_nc_u32_e32 v1, 0x41c8, v41
	v_dot4c_i32_i8 v191, v172, v142
	s_waitcnt lgkmcnt(2)
	v_dot4c_i32_i8 v194, v127, v145
	v_dot4c_i32_i8 v190, v161, v147
	v_add_nc_u32_e32 v127, 0x41d0, v41
	v_add_nc_u32_e32 v161, 0x41e8, v41
	;; [unrolled: 1-line block ×4, first 2 shown]
	v_dot4c_i32_i8 v189, v166, v144
	v_dot4c_i32_i8 v190, v162, v148
	;; [unrolled: 1-line block ×3, first 2 shown]
	ds_read2_b32 v[1:2], v1 offset1:1
	ds_read2_b32 v[127:128], v127 offset1:1
	;; [unrolled: 1-line block ×8, first 2 shown]
	v_add_nc_u32_e32 v171, 0x6248, v41
	v_dot4c_i32_i8 v191, v173, v143
	v_add_nc_u32_e32 v173, 0x6250, v41
	v_add_nc_u32_e32 v177, 0x6258, v41
	ds_read2_b32 v[171:172], v171 offset1:1
	ds_read2_b32 v[175:176], v173 offset1:1
	;; [unrolled: 1-line block ×4, first 2 shown]
	s_waitcnt lgkmcnt(12)
	v_dot4c_i32_i8 v197, v155, v133
	v_dot4c_i32_i8 v194, v153, v147
	v_add_nc_u32_e32 v153, 0x6268, v41
	v_mov_b32_e32 v155, 0
	v_bfe_u32 v26, v26, 16, 8
	v_dot4c_i32_i8 v197, v156, v134
	v_mov_b32_e32 v156, 0
	v_dot4c_i32_i8 v194, v154, v148
	ds_read2_b32 v[153:154], v153 offset1:1
	s_waitcnt lgkmcnt(9)
	v_dot4c_i32_i8 v155, v159, v137
	v_dot4c_i32_i8 v197, v1, v135
	v_add_nc_u32_e32 v1, 0x6270, v41
	s_waitcnt lgkmcnt(5)
	v_dot4c_i32_i8 v156, v169, v133
	v_mov_b32_e32 v133, 0
	v_dot4c_i32_i8 v155, v160, v138
	v_dot4c_i32_i8 v197, v2, v136
	ds_read2_b32 v[1:2], v1 offset1:1
	v_dot4c_i32_i8 v156, v170, v134
	v_dot4c_i32_i8 v191, v174, v144
	s_waitcnt lgkmcnt(2)
	v_dot4c_i32_i8 v133, v179, v137
	v_dot4c_i32_i8 v197, v127, v141
	v_add_nc_u32_e32 v127, 0x6278, v41
	v_dot4c_i32_i8 v156, v171, v135
	v_dot4c_i32_i8 v155, v161, v139
	;; [unrolled: 1-line block ×4, first 2 shown]
	ds_read2_b32 v[127:128], v127 offset1:1
	v_dot4c_i32_i8 v156, v172, v136
	v_dot4c_i32_i8 v155, v162, v140
	s_waitcnt lgkmcnt(2)
	v_dot4c_i32_i8 v133, v153, v139
	v_mul_lo_u32 v135, v190, v182
	v_bfe_u32 v136, v163, 16, 8
	v_dot4c_i32_i8 v156, v175, v141
	v_dot4c_i32_i8 v155, v165, v145
	v_dot4c_i32_i8 v133, v154, v140
	v_lshrrev_b32_e32 v183, 24, v163
	v_dot4c_i32_i8 v197, v157, v143
	v_dot4c_i32_i8 v156, v176, v142
	;; [unrolled: 1-line block ×3, first 2 shown]
	s_waitcnt lgkmcnt(1)
	v_dot4c_i32_i8 v133, v1, v145
	v_mul_lo_u32 v1, v189, v26
	v_dot4c_i32_i8 v197, v158, v144
	v_dot4c_i32_i8 v156, v177, v143
	;; [unrolled: 1-line block ×4, first 2 shown]
	v_mul_lo_u32 v138, v194, v183
	v_lshrrev_b32_e32 v185, 24, v151
	v_dot4c_i32_i8 v156, v178, v144
	v_cvt_f32_i32_e32 v1, v1
	s_waitcnt lgkmcnt(0)
	v_dot4c_i32_i8 v133, v127, v147
	v_cvt_f32_i32_e32 v127, v135
	v_mul_lo_u32 v135, v191, v136
	v_fma_mix_f32 v136, v3, v196, 0 op_sel:[1,0,0] op_sel_hi:[1,0,0]
	v_fma_mix_f32 v1, v3, v1, 0 op_sel_hi:[1,0,0]
	v_dot4c_i32_i8 v133, v128, v148
	v_bfe_u32 v128, v151, 16, 8
	v_lshrrev_b32_e32 v188, 24, v149
	v_fma_mix_f32 v27, v4, v27, v136 op_sel:[1,0,0] op_sel_hi:[1,0,0]
	v_bfe_u32 v136, v149, 16, 8
	v_fma_mix_f32 v1, v4, v127, v1 op_sel_hi:[1,0,0]
	v_cvt_f32_i32_e32 v127, v135
	v_dot4c_i32_i8 v155, v168, v148
	v_mul_lo_u32 v128, v197, v128
	v_mul_lo_u32 v136, v156, v136
	v_cvt_f32_ubyte2_e32 v173, v164
	v_cvt_f32_ubyte2_e32 v26, v152
	;; [unrolled: 1-line block ×3, first 2 shown]
	v_cvt_f32_i32_e32 v138, v138
	v_fma_mix_f32 v127, v3, v127, 0 op_sel_hi:[1,0,0]
	v_mul_lo_u32 v139, v155, v185
	v_mul_lo_u32 v133, v133, v188
	v_cvt_f32_ubyte3_e32 v134, v164
	v_cvt_f32_ubyte3_e32 v2, v152
	v_fma_mix_f32 v135, v3, v173, 0 op_sel:[1,0,0] op_sel_hi:[1,0,0]
	v_fma_mix_f32 v127, v4, v138, v127 op_sel_hi:[1,0,0]
	v_fma_mix_f32 v26, v3, v26, 0 op_sel:[1,0,0] op_sel_hi:[1,0,0]
	v_cvt_f32_i32_e32 v128, v128
	v_cvt_f32_i32_e32 v136, v136
	v_fma_mix_f32 v137, v3, v137, 0 op_sel:[1,0,0] op_sel_hi:[1,0,0]
	v_cvt_f32_ubyte3_e32 v138, v150
	v_fma_mix_f32 v134, v4, v134, v135 op_sel:[1,0,0] op_sel_hi:[1,0,0]
	v_cvt_f32_i32_e32 v135, v139
	v_fma_mix_f32 v128, v3, v128, 0 op_sel_hi:[1,0,0]
	v_fma_mix_f32 v2, v4, v2, v26 op_sel:[1,0,0] op_sel_hi:[1,0,0]
	v_cvt_f32_i32_e32 v26, v133
	v_fma_mix_f32 v3, v3, v136, 0 op_sel_hi:[1,0,0]
	v_fma_mix_f32 v133, v4, v138, v137 op_sel:[1,0,0] op_sel_hi:[1,0,0]
	v_mul_f32_e32 v27, v27, v187
	v_mul_f32_e32 v134, v134, v193
	v_fma_mix_f32 v128, v4, v135, v128 op_sel_hi:[1,0,0]
	v_mul_f32_e32 v2, v2, v181
	v_fma_mix_f32 v3, v4, v26, v3 op_sel_hi:[1,0,0]
	v_mul_f32_e32 v4, v133, v192
	v_add_f32_e32 v23, v23, v195
	v_fma_mix_f32 v1, v1, v132, -v27 op_sel_hi:[0,1,0]
	v_fma_mix_f32 v26, v127, v129, -v134 op_sel_hi:[0,1,0]
	;; [unrolled: 1-line block ×4, first 2 shown]
	v_add_f32_e32 v107, v107, v1
	v_add_f32_e32 v128, v184, v26
	;; [unrolled: 1-line block ×4, first 2 shown]
	s_barrier
	buffer_gl0_inv
.LBB214_5:                              ;   in Loop: Header=BB214_6 Depth=1
	v_add_co_u32 v51, s1, 0xb0, v51
	v_add_co_ci_u32_e64 v52, null, 0, v52, s1
	v_add_co_u32 v53, s1, 0xb0, v53
	v_add_co_ci_u32_e64 v54, null, 0, v54, s1
	;; [unrolled: 2-line block ×36, first 2 shown]
	v_add_co_u32 v122, s1, 0xb0, v122
	v_add_nc_u32_e32 v38, 8, v38
	v_add_nc_u32_e32 v35, 8, v35
	v_add_nc_u32_e32 v126, 8, v126
	v_add_co_ci_u32_e64 v123, null, 0, v123, s1
	s_add_i32 s15, s15, -1
	s_addk_i32 s2, 0x100
	s_cmp_eq_u32 s15, 0
	s_cbranch_scc1 .LBB214_17
.LBB214_6:                              ; =>This Inner Loop Header: Depth=1
	v_add_co_u32 v1, s1, v53, s8
	v_add_co_ci_u32_e64 v2, null, s20, v54, s1
	v_add_co_u32 v3, s1, v51, s8
	v_add_co_ci_u32_e64 v4, null, s20, v52, s1
	v_add_co_u32 v26, s1, v57, s8
	v_add_co_ci_u32_e64 v27, null, s20, v58, s1
	v_add_co_u32 v129, s1, v55, s8
	v_add_co_ci_u32_e64 v130, null, s20, v56, s1
	global_load_dword v133, v[1:2], off
	global_load_dword v134, v[3:4], off
	global_load_dword v135, v[26:27], off
	global_load_dword v136, v[129:130], off
	v_add_co_u32 v1, s1, v61, s8
	v_add_co_ci_u32_e64 v2, null, s20, v62, s1
	v_add_co_u32 v3, s1, v59, s8
	v_add_co_ci_u32_e64 v4, null, s20, v60, s1
	v_add_co_u32 v26, s1, v65, s8
	v_add_co_ci_u32_e64 v27, null, s20, v66, s1
	v_add_co_u32 v129, s1, v63, s8
	v_add_co_ci_u32_e64 v130, null, s20, v64, s1
	v_add_co_u32 v131, s1, v69, s8
	v_add_co_ci_u32_e64 v132, null, s20, v70, s1
	global_load_dword v137, v[1:2], off
	global_load_dword v138, v[3:4], off
	global_load_dword v139, v[26:27], off
	global_load_dword v140, v[129:130], off
	global_load_dword v141, v[131:132], off
	v_add_co_u32 v1, s1, v67, s8
	v_add_co_ci_u32_e64 v2, null, s20, v68, s1
	v_add_co_u32 v3, s1, v73, s8
	v_add_co_ci_u32_e64 v4, null, s20, v74, s1
	v_add_co_u32 v26, s1, v71, s8
	v_add_co_ci_u32_e64 v27, null, s20, v72, s1
	v_add_co_u32 v129, s1, v77, s8
	v_add_co_ci_u32_e64 v130, null, s20, v78, s1
	v_add_co_u32 v131, s1, v75, s8
	v_add_co_ci_u32_e64 v132, null, s20, v76, s1
	global_load_dword v142, v[1:2], off
	;; [unrolled: 15-line block ×4, first 2 shown]
	global_load_dword v153, v[3:4], off
	global_load_dword v154, v[26:27], off
	;; [unrolled: 1-line block ×3, first 2 shown]
	v_add_co_u32 v1, s1, v101, s8
	v_add_co_ci_u32_e64 v2, null, s20, v102, s1
	v_add_co_u32 v3, s1, v99, s8
	v_add_co_ci_u32_e64 v4, null, s20, v100, s1
	;; [unrolled: 2-line block ×4, first 2 shown]
	global_load_dword v131, v[131:132], off
	global_load_dword v132, v[1:2], off
	global_load_dword v156, v[3:4], off
	global_load_dword v157, v[26:27], off
	global_load_dword v129, v[129:130], off
	v_add_co_u32 v1, s1, v110, s8
	v_add_co_ci_u32_e64 v2, null, s20, v111, s1
	v_add_co_u32 v3, s1, v108, s8
	v_add_co_ci_u32_e64 v4, null, s20, v109, s1
	;; [unrolled: 2-line block ×3, first 2 shown]
	global_load_dword v130, v[1:2], off
	global_load_dword v158, v[3:4], off
	v_add_co_u32 v1, s1, v112, s8
	v_add_co_ci_u32_e64 v2, null, s20, v113, s1
	v_add_co_u32 v3, s1, v118, s8
	v_add_co_ci_u32_e64 v4, null, s20, v119, s1
	global_load_dword v159, v[26:27], off
	global_load_dword v160, v[1:2], off
	;; [unrolled: 1-line block ×3, first 2 shown]
	v_add_co_u32 v1, s1, v116, s8
	v_add_co_ci_u32_e64 v2, null, s20, v117, s1
	v_add_co_u32 v3, s1, v122, s8
	v_add_co_ci_u32_e64 v4, null, s20, v123, s1
	;; [unrolled: 2-line block ×3, first 2 shown]
	global_load_dword v3, v[3:4], off
	global_load_dword v4, v[1:2], off
	;; [unrolled: 1-line block ×3, first 2 shown]
	v_add_co_u32 v1, s1, v24, s8
	v_add_co_ci_u32_e64 v2, null, s20, v25, s1
	s_add_i32 s1, s2, 0xffffff80
	s_cmp_lt_i32 s1, s9
	global_load_dword v1, v[1:2], off
	s_waitcnt vmcnt(36)
	v_and_b32_e32 v2, 0xf0f0f0f, v133
	v_lshrrev_b32_e32 v27, 4, v133
	s_waitcnt vmcnt(35)
	v_ashrrev_i32_e32 v133, v29, v134
	v_ashrrev_i32_e32 v134, v30, v134
	s_waitcnt vmcnt(34)
	v_and_b32_e32 v162, 0xf0f0f0f, v135
	v_lshrrev_b32_e32 v135, 4, v135
	s_waitcnt vmcnt(33)
	v_ashrrev_i32_e32 v163, v29, v136
	v_ashrrev_i32_e32 v136, v30, v136
	v_lshlrev_b32_e32 v133, 4, v133
	v_and_b32_e32 v27, 0xf0f0f0f, v27
	v_lshlrev_b32_e32 v134, 4, v134
	v_lshlrev_b32_e32 v163, 4, v163
	v_and_b32_e32 v135, 0xf0f0f0f, v135
	v_lshlrev_b32_e32 v136, 4, v136
	v_and_or_b32 v2, 0x10101010, v133, v2
	v_and_or_b32 v27, 0x10101010, v134, v27
	;; [unrolled: 1-line block ×4, first 2 shown]
	s_waitcnt vmcnt(32)
	v_and_b32_e32 v164, 0xf0f0f0f, v137
	v_lshrrev_b32_e32 v137, 4, v137
	s_waitcnt vmcnt(31)
	v_ashrrev_i32_e32 v165, v29, v138
	v_ashrrev_i32_e32 v138, v30, v138
	s_waitcnt vmcnt(30)
	v_and_b32_e32 v166, 0xf0f0f0f, v139
	v_lshrrev_b32_e32 v139, 4, v139
	s_waitcnt vmcnt(29)
	v_ashrrev_i32_e32 v167, v29, v140
	v_ashrrev_i32_e32 v140, v30, v140
	s_waitcnt vmcnt(28)
	v_and_b32_e32 v168, 0xf0f0f0f, v141
	v_lshrrev_b32_e32 v141, 4, v141
	v_lshlrev_b32_e32 v165, 4, v165
	v_and_b32_e32 v137, 0xf0f0f0f, v137
	v_lshlrev_b32_e32 v138, 4, v138
	v_lshlrev_b32_e32 v167, 4, v167
	v_and_b32_e32 v139, 0xf0f0f0f, v139
	v_lshlrev_b32_e32 v140, 4, v140
	v_and_b32_e32 v141, 0xf0f0f0f, v141
	v_and_or_b32 v135, 0x10101010, v165, v164
	v_and_or_b32 v136, 0x10101010, v138, v137
	;; [unrolled: 1-line block ×4, first 2 shown]
	s_waitcnt vmcnt(27)
	v_ashrrev_i32_e32 v169, v29, v142
	v_ashrrev_i32_e32 v142, v30, v142
	s_waitcnt vmcnt(26)
	v_and_b32_e32 v170, 0xf0f0f0f, v143
	v_lshrrev_b32_e32 v143, 4, v143
	s_waitcnt vmcnt(25)
	v_ashrrev_i32_e32 v171, v29, v144
	v_ashrrev_i32_e32 v144, v30, v144
	s_waitcnt vmcnt(24)
	v_and_b32_e32 v172, 0xf0f0f0f, v145
	v_lshrrev_b32_e32 v145, 4, v145
	s_waitcnt vmcnt(23)
	v_ashrrev_i32_e32 v173, v29, v146
	v_ashrrev_i32_e32 v146, v30, v146
	v_lshlrev_b32_e32 v169, 4, v169
	v_lshlrev_b32_e32 v142, 4, v142
	v_lshlrev_b32_e32 v171, 4, v171
	v_and_b32_e32 v143, 0xf0f0f0f, v143
	v_lshlrev_b32_e32 v144, 4, v144
	v_lshlrev_b32_e32 v173, 4, v173
	v_and_b32_e32 v145, 0xf0f0f0f, v145
	v_lshlrev_b32_e32 v146, 4, v146
	v_and_or_b32 v139, 0x10101010, v169, v168
	v_and_or_b32 v140, 0x10101010, v142, v141
	v_and_or_b32 v141, 0x10101010, v171, v170
	s_waitcnt vmcnt(22)
	v_and_b32_e32 v174, 0xf0f0f0f, v147
	v_lshrrev_b32_e32 v147, 4, v147
	s_waitcnt vmcnt(21)
	v_ashrrev_i32_e32 v175, v29, v148
	v_ashrrev_i32_e32 v148, v30, v148
	s_waitcnt vmcnt(20)
	v_and_b32_e32 v176, 0xf0f0f0f, v149
	v_lshrrev_b32_e32 v149, 4, v149
	s_waitcnt vmcnt(19)
	v_ashrrev_i32_e32 v177, v29, v150
	v_ashrrev_i32_e32 v150, v30, v150
	s_waitcnt vmcnt(18)
	v_and_b32_e32 v178, 0xf0f0f0f, v151
	v_lshrrev_b32_e32 v151, 4, v151
	v_lshlrev_b32_e32 v175, 4, v175
	v_and_b32_e32 v147, 0xf0f0f0f, v147
	v_lshlrev_b32_e32 v148, 4, v148
	v_lshlrev_b32_e32 v177, 4, v177
	v_and_b32_e32 v149, 0xf0f0f0f, v149
	v_lshlrev_b32_e32 v150, 4, v150
	v_and_b32_e32 v151, 0xf0f0f0f, v151
	v_and_or_b32 v142, 0x10101010, v144, v143
	v_and_or_b32 v143, 0x10101010, v173, v172
	;; [unrolled: 1-line block ×5, first 2 shown]
	s_waitcnt vmcnt(17)
	v_ashrrev_i32_e32 v179, v29, v152
	v_ashrrev_i32_e32 v152, v30, v152
	s_waitcnt vmcnt(16)
	v_and_b32_e32 v180, 0xf0f0f0f, v153
	v_lshrrev_b32_e32 v153, 4, v153
	s_waitcnt vmcnt(15)
	v_ashrrev_i32_e32 v181, v29, v154
	v_ashrrev_i32_e32 v154, v30, v154
	s_waitcnt vmcnt(14)
	v_and_b32_e32 v182, 0xf0f0f0f, v155
	v_lshrrev_b32_e32 v155, 4, v155
	v_lshlrev_b32_e32 v179, 4, v179
	v_lshlrev_b32_e32 v152, 4, v152
	;; [unrolled: 1-line block ×3, first 2 shown]
	v_and_b32_e32 v153, 0xf0f0f0f, v153
	v_lshlrev_b32_e32 v154, 4, v154
	v_and_b32_e32 v155, 0xf0f0f0f, v155
	v_and_or_b32 v147, 0x10101010, v177, v176
	v_and_or_b32 v148, 0x10101010, v150, v149
	s_waitcnt vmcnt(13)
	v_ashrrev_i32_e32 v183, v29, v131
	v_ashrrev_i32_e32 v131, v30, v131
	s_waitcnt vmcnt(12)
	v_and_b32_e32 v184, 0xf0f0f0f, v132
	v_lshrrev_b32_e32 v132, 4, v132
	s_waitcnt vmcnt(11)
	v_ashrrev_i32_e32 v185, v29, v156
	v_ashrrev_i32_e32 v156, v30, v156
	s_waitcnt vmcnt(10)
	v_and_b32_e32 v186, 0xf0f0f0f, v157
	v_lshrrev_b32_e32 v157, 4, v157
	s_waitcnt vmcnt(9)
	v_ashrrev_i32_e32 v187, v29, v129
	v_ashrrev_i32_e32 v129, v30, v129
	v_lshlrev_b32_e32 v183, 4, v183
	v_lshlrev_b32_e32 v131, 4, v131
	;; [unrolled: 1-line block ×3, first 2 shown]
	v_and_b32_e32 v132, 0xf0f0f0f, v132
	v_lshlrev_b32_e32 v156, 4, v156
	v_and_b32_e32 v157, 0xf0f0f0f, v157
	s_waitcnt vmcnt(8)
	v_and_b32_e32 v188, 0xf0f0f0f, v130
	v_lshrrev_b32_e32 v130, 4, v130
	s_waitcnt vmcnt(7)
	v_ashrrev_i32_e32 v189, v29, v158
	v_ashrrev_i32_e32 v158, v30, v158
	v_lshlrev_b32_e32 v187, 4, v187
	v_lshlrev_b32_e32 v129, 4, v129
	v_and_b32_e32 v130, 0xf0f0f0f, v130
	v_lshlrev_b32_e32 v189, 4, v189
	v_lshlrev_b32_e32 v158, 4, v158
	s_waitcnt vmcnt(6)
	v_and_b32_e32 v190, 0xf0f0f0f, v159
	v_lshrrev_b32_e32 v159, 4, v159
	s_waitcnt vmcnt(5)
	v_ashrrev_i32_e32 v191, v29, v160
	v_ashrrev_i32_e32 v160, v30, v160
	s_waitcnt vmcnt(4)
	v_ashrrev_i32_e32 v161, v32, v161
	v_and_or_b32 v149, 0x10101010, v179, v178
	v_and_or_b32 v150, 0x10101010, v152, v151
	;; [unrolled: 1-line block ×8, first 2 shown]
	ds_write2_b32 v5, v2, v27 offset1:8
	ds_write2_b32 v6, v133, v134 offset1:8
	;; [unrolled: 1-line block ×13, first 2 shown]
	s_waitcnt vmcnt(3)
	v_ashrrev_i32_e32 v2, v32, v3
	v_and_b32_e32 v159, 0xf0f0f0f, v159
	v_lshlrev_b32_e32 v191, 4, v191
	v_lshlrev_b32_e32 v160, 4, v160
	v_and_or_b32 v155, 0x10101010, v187, v186
	v_and_or_b32 v129, 0x10101010, v129, v157
	v_and_b32_e32 v131, 0xf0f0f0f, v161
	s_waitcnt vmcnt(2)
	v_ashrrev_i32_e32 v4, v33, v4
	v_and_or_b32 v156, 0x10101010, v189, v188
	v_and_or_b32 v130, 0x10101010, v158, v130
	v_and_b32_e32 v2, 0xf0f0f0f, v2
	s_waitcnt vmcnt(1)
	v_ashrrev_i32_e32 v26, v33, v26
	v_and_or_b32 v3, 0x10101010, v191, v190
	v_and_or_b32 v27, 0x10101010, v160, v159
	ds_write2_b32 v18, v155, v129 offset1:8
	ds_write2_b32 v19, v156, v130 offset1:8
	;; [unrolled: 1-line block ×3, first 2 shown]
	v_and_or_b32 v3, 0x30303030, v4, v131
	v_and_or_b32 v2, 0x30303030, v26, v2
	s_waitcnt vmcnt(0)
	ds_write_b32 v31, v1
	ds_write_b32 v124, v3
	;; [unrolled: 1-line block ×3, first 2 shown]
	s_cbranch_scc0 .LBB214_5
; %bb.7:                                ;   in Loop: Header=BB214_6 Depth=1
	v_cmp_gt_i32_e64 s1, s12, v35
	s_and_b32 s4, s0, s1
	s_and_saveexec_b32 s1, s4
	s_cbranch_execz .LBB214_9
; %bb.8:                                ;   in Loop: Header=BB214_6 Depth=1
	v_add_nc_u32_e32 v1, v49, v35
	v_mad_i64_i32 v[1:2], null, v1, 36, v[21:22]
	global_load_dword v1, v[1:2], off offset:4
	s_waitcnt vmcnt(0)
	ds_write_b32 v37, v1
.LBB214_9:                              ;   in Loop: Header=BB214_6 Depth=1
	s_or_b32 exec_lo, exec_lo, s1
	v_cmp_gt_i32_e64 s1, s12, v126
	s_and_b32 s4, s10, s1
	s_and_saveexec_b32 s1, s4
	s_cbranch_execz .LBB214_11
; %bb.10:                               ;   in Loop: Header=BB214_6 Depth=1
	v_add_nc_u32_e32 v1, v49, v126
	v_mad_i64_i32 v[1:2], null, v1, 36, s[6:7]
	global_load_dword v1, v[1:2], off
	v_add_nc_u32_e32 v2, v36, v39
	s_waitcnt vmcnt(0)
	ds_write_b32 v2, v1
.LBB214_11:                             ;   in Loop: Header=BB214_6 Depth=1
	s_or_b32 exec_lo, exec_lo, s1
	s_waitcnt lgkmcnt(0)
	s_barrier
	buffer_gl0_inv
	ds_read2_b32 v[129:130], v41 offset1:1
	ds_read_b128 v[133:136], v34
	ds_read_b128 v[137:140], v34 offset:16
	ds_read2_b32 v[131:132], v41 offset0:2 offset1:3
	ds_read_b128 v[141:144], v34 offset:32
	ds_read_b128 v[145:148], v34 offset:48
	ds_read2_b32 v[149:150], v41 offset0:4 offset1:5
	ds_read2_b32 v[151:152], v41 offset0:6 offset1:7
	;; [unrolled: 1-line block ×3, first 2 shown]
	v_mov_b32_e32 v181, 0
	v_mov_b32_e32 v182, 0
	v_add_nc_u32_e32 v159, 0x2080, v41
	ds_read2_b32 v[26:27], v40 offset1:2
	ds_read_b128 v[1:4], v39 offset:36944
	ds_read2_b32 v[155:156], v41 offset0:10 offset1:11
	ds_read2_b32 v[157:158], v41 offset0:12 offset1:13
	ds_read2_b32 v[159:160], v159 offset1:1
	v_add_nc_u32_e32 v170, 0x20a0, v41
	v_add_nc_u32_e32 v161, 0x2088, v41
	v_mov_b32_e32 v183, 0
	v_add_nc_u32_e32 v167, 0x2090, v41
	v_add_nc_u32_e32 v169, 0x2098, v41
	v_mov_b32_e32 v184, 0
	v_mov_b32_e32 v188, 0
	v_add_nc_u32_e32 v171, 0x4130, v41
	v_add_nc_u32_e32 v173, 0x4138, v41
	s_waitcnt lgkmcnt(12)
	v_dot4c_i32_i8 v181, v129, v133
	v_add_nc_u32_e32 v175, 0x6180, v41
	v_add_nc_u32_e32 v177, 0x6198, v41
	;; [unrolled: 1-line block ×3, first 2 shown]
	v_mov_b32_e32 v190, 0
	v_dot4c_i32_i8 v181, v130, v134
	s_waitcnt lgkmcnt(5)
	v_dot4c_i32_i8 v182, v153, v141
	ds_read_b32 v129, v44 offset:128
	ds_read_b32 v130, v46 offset:256
	ds_read2_b32 v[161:162], v161 offset1:1
	v_mov_b32_e32 v192, 0
	s_waitcnt lgkmcnt(7)
	v_cvt_f32_ubyte0_e32 v185, v27
	v_dot4c_i32_i8 v181, v131, v135
	ds_read_b32 v131, v48 offset:384
	ds_read2_b32 v[163:164], v41 offset0:14 offset1:15
	ds_read2_b32 v[165:166], v41 offset0:16 offset1:17
	v_dot4c_i32_i8 v182, v154, v142
	ds_read2_b32 v[153:154], v170 offset1:1
	v_dot4c_i32_i8 v181, v132, v136
	ds_read_b32 v132, v42
	ds_read2_b32 v[167:168], v167 offset1:1
	s_waitcnt lgkmcnt(9)
	v_dot4c_i32_i8 v183, v159, v133
	v_dot4c_i32_i8 v182, v155, v143
	;; [unrolled: 1-line block ×3, first 2 shown]
	v_add_nc_u32_e32 v149, 0x20a8, v41
	v_cvt_f32_ubyte1_e32 v186, v27
	v_dot4c_i32_i8 v183, v160, v134
	v_dot4c_i32_i8 v182, v156, v144
	v_dot4c_i32_i8 v181, v150, v138
	ds_read2_b32 v[149:150], v149 offset1:1
	ds_read2_b32 v[155:156], v169 offset1:1
	s_waitcnt lgkmcnt(8)
	v_dot4c_i32_i8 v183, v161, v135
	v_dot4c_i32_i8 v182, v157, v145
	;; [unrolled: 1-line block ×3, first 2 shown]
	v_add_nc_u32_e32 v151, 0x20b0, v41
	v_add_nc_u32_e32 v157, 0x4100, v41
	v_dot4c_i32_i8 v183, v162, v136
	s_waitcnt lgkmcnt(4)
	v_dot4c_i32_i8 v184, v153, v141
	v_dot4c_i32_i8 v181, v152, v140
	ds_read2_b32 v[151:152], v151 offset1:1
	v_add_nc_u32_e32 v153, 0x20b8, v41
	v_dot4c_i32_i8 v182, v158, v146
	v_dot4c_i32_i8 v184, v154, v142
	ds_read2_b32 v[153:154], v153 offset1:1
	ds_read2_b32 v[157:158], v157 offset1:1
	s_waitcnt lgkmcnt(5)
	v_dot4c_i32_i8 v183, v167, v137
	v_dot4c_i32_i8 v182, v163, v147
	v_add_nc_u32_e32 v167, 0x4118, v41
	s_waitcnt lgkmcnt(4)
	v_dot4c_i32_i8 v184, v149, v143
	v_add_nc_u32_e32 v149, 0x4108, v41
	v_dot4c_i32_i8 v183, v168, v138
	v_dot4c_i32_i8 v182, v164, v148
	v_add_nc_u32_e32 v169, 0x4120, v41
	v_dot4c_i32_i8 v184, v150, v144
	ds_read2_b32 v[149:150], v149 offset1:1
	ds_read2_b32 v[159:160], v41 offset0:26 offset1:27
	ds_read2_b32 v[161:162], v41 offset0:28 offset1:29
	;; [unrolled: 1-line block ×3, first 2 shown]
	s_waitcnt lgkmcnt(7)
	v_dot4c_i32_i8 v183, v155, v139
	v_cvt_f32_f16_sdwa v187, v132 dst_sel:DWORD dst_unused:UNUSED_PAD src0_sel:WORD_1
	v_cvt_f32_f16_sdwa v193, v129 dst_sel:DWORD dst_unused:UNUSED_PAD src0_sel:WORD_1
	s_waitcnt lgkmcnt(6)
	v_dot4c_i32_i8 v184, v151, v145
	v_add_nc_u32_e32 v151, 0x4110, v41
	v_dot4c_i32_i8 v183, v156, v140
	ds_read2_b32 v[155:156], v43 offset1:2
	v_mov_b32_e32 v194, 0
	v_dot4c_i32_i8 v184, v152, v146
	s_waitcnt lgkmcnt(5)
	v_dot4c_i32_i8 v188, v157, v133
	ds_read2_b32 v[151:152], v151 offset1:1
	ds_read2_b32 v[167:168], v167 offset1:1
	;; [unrolled: 1-line block ×3, first 2 shown]
	v_mov_b32_e32 v197, 0
	v_cvt_f32_ubyte2_e32 v196, v27
	v_dot4c_i32_i8 v184, v153, v147
	v_add_nc_u32_e32 v153, 0x4128, v41
	v_dot4c_i32_i8 v188, v158, v134
	ds_read2_b32 v[157:158], v153 offset1:1
	ds_read2_b32 v[171:172], v171 offset1:1
	ds_read2_b32 v[173:174], v173 offset1:1
	ds_read2_b32 v[175:176], v175 offset1:1
	s_waitcnt lgkmcnt(11)
	v_dot4c_i32_i8 v188, v149, v135
	v_add_nc_u32_e32 v149, 0x6188, v41
	v_add_nc_u32_e32 v153, 0x6190, v41
	v_dot4c_i32_i8 v184, v154, v148
	v_cvt_f32_ubyte3_e32 v27, v27
	v_dot4c_i32_i8 v188, v150, v136
	ds_read2_b32 v[149:150], v149 offset1:1
	ds_read2_b32 v[153:154], v153 offset1:1
	;; [unrolled: 1-line block ×4, first 2 shown]
	s_waitcnt lgkmcnt(11)
	v_cvt_f32_ubyte0_e32 v189, v156
	v_cvt_f32_ubyte1_e32 v191, v156
	s_cmp_ge_i32 s2, s9
	s_waitcnt lgkmcnt(8)
	v_dot4c_i32_i8 v190, v169, v141
	v_dot4c_i32_i8 v188, v151, v137
	v_add_nc_u32_e32 v169, 0x61a8, v41
	v_dot4c_i32_i8 v190, v170, v142
	v_dot4c_i32_i8 v188, v152, v138
	ds_read2_b32 v[151:152], v45 offset1:2
	ds_read2_b32 v[169:170], v169 offset1:1
	s_waitcnt lgkmcnt(6)
	v_dot4c_i32_i8 v192, v175, v133
	v_add_nc_u32_e32 v133, 0x61b0, v41
	v_dot4c_i32_i8 v188, v167, v139
	v_mov_b32_e32 v167, 0
	v_dot4c_i32_i8 v190, v157, v143
	v_dot4c_i32_i8 v192, v176, v134
	ds_read2_b32 v[133:134], v133 offset1:1
	v_dot4c_i32_i8 v188, v168, v140
	s_waitcnt lgkmcnt(3)
	v_dot4c_i32_i8 v167, v179, v141
	v_add_nc_u32_e32 v141, 0x20c0, v41
	v_dot4c_i32_i8 v192, v149, v135
	v_add_nc_u32_e32 v135, 0x61b8, v41
	v_dot4c_i32_i8 v190, v158, v144
	v_dot4c_i32_i8 v167, v180, v142
	v_add_nc_u32_e32 v175, 0x20e0, v41
	v_dot4c_i32_i8 v192, v150, v136
	ds_read2_b32 v[149:150], v47 offset1:2
	ds_read2_b32 v[135:136], v135 offset1:1
	;; [unrolled: 1-line block ×3, first 2 shown]
	v_and_b32_e32 v141, 0xff, v26
	s_waitcnt lgkmcnt(4)
	v_dot4c_i32_i8 v167, v169, v143
	v_dot4c_i32_i8 v190, v171, v145
	;; [unrolled: 1-line block ×3, first 2 shown]
	v_bfe_u32 v142, v151, 8, 8
	v_mul_lo_u32 v141, v181, v141
	v_dot4c_i32_i8 v167, v170, v144
	v_dot4c_i32_i8 v190, v172, v146
	;; [unrolled: 1-line block ×3, first 2 shown]
	v_bfe_u32 v138, v26, 8, 8
	v_cvt_f32_ubyte0_e32 v137, v152
	s_waitcnt lgkmcnt(3)
	v_dot4c_i32_i8 v167, v133, v145
	v_dot4c_i32_i8 v190, v173, v147
	;; [unrolled: 1-line block ×3, first 2 shown]
	v_mul_lo_u32 v133, v182, v138
	v_cvt_f32_i32_e32 v139, v141
	v_dot4c_i32_i8 v167, v134, v146
	v_fma_mix_f32 v134, v1, v185, 0 op_sel:[1,0,0] op_sel_hi:[1,0,0]
	v_dot4c_i32_i8 v192, v178, v140
	v_bfe_u32 v140, v155, 8, 8
	v_fma_mix_f32 v139, v1, v139, 0 op_sel_hi:[1,0,0]
	s_waitcnt lgkmcnt(1)
	v_dot4c_i32_i8 v167, v135, v147
	v_cvt_f32_i32_e32 v133, v133
	v_and_b32_e32 v135, 0xff, v155
	v_fma_mix_f32 v134, v2, v186, v134 op_sel:[1,0,0] op_sel_hi:[1,0,0]
	v_dot4c_i32_i8 v190, v174, v148
	v_mul_lo_u32 v140, v184, v140
	v_fma_mix_f32 v133, v2, v133, v139 op_sel_hi:[1,0,0]
	v_and_b32_e32 v139, 0xff, v151
	v_mul_lo_u32 v135, v183, v135
	v_mul_f32_e32 v134, v134, v187
	v_dot4c_i32_i8 v167, v136, v148
	v_fma_mix_f32 v136, v1, v189, 0 op_sel:[1,0,0] op_sel_hi:[1,0,0]
	v_mul_lo_u32 v139, v188, v139
	v_cvt_f32_i32_e32 v140, v140
	v_fma_mix_f32 v133, v133, v132, -v134 op_sel_hi:[0,1,0]
	v_mul_lo_u32 v134, v190, v142
	v_cvt_f32_i32_e32 v135, v135
	v_fma_mix_f32 v136, v2, v191, v136 op_sel:[1,0,0] op_sel_hi:[1,0,0]
	v_cvt_f32_ubyte1_e32 v138, v152
	v_fma_mix_f32 v137, v1, v137, 0 op_sel:[1,0,0] op_sel_hi:[1,0,0]
	v_cvt_f32_i32_e32 v139, v139
	v_fma_mix_f32 v135, v1, v135, 0 op_sel_hi:[1,0,0]
	v_mul_f32_e32 v136, v136, v193
	v_cvt_f32_i32_e32 v134, v134
	v_fma_mix_f32 v137, v2, v138, v137 op_sel:[1,0,0] op_sel_hi:[1,0,0]
	v_fma_mix_f32 v139, v1, v139, 0 op_sel_hi:[1,0,0]
	v_fma_mix_f32 v135, v2, v140, v135 op_sel_hi:[1,0,0]
	v_and_b32_e32 v138, 0xff, v149
	v_cvt_f32_f16_sdwa v181, v130 dst_sel:DWORD dst_unused:UNUSED_PAD src0_sel:WORD_1
	v_add_f32_e32 v107, v107, v133
	v_fma_mix_f32 v139, v2, v134, v139 op_sel_hi:[1,0,0]
	v_fma_mix_f32 v142, v135, v129, -v136 op_sel_hi:[0,1,0]
	ds_read_b128 v[133:136], v34 offset:64
	v_bfe_u32 v140, v149, 8, 8
	v_mul_lo_u32 v138, v192, v138
	v_mul_f32_e32 v137, v137, v181
	v_add_f32_e32 v184, v128, v142
	v_mov_b32_e32 v189, 0
	v_mul_lo_u32 v140, v167, v140
	v_cvt_f32_ubyte0_e32 v141, v150
	v_fma_mix_f32 v137, v139, v130, -v137 op_sel_hi:[0,1,0]
	v_add_nc_u32_e32 v148, 0x20c8, v41
	v_cvt_f32_i32_e32 v128, v138
	v_add_nc_u32_e32 v171, 0x20d0, v41
	v_add_nc_u32_e32 v173, 0x20d8, v41
	v_add_f32_e32 v186, v127, v137
	v_cvt_f32_i32_e32 v145, v140
	v_fma_mix_f32 v146, v1, v128, 0 op_sel_hi:[1,0,0]
	ds_read_b128 v[137:140], v34 offset:96
	ds_read2_b32 v[127:128], v41 offset0:18 offset1:19
	ds_read2_b32 v[153:154], v41 offset0:20 offset1:21
	;; [unrolled: 1-line block ×4, first 2 shown]
	v_fma_mix_f32 v1, v1, v141, 0 op_sel:[1,0,0] op_sel_hi:[1,0,0]
	v_cvt_f32_ubyte1_e32 v147, v150
	s_waitcnt lgkmcnt(5)
	v_dot4c_i32_i8 v189, v165, v133
	ds_read_b128 v[141:144], v34 offset:80
	v_mov_b32_e32 v190, 0
	v_fma_mix_f32 v177, v2, v145, v146 op_sel_hi:[1,0,0]
	v_fma_mix_f32 v178, v2, v147, v1 op_sel:[1,0,0] op_sel_hi:[1,0,0]
	v_dot4c_i32_i8 v189, v166, v134
	ds_read2_b32 v[165:166], v148 offset1:1
	ds_read2_b32 v[171:172], v171 offset1:1
	;; [unrolled: 1-line block ×4, first 2 shown]
	v_add_nc_u32_e32 v1, 0x20e8, v41
	ds_read_b128 v[145:148], v34 offset:112
	v_mov_b32_e32 v191, 0
	v_cvt_f32_f16_sdwa v192, v131 dst_sel:DWORD dst_unused:UNUSED_PAD src0_sel:WORD_1
	v_add_nc_u32_e32 v179, 0x61e0, v41
	ds_read2_b32 v[1:2], v1 offset1:1
	v_lshrrev_b32_e32 v182, 24, v26
	s_waitcnt lgkmcnt(10)
	v_dot4c_i32_i8 v189, v127, v135
	v_add_nc_u32_e32 v127, 0x20f0, v41
	v_dot4c_i32_i8 v191, v157, v133
	s_waitcnt lgkmcnt(7)
	v_dot4c_i32_i8 v190, v169, v137
	v_add_nc_u32_e32 v157, 0x4140, v41
	v_dot4c_i32_i8 v189, v128, v136
	ds_read2_b32 v[127:128], v127 offset1:1
	v_dot4c_i32_i8 v191, v158, v134
	v_dot4c_i32_i8 v190, v170, v138
	v_add_nc_u32_e32 v169, 0x61c0, v41
	s_waitcnt lgkmcnt(7)
	v_dot4c_i32_i8 v189, v153, v141
	v_add_nc_u32_e32 v153, 0x20f8, v41
	s_waitcnt lgkmcnt(3)
	v_dot4c_i32_i8 v194, v175, v137
	v_dot4c_i32_i8 v190, v159, v139
	v_dot4c_i32_i8 v191, v165, v135
	v_dot4c_i32_i8 v189, v154, v142
	ds_read2_b32 v[153:154], v153 offset1:1
	ds_read2_b32 v[157:158], v157 offset1:1
	v_dot4c_i32_i8 v194, v176, v138
	v_dot4c_i32_i8 v190, v160, v140
	;; [unrolled: 1-line block ×4, first 2 shown]
	v_add_nc_u32_e32 v159, 0x4158, v41
	s_waitcnt lgkmcnt(3)
	v_dot4c_i32_i8 v194, v1, v139
	v_dot4c_i32_i8 v190, v161, v145
	v_mul_f32_e32 v1, v178, v192
	v_dot4c_i32_i8 v191, v171, v141
	v_add_nc_u32_e32 v161, 0x4160, v41
	v_dot4c_i32_i8 v194, v2, v140
	v_dot4c_i32_i8 v190, v162, v146
	v_fma_mix_f32 v195, v177, v131, -v1 op_sel_hi:[0,1,0]
	v_add_nc_u32_e32 v1, 0x4148, v41
	v_dot4c_i32_i8 v191, v172, v142
	s_waitcnt lgkmcnt(2)
	v_dot4c_i32_i8 v194, v127, v145
	v_dot4c_i32_i8 v190, v163, v147
	v_add_nc_u32_e32 v127, 0x4150, v41
	v_add_nc_u32_e32 v163, 0x4168, v41
	;; [unrolled: 1-line block ×4, first 2 shown]
	v_dot4c_i32_i8 v189, v168, v144
	v_dot4c_i32_i8 v190, v164, v148
	;; [unrolled: 1-line block ×3, first 2 shown]
	ds_read2_b32 v[1:2], v1 offset1:1
	ds_read2_b32 v[127:128], v127 offset1:1
	;; [unrolled: 1-line block ×8, first 2 shown]
	v_add_nc_u32_e32 v171, 0x61c8, v41
	v_dot4c_i32_i8 v191, v173, v143
	v_add_nc_u32_e32 v173, 0x61d0, v41
	v_add_nc_u32_e32 v177, 0x61d8, v41
	ds_read2_b32 v[171:172], v171 offset1:1
	ds_read2_b32 v[175:176], v173 offset1:1
	ds_read2_b32 v[177:178], v177 offset1:1
	ds_read2_b32 v[179:180], v179 offset1:1
	s_waitcnt lgkmcnt(12)
	v_dot4c_i32_i8 v197, v157, v133
	v_dot4c_i32_i8 v194, v153, v147
	v_add_nc_u32_e32 v153, 0x61e8, v41
	v_mov_b32_e32 v157, 0
	v_bfe_u32 v26, v26, 16, 8
	v_dot4c_i32_i8 v197, v158, v134
	v_mov_b32_e32 v158, 0
	v_dot4c_i32_i8 v194, v154, v148
	ds_read2_b32 v[153:154], v153 offset1:1
	s_waitcnt lgkmcnt(9)
	v_dot4c_i32_i8 v157, v161, v137
	v_dot4c_i32_i8 v197, v1, v135
	v_add_nc_u32_e32 v1, 0x61f0, v41
	s_waitcnt lgkmcnt(5)
	v_dot4c_i32_i8 v158, v169, v133
	v_mov_b32_e32 v133, 0
	v_dot4c_i32_i8 v157, v162, v138
	v_dot4c_i32_i8 v197, v2, v136
	ds_read2_b32 v[1:2], v1 offset1:1
	v_dot4c_i32_i8 v158, v170, v134
	v_dot4c_i32_i8 v191, v174, v144
	s_waitcnt lgkmcnt(2)
	v_dot4c_i32_i8 v133, v179, v137
	v_dot4c_i32_i8 v197, v127, v141
	v_add_nc_u32_e32 v127, 0x61f8, v41
	v_dot4c_i32_i8 v158, v171, v135
	v_dot4c_i32_i8 v157, v163, v139
	v_dot4c_i32_i8 v133, v180, v138
	v_dot4c_i32_i8 v197, v128, v142
	ds_read2_b32 v[127:128], v127 offset1:1
	v_dot4c_i32_i8 v158, v172, v136
	v_dot4c_i32_i8 v157, v164, v140
	s_waitcnt lgkmcnt(2)
	v_dot4c_i32_i8 v133, v153, v139
	v_mul_lo_u32 v135, v190, v182
	v_bfe_u32 v136, v155, 16, 8
	v_dot4c_i32_i8 v158, v175, v141
	v_dot4c_i32_i8 v157, v165, v145
	;; [unrolled: 1-line block ×3, first 2 shown]
	v_lshrrev_b32_e32 v183, 24, v155
	v_dot4c_i32_i8 v197, v159, v143
	v_dot4c_i32_i8 v158, v176, v142
	;; [unrolled: 1-line block ×3, first 2 shown]
	s_waitcnt lgkmcnt(1)
	v_dot4c_i32_i8 v133, v1, v145
	v_mul_lo_u32 v1, v189, v26
	v_dot4c_i32_i8 v197, v160, v144
	v_dot4c_i32_i8 v158, v177, v143
	;; [unrolled: 1-line block ×4, first 2 shown]
	v_mul_lo_u32 v138, v194, v183
	v_lshrrev_b32_e32 v185, 24, v151
	v_dot4c_i32_i8 v158, v178, v144
	v_cvt_f32_i32_e32 v1, v1
	s_waitcnt lgkmcnt(0)
	v_dot4c_i32_i8 v133, v127, v147
	v_cvt_f32_i32_e32 v127, v135
	v_mul_lo_u32 v135, v191, v136
	v_fma_mix_f32 v136, v3, v196, 0 op_sel:[1,0,0] op_sel_hi:[1,0,0]
	v_fma_mix_f32 v1, v3, v1, 0 op_sel_hi:[1,0,0]
	v_dot4c_i32_i8 v133, v128, v148
	v_bfe_u32 v128, v151, 16, 8
	v_lshrrev_b32_e32 v188, 24, v149
	v_fma_mix_f32 v27, v4, v27, v136 op_sel:[1,0,0] op_sel_hi:[1,0,0]
	v_bfe_u32 v136, v149, 16, 8
	v_fma_mix_f32 v1, v4, v127, v1 op_sel_hi:[1,0,0]
	v_cvt_f32_i32_e32 v127, v135
	v_dot4c_i32_i8 v157, v168, v148
	v_mul_lo_u32 v128, v197, v128
	v_mul_lo_u32 v136, v158, v136
	v_cvt_f32_ubyte2_e32 v173, v156
	v_cvt_f32_ubyte2_e32 v26, v152
	;; [unrolled: 1-line block ×3, first 2 shown]
	v_cvt_f32_i32_e32 v138, v138
	v_fma_mix_f32 v127, v3, v127, 0 op_sel_hi:[1,0,0]
	v_mul_lo_u32 v139, v157, v185
	v_mul_lo_u32 v133, v133, v188
	v_cvt_f32_ubyte3_e32 v134, v156
	v_cvt_f32_ubyte3_e32 v2, v152
	v_fma_mix_f32 v135, v3, v173, 0 op_sel:[1,0,0] op_sel_hi:[1,0,0]
	v_fma_mix_f32 v127, v4, v138, v127 op_sel_hi:[1,0,0]
	v_fma_mix_f32 v26, v3, v26, 0 op_sel:[1,0,0] op_sel_hi:[1,0,0]
	v_cvt_f32_i32_e32 v128, v128
	v_cvt_f32_i32_e32 v136, v136
	v_fma_mix_f32 v137, v3, v137, 0 op_sel:[1,0,0] op_sel_hi:[1,0,0]
	v_cvt_f32_ubyte3_e32 v138, v150
	v_fma_mix_f32 v134, v4, v134, v135 op_sel:[1,0,0] op_sel_hi:[1,0,0]
	v_cvt_f32_i32_e32 v135, v139
	v_fma_mix_f32 v128, v3, v128, 0 op_sel_hi:[1,0,0]
	v_fma_mix_f32 v2, v4, v2, v26 op_sel:[1,0,0] op_sel_hi:[1,0,0]
	v_cvt_f32_i32_e32 v26, v133
	v_fma_mix_f32 v3, v3, v136, 0 op_sel_hi:[1,0,0]
	v_fma_mix_f32 v133, v4, v138, v137 op_sel:[1,0,0] op_sel_hi:[1,0,0]
	v_mul_f32_e32 v27, v27, v187
	v_mul_f32_e32 v134, v134, v193
	v_fma_mix_f32 v128, v4, v135, v128 op_sel_hi:[1,0,0]
	v_mul_f32_e32 v2, v2, v181
	v_fma_mix_f32 v3, v4, v26, v3 op_sel_hi:[1,0,0]
	v_mul_f32_e32 v4, v133, v192
	v_add_f32_e32 v23, v23, v195
	v_fma_mix_f32 v1, v1, v132, -v27 op_sel_hi:[0,1,0]
	v_fma_mix_f32 v26, v127, v129, -v134 op_sel_hi:[0,1,0]
	;; [unrolled: 1-line block ×4, first 2 shown]
	v_add_f32_e32 v107, v107, v1
	v_add_f32_e32 v128, v184, v26
	;; [unrolled: 1-line block ×4, first 2 shown]
	s_barrier
	buffer_gl0_inv
	s_cbranch_scc1 .LBB214_5
; %bb.12:                               ;   in Loop: Header=BB214_6 Depth=1
	v_cmp_gt_i32_e64 s1, s12, v38
	s_and_b32 s4, s0, s1
	s_and_saveexec_b32 s1, s4
	s_cbranch_execz .LBB214_14
; %bb.13:                               ;   in Loop: Header=BB214_6 Depth=1
	v_add_nc_u32_e32 v1, v49, v38
	v_mad_i64_i32 v[1:2], null, v1, 36, v[21:22]
	global_load_dword v1, v[1:2], off offset:4
	s_waitcnt vmcnt(0)
	ds_write_b32 v37, v1
.LBB214_14:                             ;   in Loop: Header=BB214_6 Depth=1
	s_or_b32 exec_lo, exec_lo, s1
	s_and_saveexec_b32 s4, vcc_lo
	s_cbranch_execz .LBB214_4
; %bb.15:                               ;   in Loop: Header=BB214_6 Depth=1
	v_add_nc_u32_e32 v1, 4, v126
	v_cmp_gt_i32_e64 s1, s12, v1
	s_and_b32 s1, s0, s1
	s_and_b32 exec_lo, exec_lo, s1
	s_cbranch_execz .LBB214_4
; %bb.16:                               ;   in Loop: Header=BB214_6 Depth=1
	v_ashrrev_i32_e32 v1, 31, v126
	v_add_co_u32 v2, s1, v49, v126
	v_add_co_ci_u32_e64 v3, null, v50, v1, s1
	v_mad_u64_u32 v[1:2], null, v2, 36, s[6:7]
	v_mad_i32_i24 v2, v3, 36, v2
	global_load_dword v1, v[1:2], off offset:144
	v_add_nc_u32_e32 v2, v36, v39
	s_waitcnt vmcnt(0)
	ds_write_b32 v2, v1
	s_branch .LBB214_4
.LBB214_17:
	s_mul_i32 s0, s14, s11
	s_waitcnt vmcnt(0)
	v_cmp_gt_i32_e32 vcc_lo, s0, v28
	s_and_saveexec_b32 s0, vcc_lo
	s_cbranch_execz .LBB214_26
; %bb.18:
	v_add_nc_u32_e32 v1, s3, v0
	v_mul_lo_u32 v0, v28, s13
	s_mov_b32 s0, exec_lo
	v_cmpx_gt_u32_e64 s13, v1
	s_cbranch_execz .LBB214_20
; %bb.19:
	v_add_nc_u32_e32 v2, v0, v1
	v_mov_b32_e32 v3, 0
	v_cvt_f16_f32_e32 v4, v107
	v_lshlrev_b64 v[2:3], 1, v[2:3]
	v_add_co_u32 v2, vcc_lo, s16, v2
	v_add_co_ci_u32_e64 v3, null, s17, v3, vcc_lo
	global_store_short v[2:3], v4, off
.LBB214_20:
	s_or_b32 exec_lo, exec_lo, s0
	v_add_nc_u32_e32 v2, 32, v1
	s_mov_b32 s0, exec_lo
	v_cmpx_gt_u32_e64 s13, v2
	s_cbranch_execz .LBB214_22
; %bb.21:
	v_add_nc_u32_e32 v2, v0, v2
	v_mov_b32_e32 v3, 0
	v_cvt_f16_f32_e32 v4, v128
	v_lshlrev_b64 v[2:3], 1, v[2:3]
	v_add_co_u32 v2, vcc_lo, s16, v2
	v_add_co_ci_u32_e64 v3, null, s17, v3, vcc_lo
	global_store_short v[2:3], v4, off
.LBB214_22:
	s_or_b32 exec_lo, exec_lo, s0
	v_add_nc_u32_e32 v2, 64, v1
	;; [unrolled: 14-line block ×3, first 2 shown]
	v_cmp_gt_u32_e32 vcc_lo, s13, v1
	s_and_b32 exec_lo, exec_lo, vcc_lo
	s_cbranch_execz .LBB214_26
; %bb.25:
	v_add_nc_u32_e32 v0, v0, v1
	v_mov_b32_e32 v1, 0
	v_cvt_f16_f32_e32 v2, v23
	v_lshlrev_b64 v[0:1], 1, v[0:1]
	v_add_co_u32 v0, vcc_lo, s16, v0
	v_add_co_ci_u32_e64 v1, null, s17, v1, vcc_lo
	global_store_short v[0:1], v2, off
.LBB214_26:
	s_endpgm
	.section	.rodata,"a",@progbits
	.p2align	6, 0x0
	.amdhsa_kernel _ZL8moe_q5_KIN3c104HalfELb1EEvPKvS3_PT_PKiS7_S7_iiiiiii
		.amdhsa_group_segment_fixed_size 37072
		.amdhsa_private_segment_fixed_size 0
		.amdhsa_kernarg_size 76
		.amdhsa_user_sgpr_count 6
		.amdhsa_user_sgpr_private_segment_buffer 1
		.amdhsa_user_sgpr_dispatch_ptr 0
		.amdhsa_user_sgpr_queue_ptr 0
		.amdhsa_user_sgpr_kernarg_segment_ptr 1
		.amdhsa_user_sgpr_dispatch_id 0
		.amdhsa_user_sgpr_flat_scratch_init 0
		.amdhsa_user_sgpr_private_segment_size 0
		.amdhsa_wavefront_size32 1
		.amdhsa_uses_dynamic_stack 0
		.amdhsa_system_sgpr_private_segment_wavefront_offset 0
		.amdhsa_system_sgpr_workgroup_id_x 1
		.amdhsa_system_sgpr_workgroup_id_y 1
		.amdhsa_system_sgpr_workgroup_id_z 0
		.amdhsa_system_sgpr_workgroup_info 0
		.amdhsa_system_vgpr_workitem_id 1
		.amdhsa_next_free_vgpr 198
		.amdhsa_next_free_sgpr 24
		.amdhsa_reserve_vcc 1
		.amdhsa_reserve_flat_scratch 0
		.amdhsa_float_round_mode_32 0
		.amdhsa_float_round_mode_16_64 0
		.amdhsa_float_denorm_mode_32 3
		.amdhsa_float_denorm_mode_16_64 3
		.amdhsa_dx10_clamp 1
		.amdhsa_ieee_mode 1
		.amdhsa_fp16_overflow 0
		.amdhsa_workgroup_processor_mode 1
		.amdhsa_memory_ordered 1
		.amdhsa_forward_progress 1
		.amdhsa_shared_vgpr_count 0
		.amdhsa_exception_fp_ieee_invalid_op 0
		.amdhsa_exception_fp_denorm_src 0
		.amdhsa_exception_fp_ieee_div_zero 0
		.amdhsa_exception_fp_ieee_overflow 0
		.amdhsa_exception_fp_ieee_underflow 0
		.amdhsa_exception_fp_ieee_inexact 0
		.amdhsa_exception_int_div_zero 0
	.end_amdhsa_kernel
	.section	.text._ZL8moe_q5_KIN3c104HalfELb1EEvPKvS3_PT_PKiS7_S7_iiiiiii,"axG",@progbits,_ZL8moe_q5_KIN3c104HalfELb1EEvPKvS3_PT_PKiS7_S7_iiiiiii,comdat
.Lfunc_end214:
	.size	_ZL8moe_q5_KIN3c104HalfELb1EEvPKvS3_PT_PKiS7_S7_iiiiiii, .Lfunc_end214-_ZL8moe_q5_KIN3c104HalfELb1EEvPKvS3_PT_PKiS7_S7_iiiiiii
                                        ; -- End function
	.set _ZL8moe_q5_KIN3c104HalfELb1EEvPKvS3_PT_PKiS7_S7_iiiiiii.num_vgpr, 198
	.set _ZL8moe_q5_KIN3c104HalfELb1EEvPKvS3_PT_PKiS7_S7_iiiiiii.num_agpr, 0
	.set _ZL8moe_q5_KIN3c104HalfELb1EEvPKvS3_PT_PKiS7_S7_iiiiiii.numbered_sgpr, 24
	.set _ZL8moe_q5_KIN3c104HalfELb1EEvPKvS3_PT_PKiS7_S7_iiiiiii.num_named_barrier, 0
	.set _ZL8moe_q5_KIN3c104HalfELb1EEvPKvS3_PT_PKiS7_S7_iiiiiii.private_seg_size, 0
	.set _ZL8moe_q5_KIN3c104HalfELb1EEvPKvS3_PT_PKiS7_S7_iiiiiii.uses_vcc, 1
	.set _ZL8moe_q5_KIN3c104HalfELb1EEvPKvS3_PT_PKiS7_S7_iiiiiii.uses_flat_scratch, 0
	.set _ZL8moe_q5_KIN3c104HalfELb1EEvPKvS3_PT_PKiS7_S7_iiiiiii.has_dyn_sized_stack, 0
	.set _ZL8moe_q5_KIN3c104HalfELb1EEvPKvS3_PT_PKiS7_S7_iiiiiii.has_recursion, 0
	.set _ZL8moe_q5_KIN3c104HalfELb1EEvPKvS3_PT_PKiS7_S7_iiiiiii.has_indirect_call, 0
	.section	.AMDGPU.csdata,"",@progbits
; Kernel info:
; codeLenInByte = 12144
; TotalNumSgprs: 26
; NumVgprs: 198
; ScratchSize: 0
; MemoryBound: 0
; FloatMode: 240
; IeeeMode: 1
; LDSByteSize: 37072 bytes/workgroup (compile time only)
; SGPRBlocks: 0
; VGPRBlocks: 24
; NumSGPRsForWavesPerEU: 26
; NumVGPRsForWavesPerEU: 198
; Occupancy: 4
; WaveLimiterHint : 1
; COMPUTE_PGM_RSRC2:SCRATCH_EN: 0
; COMPUTE_PGM_RSRC2:USER_SGPR: 6
; COMPUTE_PGM_RSRC2:TRAP_HANDLER: 0
; COMPUTE_PGM_RSRC2:TGID_X_EN: 1
; COMPUTE_PGM_RSRC2:TGID_Y_EN: 1
; COMPUTE_PGM_RSRC2:TGID_Z_EN: 0
; COMPUTE_PGM_RSRC2:TIDIG_COMP_CNT: 1
	.section	.text._ZL8moe_q6_KIN3c104HalfELb0EEvPKvS3_PT_PKiS7_S7_iiiiiii,"axG",@progbits,_ZL8moe_q6_KIN3c104HalfELb0EEvPKvS3_PT_PKiS7_S7_iiiiiii,comdat
	.globl	_ZL8moe_q6_KIN3c104HalfELb0EEvPKvS3_PT_PKiS7_S7_iiiiiii ; -- Begin function _ZL8moe_q6_KIN3c104HalfELb0EEvPKvS3_PT_PKiS7_S7_iiiiiii
	.p2align	8
	.type	_ZL8moe_q6_KIN3c104HalfELb0EEvPKvS3_PT_PKiS7_S7_iiiiiii,@function
_ZL8moe_q6_KIN3c104HalfELb0EEvPKvS3_PT_PKiS7_S7_iiiiiii: ; @_ZL8moe_q6_KIN3c104HalfELb0EEvPKvS3_PT_PKiS7_S7_iiiiiii
; %bb.0:
	s_load_dwordx4 s[0:3], s[4:5], 0x18
	s_mov_b32 s8, s7
	s_mov_b32 s9, 0
	s_lshl_b64 s[10:11], s[8:9], 2
	s_waitcnt lgkmcnt(0)
	s_add_u32 s2, s2, s10
	s_addc_u32 s3, s3, s11
	s_load_dword s14, s[2:3], 0x0
	s_waitcnt lgkmcnt(0)
	s_cmpk_gt_u32 s14, 0xff
	s_cbranch_scc1 .LBB215_26
; %bb.1:
	s_load_dwordx2 s[2:3], s[4:5], 0x28
	s_waitcnt lgkmcnt(0)
	s_load_dword s3, s[2:3], 0x0
	s_lshl_b32 s2, s8, 3
	s_waitcnt lgkmcnt(0)
	s_cmp_gt_u32 s2, s3
	s_cbranch_scc1 .LBB215_26
; %bb.2:
	v_add_nc_u32_e32 v3, s2, v1
	v_mov_b32_e32 v4, 0
	s_lshl_b32 s16, s6, 7
	v_lshlrev_b64 v[2:3], 2, v[3:4]
	v_mov_b32_e32 v97, v4
	v_mov_b32_e32 v102, v4
	v_mov_b32_e32 v6, v4
	v_add_co_u32 v2, vcc_lo, s0, v2
	v_add_co_ci_u32_e64 v3, null, s1, v3, vcc_lo
	global_load_dword v5, v[2:3], off
	s_clause 0x2
	s_load_dwordx2 s[12:13], s[4:5], 0x30
	s_load_dwordx2 s[2:3], s[4:5], 0x10
	s_load_dwordx4 s[8:11], s[4:5], 0x3c
	s_waitcnt lgkmcnt(0)
	s_cmpk_lt_i32 s13, 0x100
	s_cbranch_scc1 .LBB215_17
; %bb.3:
	s_ashr_i32 s0, s13, 31
	s_mul_i32 s12, s14, s12
	s_lshr_b32 s0, s0, 24
	s_abs_i32 s14, s11
	s_add_i32 s0, s13, s0
	v_and_b32_e32 v3, 31, v0
	s_ashr_i32 s17, s0, 8
	v_lshlrev_b32_e32 v10, 3, v1
	s_lshl_b32 s0, s17, 3
	v_lshrrev_b32_e32 v11, 2, v0
	v_cvt_f32_u32_e32 v13, s14
	v_mad_i32_i24 v4, s17, v1, s0
	v_lshl_add_u32 v9, v1, 5, v0
	v_lshlrev_b32_e32 v14, 1, v3
	v_add_nc_u32_e32 v18, v11, v10
	v_add_nc_u16 v10, v11, v10
	v_rcp_iflag_f32_e32 v11, v13
	v_add_nc_u32_e32 v40, s0, v4
	v_add_nc_u16 v15, v3, -16
	v_cmp_gt_u32_e32 vcc_lo, 16, v3
	v_and_b32_e32 v16, 0x7f, v9
	v_add_nc_u32_e32 v17, 0xe0, v14
	v_lshrrev_b32_e32 v9, 3, v9
	v_add_nc_u32_e32 v44, s0, v40
	v_lshlrev_b32_e32 v99, 2, v3
	v_cndmask_b32_e32 v3, v15, v3, vcc_lo
	v_cndmask_b32_e32 v15, v17, v14, vcc_lo
	v_and_b32_e32 v17, 12, v9
	v_mul_f32_e32 v9, 0x4f7ffffe, v11
	v_add_nc_u32_e32 v48, s0, v44
	s_sub_i32 s15, 0, s14
	v_cmp_lt_u16_e32 vcc_lo, 7, v3
	v_lshlrev_b32_e32 v19, 2, v16
	v_cvt_u32_f32_e32 v21, v9
	v_add_nc_u32_e32 v52, s0, v48
	v_mul_i32_i24_e32 v100, s17, v16
	v_and_b32_e32 v12, 3, v0
	v_add3_u32 v16, v19, v17, 0x8e40
	v_mul_lo_u32 v3, s15, v21
	v_add_nc_u32_e32 v56, s0, v52
	s_waitcnt vmcnt(0)
	v_sub_nc_u32_e32 v19, 0, v5
	v_lshrrev_b32_e32 v2, 5, v0
	v_lshlrev_b32_e32 v106, 2, v12
	v_and_b32_e32 v18, 0x7f, v18
	v_add_nc_u32_e32 v60, s0, v56
	v_max_i32_e32 v27, v5, v19
	v_mul_hi_u32 v3, v21, v3
	v_lshrrev_b16 v20, 1, v10
	v_lshl_or_b32 v23, v18, 4, v106
	v_add_nc_u32_e32 v64, s0, v60
	v_lshlrev_b32_e32 v33, 2, v0
	v_add_nc_u32_e32 v28, 32, v0
	v_and_b32_e32 v20, 60, v20
	v_lshlrev_b32_e32 v30, 2, v2
	v_add_nc_u32_e32 v3, v21, v3
	v_add_nc_u32_e32 v68, s0, v64
	;; [unrolled: 1-line block ×3, first 2 shown]
	v_add3_u32 v17, v23, v20, 0x8200
	v_lshrrev_b32_e32 v23, 3, v28
	v_mul_hi_u32 v3, v27, v3
	v_add_nc_u32_e32 v72, s0, v68
	v_lshlrev_b32_e32 v28, 4, v28
	s_ashr_i32 s1, s9, 31
	v_lshlrev_b32_e32 v31, 2, v23
	v_add_nc_u32_e32 v41, 0x60, v0
	v_add_nc_u32_e32 v76, s0, v72
	s_lshr_b32 s1, s1, 27
	v_mul_lo_u32 v29, v3, s14
	v_add3_u32 v28, v28, v31, 0x8200
	v_lshrrev_b32_e32 v31, 3, v32
	v_add_nc_u32_e32 v80, s0, v76
	v_xor_b32_e32 v39, s11, v5
	s_load_dwordx4 s[4:7], s[4:5], 0x0
	s_add_i32 s1, s9, s1
	v_lshlrev_b32_e32 v38, 2, v31
	v_add_nc_u32_e32 v84, s0, v80
	v_sub_nc_u32_e32 v29, v27, v29
	v_add3_u32 v27, v33, v30, 0x8e40
	v_add_nc_u32_e32 v30, 1, v3
	s_ashr_i32 s9, s1, 5
	v_add_nc_u32_e32 v88, s0, v84
	v_subrev_nc_u32_e32 v37, s14, v29
	v_cmp_le_u32_e64 s0, s14, v29
	s_mul_i32 s1, s17, s16
	v_lshlrev_b32_e32 v32, 4, v32
	v_ashrrev_i32_e32 v39, 31, v39
	s_mul_hi_i32 s15, s1, 0xd2
	v_cndmask_b32_e64 v3, v3, v30, s0
	v_cndmask_b32_e64 v29, v29, v37, s0
	v_and_b32_e32 v30, 60, v23
	v_and_b32_e32 v34, 7, v0
	;; [unrolled: 1-line block ×3, first 2 shown]
	v_add_nc_u32_e32 v37, 1, v3
	v_cmp_le_u32_e64 s0, s14, v29
	s_mul_i32 s14, s1, 0xd2
	v_add3_u32 v29, v33, v30, 0x8e40
	v_mad_u64_u32 v[90:91], null, 0xd2, v2, s[14:15]
	v_cndmask_b32_e64 v3, v3, v37, s0
	v_lshrrev_b32_e32 v37, 3, v41
	v_add3_u32 v30, v32, v38, 0x8200
	v_mul_i32_i24_e32 v35, s17, v1
	v_lshlrev_b32_e32 v38, 4, v41
	v_xor_b32_e32 v3, v3, v39
	v_lshlrev_b32_e32 v32, 2, v37
	v_and_b32_e32 v37, 60, v37
	v_add_nc_u32_e32 v19, 0x9050, v33
	v_and_b32_e32 v36, 28, v33
	v_add3_u32 v31, v33, v31, 0x8e40
	v_lshlrev_b32_e32 v2, 1, v0
	v_add3_u32 v33, v33, v37, 0x8e40
	v_lshlrev_b32_e32 v37, 2, v34
	v_sub_nc_u32_e32 v3, v3, v39
	v_add3_u32 v32, v38, v32, 0x8200
	v_mad_u64_u32 v[38:39], null, 0xd2, v35, v[90:91]
	v_and_or_b32 v96, v2, 32, v37
	s_waitcnt lgkmcnt(0)
	v_add_co_u32 v2, s1, s6, v36
	v_cmp_gt_i32_e64 s0, s8, v3
	v_mul_lo_u32 v34, v3, s9
	v_add_co_ci_u32_e64 v3, null, s7, 0, s1
	v_add_co_u32 v36, s1, v38, v96
	v_add_co_ci_u32_e64 v37, null, 0, v39, s1
	v_mad_u64_u32 v[42:43], null, 0xd2, v4, v[90:91]
	v_add_co_u32 v36, s1, s4, v36
	v_add_co_ci_u32_e64 v37, null, s5, v37, s1
	v_mad_u64_u32 v[46:47], null, 0xd2, v40, v[90:91]
	v_add_co_u32 v36, s1, 0x80, v36
	v_add_co_ci_u32_e64 v37, null, 0, v37, s1
	v_add_co_u32 v4, s1, v38, v99
	v_add_co_ci_u32_e64 v39, null, 0, v39, s1
	v_add_co_u32 v41, s1, v42, v96
	v_add_co_ci_u32_e64 v45, null, 0, v43, s1
	v_add_co_u32 v38, s1, s4, v4
	v_add_co_ci_u32_e64 v39, null, s5, v39, s1
	v_add_co_u32 v4, s1, s4, v41
	v_add_co_ci_u32_e64 v41, null, s5, v45, s1
	v_mad_u64_u32 v[50:51], null, 0xd2, v44, v[90:91]
	v_add_co_u32 v40, s1, 0x80, v4
	v_add_co_ci_u32_e64 v41, null, 0, v41, s1
	v_add_co_u32 v4, s1, v42, v99
	v_add_co_ci_u32_e64 v43, null, 0, v43, s1
	v_add_co_u32 v45, s1, v46, v96
	v_add_co_ci_u32_e64 v49, null, 0, v47, s1
	v_add_co_u32 v42, s1, s4, v4
	v_add_co_ci_u32_e64 v43, null, s5, v43, s1
	;; [unrolled: 11-line block ×12, first 2 shown]
	v_add_co_u32 v4, s1, s4, v85
	v_add_co_ci_u32_e64 v85, null, s5, v89, s1
	v_xor_b32_e32 v22, 64, v18
	v_add_co_u32 v84, s1, 0x80, v4
	v_add_co_ci_u32_e64 v85, null, 0, v85, s1
	v_add_co_u32 v4, s1, v86, v99
	v_add_co_ci_u32_e64 v87, null, 0, v87, s1
	v_add_co_u32 v89, s1, v92, v96
	v_add_co_ci_u32_e64 v94, null, 0, v93, s1
	v_add_co_u32 v86, s1, s4, v4
	v_add_co_ci_u32_e64 v87, null, s5, v87, s1
	v_add_co_u32 v4, s1, s4, v89
	v_mul_i32_i24_e32 v102, s17, v18
	v_lshrrev_b32_e32 v18, 1, v22
	v_add_co_ci_u32_e64 v89, null, s5, v94, s1
	v_mad_u64_u32 v[94:95], null, 0xd2, v88, v[90:91]
	v_add_co_u32 v88, s1, 0x80, v4
	v_lshl_or_b32 v20, v22, 4, v106
	v_and_b32_e32 v18, 60, v18
	v_add_co_ci_u32_e64 v89, null, 0, v89, s1
	v_add_co_u32 v4, s1, v92, v99
	v_add_co_ci_u32_e64 v92, null, 0, v93, s1
	s_mul_i32 s20, s17, 0x78
	v_add_co_u32 v93, s1, v94, v96
	v_mul_u32_u24_e32 v8, 0x41, v1
	v_and_b32_e32 v12, 0xfe, v15
	v_add3_u32 v18, v20, v18, 0x8200
	v_lshl_add_u32 v20, v1, 7, 0x8a40
	v_lshlrev_b32_e32 v24, 4, v1
	v_add_co_ci_u32_e64 v97, null, 0, v95, s1
	v_mad_i32_i24 v1, s17, v1, s20
	v_add_co_u32 v93, s1, s4, v93
	v_and_b32_e32 v7, 15, v0
	v_sub_nc_u32_e32 v12, v14, v12
	v_add_co_ci_u32_e64 v101, null, s5, v97, s1
	v_mad_u64_u32 v[97:98], null, 0xd2, v1, v[90:91]
	v_add_co_u32 v1, s1, s4, v4
	v_lshlrev_b32_e32 v7, 2, v7
	v_lshlrev_b32_e32 v8, 2, v8
	;; [unrolled: 1-line block ×3, first 2 shown]
	v_add_co_ci_u32_e64 v90, null, s5, v92, s1
	v_add_co_u32 v91, s1, 0x80, v93
	v_add_co_ci_u32_e64 v92, null, 0, v101, s1
	v_add_co_u32 v4, s1, v97, v96
	v_add3_u32 v7, v11, v7, v8
	v_cndmask_b32_e64 v8, 0, 2, vcc_lo
	v_cmp_gt_u32_e32 vcc_lo, 4, v0
	v_add_co_ci_u32_e64 v93, null, 0, v98, s1
	v_add_co_u32 v94, s1, v94, v99
	v_add_co_ci_u32_e64 v95, null, 0, v95, s1
	v_add_co_u32 v4, s1, s4, v4
	s_ashr_i32 s18, s12, 31
	s_and_b32 s19, vcc_lo, s0
	v_add_co_ci_u32_e64 v96, null, s5, v93, s1
	v_add_co_u32 v93, s1, s4, v94
	s_add_u32 s20, s4, s14
	s_addc_u32 s21, s5, s15
	v_mul_i32_i24_e32 v104, s17, v22
	v_add_co_ci_u32_e64 v94, null, s5, v95, s1
	v_add_co_u32 v95, s1, 0x80, v4
	v_mad_u64_u32 v[100:101], null, 0xd2, v100, s[20:21]
	v_add_co_ci_u32_e64 v96, null, 0, v96, s1
	v_add_co_u32 v4, s1, v97, v99
	v_mad_u64_u32 v[102:103], null, 0xd2, v102, 0
	v_add_co_ci_u32_e64 v97, null, 0, v98, s1
	v_mad_u64_u32 v[104:105], null, 0xd2, v104, 0
	v_add_co_u32 v98, s1, s4, v4
	v_add_nc_u32_e32 v22, v20, v99
	v_add_co_ci_u32_e64 v99, null, s5, v97, s1
	v_add_co_u32 v100, s1, 0xd0, v100
	v_add_co_ci_u32_e64 v101, null, 0, v101, s1
	v_add_co_u32 v4, s1, s14, v102
	;; [unrolled: 2-line block ×5, first 2 shown]
	v_lshrrev_b32_e32 v21, 3, v0
	v_add_co_ci_u32_e64 v103, null, 0, v103, s1
	v_add_co_u32 v4, s1, s4, v4
	v_add_co_ci_u32_e64 v97, null, s5, v97, s1
	v_add_co_u32 v102, s1, s4, v102
	v_add_nc_u32_e32 v9, 0x30c0, v7
	v_lshlrev_b32_e32 v25, 2, v21
	v_lshlrev_b32_e32 v26, 4, v0
	v_add_co_ci_u32_e64 v106, null, s5, v103, s1
	v_add_co_u32 v103, s1, 0xc0, v4
	v_add_co_ci_u32_e64 v104, null, 0, v97, s1
	v_add_co_u32 v105, s1, 0xc0, v102
	v_mov_b32_e32 v6, 0
	v_add_nc_u32_e32 v10, 0x5140, v7
	v_add_nc_u32_e32 v11, 0x5960, v7
	;; [unrolled: 1-line block ×6, first 2 shown]
	v_add3_u32 v25, v26, v25, 0x8200
	v_mul_u32_u24_e32 v26, 0x104, v0
	v_ashrrev_i32_e32 v35, 31, v34
	v_add_co_ci_u32_e64 v106, null, 0, v106, s1
	v_add_nc_u32_e32 v107, 0x800, v7
	v_add_nc_u32_e32 v108, 0x1000, v7
	;; [unrolled: 1-line block ×8, first 2 shown]
	v_mov_b32_e32 v115, v0
	v_mov_b32_e32 v102, 0
	;; [unrolled: 1-line block ×4, first 2 shown]
	s_movk_i32 s4, 0x80
	s_branch .LBB215_6
.LBB215_4:                              ;   in Loop: Header=BB215_6 Depth=1
	s_or_b32 exec_lo, exec_lo, s5
	s_waitcnt lgkmcnt(0)
	s_barrier
	buffer_gl0_inv
	ds_read2_b32 v[116:117], v26 offset0:44 offset1:45
	ds_read_b128 v[127:130], v20 offset:48
	ds_read_b128 v[131:134], v20 offset:32
	ds_read2_b32 v[118:119], v26 offset0:36 offset1:37
	ds_read2_b32 v[120:121], v26 offset0:40 offset1:41
	ds_read_b128 v[135:138], v20 offset:16
	ds_read_b128 v[139:142], v20
	ds_read2_b32 v[122:123], v26 offset0:46 offset1:47
	ds_read2_b32 v[143:144], v26 offset0:42 offset1:43
	;; [unrolled: 1-line block ×5, first 2 shown]
	v_mov_b32_e32 v126, 0
	v_add_nc_u32_e32 v124, 0x2130, v26
	v_mov_b32_e32 v125, 0
	v_mov_b32_e32 v177, 0
	v_add_nc_u32_e32 v153, 0x2110, v26
	v_mov_b32_e32 v178, 0
	ds_read2_b32 v[151:152], v124 offset1:1
	v_add_nc_u32_e32 v124, 0x4198, v26
	v_add_nc_u32_e32 v165, 0x41b8, v26
	s_waitcnt lgkmcnt(11)
	v_dot4c_i32_i8 v126, v116, v127
	v_add_nc_u32_e32 v116, 0x2108, v26
	v_mov_b32_e32 v179, 0
	s_waitcnt lgkmcnt(8)
	v_dot4c_i32_i8 v125, v120, v131
	s_waitcnt lgkmcnt(7)
	v_dot4c_i32_i8 v177, v118, v135
	v_dot4c_i32_i8 v126, v117, v128
	v_add_nc_u32_e32 v117, 0x2100, v26
	v_add_nc_u32_e32 v118, 0x2138, v26
	v_dot4c_i32_i8 v125, v121, v132
	v_dot4c_i32_i8 v177, v119, v136
	s_waitcnt lgkmcnt(5)
	v_dot4c_i32_i8 v126, v122, v129
	ds_read2_b32 v[121:122], v153 offset1:1
	ds_read2_b32 v[153:154], v116 offset1:1
	ds_read2_b32 v[155:156], v117 offset1:1
	ds_read2_b32 v[117:118], v118 offset1:1
	v_mov_b32_e32 v116, 0
	s_waitcnt lgkmcnt(5)
	v_dot4c_i32_i8 v178, v149, v139
	v_add_nc_u32_e32 v119, 0x2128, v26
	v_dot4c_i32_i8 v126, v123, v130
	v_dot4c_i32_i8 v125, v143, v133
	s_waitcnt lgkmcnt(4)
	v_dot4c_i32_i8 v116, v151, v127
	v_dot4c_i32_i8 v178, v150, v140
	v_add_nc_u32_e32 v123, 0x2118, v26
	v_add_nc_u32_e32 v120, 0x2120, v26
	v_dot4c_i32_i8 v177, v145, v137
	v_dot4c_i32_i8 v116, v152, v128
	;; [unrolled: 1-line block ×3, first 2 shown]
	ds_read2_b32 v[149:150], v119 offset1:1
	ds_read2_b32 v[119:120], v120 offset1:1
	;; [unrolled: 1-line block ×3, first 2 shown]
	v_dot4c_i32_i8 v125, v144, v134
	ds_read2_b32 v[143:144], v123 offset1:1
	v_add_nc_u32_e32 v123, 0x41a8, v26
	v_add_nc_u32_e32 v124, 0x41a0, v26
	v_dot4c_i32_i8 v177, v146, v138
	v_dot4c_i32_i8 v178, v148, v142
	s_waitcnt lgkmcnt(4)
	v_dot4c_i32_i8 v116, v117, v129
	v_add_nc_u32_e32 v117, 0x41b0, v26
	ds_read2_b32 v[145:146], v117 offset1:1
	ds_read2_b32 v[147:148], v123 offset1:1
	;; [unrolled: 1-line block ×3, first 2 shown]
	v_dot4c_i32_i8 v116, v118, v130
	v_mov_b32_e32 v118, 0
	v_add_nc_u32_e32 v117, 0x4190, v26
	v_add_nc_u32_e32 v123, 0x4188, v26
	;; [unrolled: 1-line block ×3, first 2 shown]
	ds_read2_b32 v[159:160], v117 offset1:1
	ds_read2_b32 v[161:162], v123 offset1:1
	ds_read2_b32 v[163:164], v124 offset1:1
	ds_read2_b32 v[165:166], v165 offset1:1
	s_waitcnt lgkmcnt(9)
	v_dot4c_i32_i8 v118, v119, v131
	v_mov_b32_e32 v124, 0
	v_mov_b32_e32 v119, 0
	v_add_nc_u32_e32 v117, 0x6218, v26
	v_mov_b32_e32 v123, 0
	v_dot4c_i32_i8 v118, v120, v132
	v_dot4c_i32_i8 v124, v121, v135
	v_mov_b32_e32 v120, 0
	ds_read2_b32 v[167:168], v117 offset1:1
	ds_read_b32 v117, v33 offset:384
	v_mov_b32_e32 v121, 0
	s_waitcnt lgkmcnt(6)
	v_dot4c_i32_i8 v119, v151, v131
	v_dot4c_i32_i8 v124, v122, v136
	;; [unrolled: 1-line block ×3, first 2 shown]
	v_add_nc_u32_e32 v145, 0x6220, v26
	v_dot4c_i32_i8 v123, v155, v139
	v_dot4c_i32_i8 v119, v152, v132
	v_dot4c_i32_i8 v124, v143, v137
	v_add_nc_u32_e32 v143, 0x6230, v26
	v_dot4c_i32_i8 v120, v146, v128
	s_waitcnt lgkmcnt(5)
	v_dot4c_i32_i8 v121, v159, v135
	v_dot4c_i32_i8 v119, v147, v133
	v_add_nc_u32_e32 v147, 0x6210, v26
	v_dot4c_i32_i8 v124, v144, v138
	v_mov_b32_e32 v122, 0
	v_dot4c_i32_i8 v118, v149, v133
	v_dot4c_i32_i8 v119, v148, v134
	ds_read2_b32 v[143:144], v143 offset1:1
	ds_read2_b32 v[145:146], v145 offset1:1
	;; [unrolled: 1-line block ×3, first 2 shown]
	v_dot4c_i32_i8 v123, v156, v140
	v_dot4c_i32_i8 v121, v160, v136
	s_waitcnt lgkmcnt(6)
	v_dot4c_i32_i8 v122, v163, v139
	v_add_nc_u32_e32 v149, 0x6208, v26
	v_mov_b32_e32 v180, 0
	v_mov_b32_e32 v181, 0
	v_dot4c_i32_i8 v118, v150, v134
	v_add_nc_u32_e32 v150, 0x6200, v26
	v_add_nc_u32_e32 v151, 0x6238, v26
	v_dot4c_i32_i8 v123, v153, v141
	s_waitcnt lgkmcnt(5)
	v_dot4c_i32_i8 v120, v165, v129
	v_dot4c_i32_i8 v121, v157, v137
	;; [unrolled: 1-line block ×3, first 2 shown]
	ds_read2_b32 v[155:156], v149 offset1:1
	ds_read2_b32 v[159:160], v150 offset1:1
	;; [unrolled: 1-line block ×3, first 2 shown]
	v_add_nc_u32_e32 v149, 0x6228, v26
	v_add_nc_u32_e32 v150, 0x6258, v26
	v_dot4c_i32_i8 v123, v154, v142
	s_waitcnt lgkmcnt(5)
	v_dot4c_i32_i8 v179, v143, v127
	s_waitcnt lgkmcnt(4)
	;; [unrolled: 2-line block ×3, first 2 shown]
	v_dot4c_i32_i8 v181, v147, v135
	v_dot4c_i32_i8 v120, v166, v130
	ds_read2_b32 v[165:166], v149 offset1:1
	ds_read2_b32 v[169:170], v150 offset1:1
	v_dot4c_i32_i8 v121, v158, v138
	v_dot4c_i32_i8 v179, v144, v128
	;; [unrolled: 1-line block ×4, first 2 shown]
	ds_read_b128 v[143:146], v20 offset:80
	ds_read_b128 v[147:150], v20 offset:64
	ds_read2_b32 v[131:132], v26 offset0:52 offset1:53
	ds_read_b128 v[151:154], v20 offset:112
	ds_read2_b32 v[135:136], v26 offset0:62 offset1:63
	ds_read2_b32 v[157:158], v26 offset0:60 offset1:61
	;; [unrolled: 1-line block ×5, first 2 shown]
	v_mov_b32_e32 v182, 0
	v_mov_b32_e32 v183, 0
	v_dot4c_i32_i8 v122, v161, v141
	v_dot4c_i32_i8 v181, v167, v137
	v_mov_b32_e32 v167, 0
	s_waitcnt lgkmcnt(12)
	v_dot4c_i32_i8 v182, v159, v139
	v_add_nc_u32_e32 v139, 0x6240, v26
	s_waitcnt lgkmcnt(11)
	v_dot4c_i32_i8 v179, v163, v129
	v_dot4c_i32_i8 v181, v168, v138
	v_mov_b32_e32 v168, 0
	v_dot4c_i32_i8 v182, v160, v140
	v_dot4c_i32_i8 v122, v162, v142
	;; [unrolled: 1-line block ×3, first 2 shown]
	s_waitcnt lgkmcnt(6)
	v_dot4c_i32_i8 v167, v131, v143
	v_add_nc_u32_e32 v131, 0x6250, v26
	v_dot4c_i32_i8 v180, v165, v133
	s_waitcnt lgkmcnt(3)
	v_dot4c_i32_i8 v168, v157, v151
	v_add_nc_u32_e32 v133, 0x6270, v26
	v_dot4c_i32_i8 v167, v132, v144
	ds_read2_b32 v[131:132], v131 offset1:1
	ds_read2_b32 v[139:140], v139 offset1:1
	v_dot4c_i32_i8 v168, v158, v152
	v_dot4c_i32_i8 v180, v166, v134
	;; [unrolled: 1-line block ×3, first 2 shown]
	s_waitcnt lgkmcnt(2)
	v_dot4c_i32_i8 v183, v175, v147
	v_add_nc_u32_e32 v157, 0x6278, v26
	v_dot4c_i32_i8 v168, v135, v153
	ds_read2_b32 v[134:135], v133 offset1:1
	v_add_nc_u32_e32 v133, 0x6248, v26
	ds_read_b128 v[127:130], v20 offset:96
	ds_read2_b32 v[137:138], v26 offset0:58 offset1:59
	v_dot4c_i32_i8 v182, v156, v142
	v_dot4c_i32_i8 v167, v171, v145
	;; [unrolled: 1-line block ×3, first 2 shown]
	ds_read_b32 v171, v31 offset:256
	ds_read2_b32 v[141:142], v32 offset0:2 offset1:3
	ds_read2_b32 v[155:156], v133 offset1:1
	ds_read2_b32 v[157:158], v157 offset1:1
	v_mov_b32_e32 v165, 0
	v_add_nc_u32_e32 v159, 0x6260, v26
	v_dot4c_i32_i8 v167, v172, v146
	v_dot4c_i32_i8 v183, v173, v149
	v_mov_b32_e32 v173, 0
	s_waitcnt lgkmcnt(8)
	v_dot4c_i32_i8 v165, v131, v143
	v_mov_b32_e32 v172, 0
	ds_read2_b32 v[159:160], v159 offset1:1
	v_add_nc_u32_e32 v131, 0x6268, v26
	s_waitcnt lgkmcnt(8)
	v_dot4c_i32_i8 v173, v139, v147
	v_dot4c_i32_i8 v165, v132, v144
	v_add_nc_u32_e32 v133, 0x2158, v26
	s_waitcnt lgkmcnt(7)
	v_dot4c_i32_i8 v172, v134, v151
	ds_read2_b32 v[161:162], v131 offset1:1
	ds_read2_b32 v[163:164], v133 offset1:1
	v_dot4c_i32_i8 v173, v140, v148
	v_dot4c_i32_i8 v165, v169, v145
	;; [unrolled: 1-line block ×3, first 2 shown]
	s_waitcnt lgkmcnt(5)
	v_bfe_i32 v135, v141, 8, 8
	v_bfe_i32 v139, v142, 8, 8
	s_waitcnt lgkmcnt(4)
	v_dot4c_i32_i8 v173, v155, v149
	v_dot4c_i32_i8 v165, v170, v146
	ds_read_b128 v[131:134], v24 offset:36944
	v_mul_lo_u32 v135, v181, v135
	v_mov_b32_e32 v169, 0
	v_dot4c_i32_i8 v173, v156, v150
	ds_read2_b32 v[155:156], v25 offset0:2 offset1:3
	v_bfe_i32 v140, v141, 0, 8
	v_mul_lo_u32 v139, v165, v139
	s_waitcnt lgkmcnt(5)
	v_dot4c_i32_i8 v172, v157, v153
	s_waitcnt lgkmcnt(4)
	v_dot4c_i32_i8 v169, v159, v127
	v_bfe_i32 v157, v142, 0, 8
	v_mad_u64_u32 v[165:166], null, v182, v140, v[135:136]
	v_ashrrev_i32_e32 v135, 24, v141
	v_dot4c_i32_i8 v169, v160, v128
	ds_read2_b32 v[159:160], v26 offset0:56 offset1:57
	v_mad_u64_u32 v[139:140], null, v173, v157, v[139:140]
	v_mul_lo_u32 v135, v179, v135
	v_dot4c_i32_i8 v172, v158, v154
	v_cvt_f32_i32_e32 v140, v165
	v_ashrrev_i32_e32 v157, 24, v142
	v_bfe_i32 v141, v141, 16, 8
	s_waitcnt lgkmcnt(4)
	v_dot4c_i32_i8 v169, v161, v129
	v_cvt_f32_i32_e32 v158, v139
	s_waitcnt lgkmcnt(2)
	v_fma_f32 v170, v131, v140, 0
	v_mul_lo_u32 v139, v172, v157
	v_mad_u64_u32 v[140:141], null, v180, v141, v[135:136]
	s_waitcnt lgkmcnt(1)
	v_bfe_i32 v135, v155, 8, 8
	v_dot4c_i32_i8 v169, v162, v130
	v_bfe_i32 v141, v142, 16, 8
	v_mov_b32_e32 v161, 0
	v_bfe_i32 v157, v156, 8, 8
	v_mul_lo_u32 v135, v177, v135
	v_fma_f32 v172, v133, v158, 0
	v_mad_u64_u32 v[141:142], null, v169, v141, v[139:140]
	v_cvt_f32_i32_e32 v142, v140
	v_bfe_i32 v140, v155, 0, 8
	s_waitcnt lgkmcnt(0)
	v_dot4c_i32_i8 v161, v159, v127
	v_mul_lo_u32 v139, v167, v157
	v_dot4c_i32_i8 v168, v136, v154
	v_dot4c_i32_i8 v183, v174, v150
	v_mad_u64_u32 v[157:158], null, v178, v140, v[135:136]
	v_dot4c_i32_i8 v161, v160, v128
	v_cvt_f32_i32_e32 v135, v141
	v_ashrrev_i32_e32 v136, 24, v156
	v_bfe_i32 v159, v156, 0, 8
	v_bfe_i32 v156, v156, 16, 8
	v_dot4c_i32_i8 v161, v137, v129
	v_fmac_f32_e32 v172, v134, v135
	v_cvt_f32_i32_e32 v135, v157
	v_add_nc_u32_e32 v137, 0x2150, v26
	v_mad_u64_u32 v[139:140], null, v183, v159, v[139:140]
	v_dot4c_i32_i8 v161, v138, v130
	v_fma_f32 v173, v131, v135, 0
	v_mul_lo_u32 v135, v168, v136
	ds_read2_b32 v[136:137], v137 offset1:1
	v_ashrrev_i32_e32 v138, 24, v155
	v_bfe_i32 v157, v155, 16, 8
	v_fmac_f32_e32 v170, v132, v142
	v_cvt_f32_i32_e32 v142, v139
	v_add_nc_u32_e32 v139, 0x2148, v26
	v_mul_lo_u32 v126, v126, v138
	v_add_nc_u32_e32 v140, 0x2140, v26
	ds_read2_b32 v[138:139], v139 offset1:1
	ds_read2_b32 v[140:141], v140 offset1:1
	v_mov_b32_e32 v162, 0
	v_mov_b32_e32 v165, 0
	v_mad_u64_u32 v[125:126], null, v125, v157, v[126:127]
	v_add_nc_u32_e32 v126, 0x2178, v26
	v_fma_f32 v142, v133, v142, 0
	v_mov_b32_e32 v176, 0
	v_mov_b32_e32 v177, 0
	s_waitcnt lgkmcnt(2)
	v_mad_u64_u32 v[155:156], null, v161, v156, v[135:136]
	ds_read_b32 v174, v27
	ds_read_b32 v175, v29 offset:128
	ds_read2_b32 v[156:157], v30 offset0:2 offset1:3
	ds_read2_b32 v[158:159], v28 offset0:2 offset1:3
	ds_read2_b32 v[160:161], v126 offset1:1
	v_add_nc_u32_e32 v135, 0x2170, v26
	v_dot4c_i32_i8 v162, v136, v143
	v_add_nc_u32_e32 v126, 0x2160, v26
	v_add_nc_u32_e32 v166, 0x41c8, v26
	;; [unrolled: 1-line block ×3, first 2 shown]
	ds_read2_b32 v[135:136], v135 offset1:1
	v_dot4c_i32_i8 v162, v137, v144
	v_cvt_f32_i32_e32 v137, v155
	v_cvt_f32_i32_e32 v155, v125
	ds_read2_b32 v[125:126], v126 offset1:1
	s_waitcnt lgkmcnt(7)
	v_dot4c_i32_i8 v165, v140, v147
	v_dot4c_i32_i8 v162, v163, v145
	v_fmac_f32_e32 v142, v134, v137
	v_add_nc_u32_e32 v137, 0x2168, v26
	v_add_nc_u32_e32 v140, 0x41d8, v26
	v_dot4c_i32_i8 v165, v141, v148
	v_dot4c_i32_i8 v162, v164, v146
	v_fmac_f32_e32 v173, v132, v155
	s_waitcnt lgkmcnt(3)
	v_bfe_i32 v163, v158, 8, 8
	v_bfe_i32 v164, v159, 8, 8
	v_dot4c_i32_i8 v165, v138, v149
	ds_read2_b32 v[137:138], v137 offset1:1
	ds_read2_b32 v[140:141], v140 offset1:1
	v_add_nc_u32_e32 v155, 0x41e0, v26
	v_mul_lo_u32 v124, v124, v163
	v_mov_b32_e32 v178, 0
	s_waitcnt lgkmcnt(3)
	v_dot4c_i32_i8 v176, v135, v151
	v_mul_lo_u32 v135, v162, v164
	v_bfe_i32 v162, v158, 0, 8
	v_dot4c_i32_i8 v165, v139, v150
	v_bfe_i32 v139, v159, 0, 8
	s_waitcnt lgkmcnt(2)
	v_dot4c_i32_i8 v177, v125, v127
	v_dot4c_i32_i8 v176, v136, v152
	v_mad_u64_u32 v[123:124], null, v123, v162, v[124:125]
	v_add_nc_u32_e32 v124, 0x41d0, v26
	v_add_nc_u32_e32 v125, 0x41f0, v26
	v_mad_u64_u32 v[135:136], null, v165, v139, v[135:136]
	v_dot4c_i32_i8 v177, v126, v128
	v_dot4c_i32_i8 v176, v160, v153
	v_cvt_f32_i32_e32 v139, v123
	ds_read2_b32 v[123:124], v124 offset1:1
	ds_read2_b32 v[125:126], v125 offset1:1
	v_add_nc_u32_e32 v160, 0x41c0, v26
	s_waitcnt lgkmcnt(3)
	v_dot4c_i32_i8 v177, v137, v129
	v_cvt_f32_i32_e32 v137, v135
	v_add_nc_u32_e32 v135, 0x41e8, v26
	ds_read2_b32 v[135:136], v135 offset1:1
	ds_read2_b32 v[162:163], v155 offset1:1
	;; [unrolled: 1-line block ×5, first 2 shown]
	v_dot4c_i32_i8 v177, v138, v130
	v_fma_f32 v138, v131, v139, 0
	v_mov_b32_e32 v139, 0
	v_bfe_i32 v155, v158, 16, 8
	v_ashrrev_i32_e32 v158, 24, v158
	v_dot4c_i32_i8 v176, v161, v154
	v_mov_b32_e32 v161, 0
	v_bfe_i32 v160, v159, 16, 8
	v_ashrrev_i32_e32 v159, 24, v159
	v_mul_lo_u32 v116, v116, v158
	s_waitcnt lgkmcnt(5)
	v_dot4c_i32_i8 v139, v125, v151
	v_mov_b32_e32 v151, 0
	v_fma_f32 v137, v133, v137, 0
	v_fmac_f32_e32 v6, v174, v173
	v_fmac_f32_e32 v4, v117, v170
	v_dot4c_i32_i8 v139, v126, v152
	v_dot4c_i32_i8 v151, v123, v143
	s_waitcnt lgkmcnt(2)
	v_dot4c_i32_i8 v178, v164, v147
	v_dot4c_i32_i8 v161, v162, v127
	v_ashrrev_i32_e32 v127, 24, v157
	s_waitcnt lgkmcnt(0)
	v_dot4c_i32_i8 v139, v168, v153
	v_dot4c_i32_i8 v151, v124, v144
	v_mad_u64_u32 v[124:125], null, v118, v155, v[116:117]
	v_bfe_i32 v116, v156, 8, 8
	v_dot4c_i32_i8 v178, v165, v148
	v_dot4c_i32_i8 v151, v140, v145
	v_bfe_i32 v118, v157, 8, 8
	v_bfe_i32 v125, v156, 0, 8
	v_mul_lo_u32 v116, v121, v116
	v_ashrrev_i32_e32 v121, 24, v156
	v_dot4c_i32_i8 v151, v141, v146
	v_dot4c_i32_i8 v178, v166, v149
	v_dot4c_i32_i8 v161, v163, v128
	v_dot4c_i32_i8 v139, v169, v154
	v_mul_lo_u32 v120, v120, v121
	v_mul_lo_u32 v118, v151, v118
	v_mad_u64_u32 v[121:122], null, v122, v125, v[116:117]
	v_dot4c_i32_i8 v178, v167, v150
	v_bfe_i32 v126, v157, 0, 8
	v_dot4c_i32_i8 v161, v135, v129
	v_bfe_i32 v122, v156, 16, 8
	v_mul_lo_u32 v123, v176, v159
	v_mul_lo_u32 v116, v139, v127
	v_mad_u64_u32 v[125:126], null, v178, v126, v[118:119]
	v_dot4c_i32_i8 v161, v136, v130
	v_bfe_i32 v126, v157, 16, 8
	v_mad_u64_u32 v[118:119], null, v119, v122, v[120:121]
	v_cvt_f32_i32_e32 v122, v121
	v_mad_u64_u32 v[119:120], null, v177, v160, v[123:124]
	v_mad_u64_u32 v[120:121], null, v161, v126, v[116:117]
	v_cvt_f32_i32_e32 v116, v124
	v_cvt_f32_i32_e32 v121, v125
	v_fma_f32 v122, v131, v122, 0
	v_cvt_f32_i32_e32 v118, v118
	v_cvt_f32_i32_e32 v119, v119
	v_fmac_f32_e32 v138, v132, v116
	v_fma_f32 v116, v133, v121, 0
	v_cvt_f32_i32_e32 v120, v120
	v_fmac_f32_e32 v122, v132, v118
	v_fmac_f32_e32 v137, v134, v119
	;; [unrolled: 1-line block ×8, first 2 shown]
	s_barrier
	v_fmac_f32_e32 v97, v171, v116
	buffer_gl0_inv
.LBB215_5:                              ;   in Loop: Header=BB215_6 Depth=1
	v_add_co_u32 v36, s1, 0xd2, v36
	v_add_co_ci_u32_e64 v37, null, 0, v37, s1
	v_add_co_u32 v38, s1, 0xd2, v38
	v_add_co_ci_u32_e64 v39, null, 0, v39, s1
	;; [unrolled: 2-line block ×34, first 2 shown]
	v_add_co_u32 v105, s1, 0xd2, v105
	v_add_nc_u32_e32 v23, 8, v23
	v_add_nc_u32_e32 v21, 8, v21
	v_add_nc_u32_e32 v115, 8, v115
	v_add_co_ci_u32_e64 v106, null, 0, v106, s1
	s_add_i32 s17, s17, -1
	s_addk_i32 s4, 0x100
	s_cmp_eq_u32 s17, 0
	s_cbranch_scc1 .LBB215_17
.LBB215_6:                              ; =>This Inner Loop Header: Depth=1
	v_add_co_u32 v116, s1, v38, s12
	v_add_co_ci_u32_e64 v117, null, s18, v39, s1
	global_load_dword v118, v[116:117], off
	v_add_co_u32 v116, s1, v36, s12
	v_add_co_ci_u32_e64 v117, null, s18, v37, s1
	v_add_co_u32 v119, s1, v42, s12
	v_add_co_ci_u32_e64 v120, null, s18, v43, s1
	v_add_co_u32 v121, s1, v40, s12
	v_add_co_ci_u32_e64 v122, null, s18, v41, s1
	v_add_co_u32 v123, s1, v46, s12
	v_add_co_ci_u32_e64 v124, null, s18, v47, s1
	v_add_co_u32 v130, s1, v44, s12
	v_add_co_ci_u32_e64 v131, null, s18, v45, s1
	global_load_dword v129, v[116:117], off
	global_load_dword v127, v[119:120], off
	;; [unrolled: 1-line block ×5, first 2 shown]
	v_add_co_u32 v116, s1, v50, s12
	v_add_co_ci_u32_e64 v117, null, s18, v51, s1
	v_add_co_u32 v119, s1, v48, s12
	v_add_co_ci_u32_e64 v120, null, s18, v49, s1
	;; [unrolled: 2-line block ×5, first 2 shown]
	global_load_dword v142, v[116:117], off
	global_load_dword v143, v[119:120], off
	;; [unrolled: 1-line block ×5, first 2 shown]
	v_add_co_u32 v116, s1, v56, s12
	v_add_co_ci_u32_e64 v117, null, s18, v57, s1
	v_add_co_u32 v119, s1, v62, s12
	v_add_co_ci_u32_e64 v120, null, s18, v63, s1
	;; [unrolled: 2-line block ×3, first 2 shown]
	global_load_dword v163, v[116:117], off
	global_load_dword v164, v[119:120], off
	;; [unrolled: 1-line block ×3, first 2 shown]
	v_add_co_u32 v116, s1, v64, s12
	v_add_co_ci_u32_e64 v117, null, s18, v65, s1
	v_add_co_u32 v119, s1, v66, s12
	v_add_co_ci_u32_e64 v120, null, s18, v67, s1
	global_load_dword v117, v[116:117], off
	global_load_dword v116, v[119:120], off
	v_add_co_u32 v119, s1, v68, s12
	v_add_co_ci_u32_e64 v120, null, s18, v69, s1
	v_add_co_u32 v121, s1, v70, s12
	v_add_co_ci_u32_e64 v122, null, s18, v71, s1
	global_load_dword v139, v[119:120], off
	v_add_co_u32 v123, s1, v74, s12
	global_load_dword v138, v[121:122], off
	v_add_co_ci_u32_e64 v124, null, s18, v75, s1
	v_add_co_u32 v131, s1, v72, s12
	v_add_co_ci_u32_e64 v132, null, s18, v73, s1
	v_add_co_u32 v133, s1, v78, s12
	;; [unrolled: 2-line block ×5, first 2 shown]
	global_load_dword v137, v[131:132], off
	v_add_co_ci_u32_e64 v150, null, s18, v81, s1
	v_add_co_u32 v119, s1, v86, s12
	v_add_co_ci_u32_e64 v120, null, s18, v87, s1
	v_add_co_u32 v121, s1, v84, s12
	;; [unrolled: 2-line block ×8, first 2 shown]
	v_add_co_ci_u32_e64 v162, null, s18, v96, s1
	global_load_dword v136, v[123:124], off
	global_load_dword v134, v[133:134], off
	global_load_dword v135, v[145:146], off
	global_load_dword v132, v[147:148], off
	global_load_dword v133, v[149:150], off
	global_load_dword v125, v[119:120], off
	global_load_dword v131, v[121:122], off
	global_load_dword v123, v[151:152], off
	global_load_dword v124, v[153:154], off
	global_load_dword v121, v[155:156], off
	global_load_dword v122, v[157:158], off
	global_load_dword v119, v[159:160], off
	global_load_dword v120, v[161:162], off
	s_waitcnt vmcnt(31)
	v_and_b32_e32 v145, 0xf0f0f0f, v118
	v_lshrrev_b32_e32 v118, 4, v118
	v_and_b32_e32 v118, 0xf0f0f0f, v118
	s_waitcnt vmcnt(30)
	v_ashrrev_i32_e32 v129, v8, v129
	s_waitcnt vmcnt(29)
	v_and_b32_e32 v146, 0xf0f0f0f, v127
	v_lshrrev_b32_e32 v127, 4, v127
	s_waitcnt vmcnt(28)
	v_ashrrev_i32_e32 v128, v8, v128
	s_waitcnt vmcnt(27)
	v_and_b32_e32 v147, 0xf0f0f0f, v126
	v_lshrrev_b32_e32 v126, 4, v126
	s_waitcnt vmcnt(26)
	v_ashrrev_i32_e32 v130, v8, v130
	v_lshlrev_b32_e32 v155, 4, v129
	v_and_b32_e32 v127, 0xf0f0f0f, v127
	v_lshlrev_b32_e32 v156, 4, v128
	v_and_b32_e32 v126, 0xf0f0f0f, v126
	v_lshlrev_b32_e32 v157, 4, v130
	v_and_or_b32 v145, 0x30303030, v155, v145
	v_and_or_b32 v118, 0x30303030, v129, v118
	v_and_or_b32 v129, 0x30303030, v156, v146
	v_and_or_b32 v127, 0x30303030, v128, v127
	v_and_or_b32 v128, 0x30303030, v157, v147
	v_and_or_b32 v126, 0x30303030, v130, v126
	v_and_b32_e32 v155, 0x3f00, v127
	s_waitcnt vmcnt(25)
	v_and_b32_e32 v148, 0xf0f0f0f, v142
	v_lshrrev_b32_e32 v142, 4, v142
	s_waitcnt vmcnt(24)
	v_ashrrev_i32_e32 v143, v8, v143
	s_waitcnt vmcnt(23)
	v_and_b32_e32 v149, 0xf0f0f0f, v140
	v_lshrrev_b32_e32 v140, 4, v140
	s_waitcnt vmcnt(22)
	v_ashrrev_i32_e32 v141, v8, v141
	s_waitcnt vmcnt(21)
	v_and_b32_e32 v150, 0xf0f0f0f, v144
	v_lshrrev_b32_e32 v144, 4, v144
	v_and_b32_e32 v142, 0xf0f0f0f, v142
	v_lshlrev_b32_e32 v158, 4, v143
	v_and_b32_e32 v140, 0xf0f0f0f, v140
	v_lshlrev_b32_e32 v159, 4, v141
	v_and_b32_e32 v144, 0xf0f0f0f, v144
	v_and_or_b32 v142, 0x30303030, v143, v142
	v_and_or_b32 v130, 0x30303030, v158, v148
	v_and_or_b32 v140, 0x30303030, v141, v140
	s_waitcnt vmcnt(20)
	v_ashrrev_i32_e32 v151, v8, v163
	s_waitcnt vmcnt(19)
	v_lshrrev_b32_e32 v153, 4, v164
	s_waitcnt vmcnt(18)
	v_ashrrev_i32_e32 v154, v8, v165
	v_and_b32_e32 v152, 0xf0f0f0f, v164
	v_and_or_b32 v143, 0x30303030, v159, v149
	v_lshlrev_b32_e32 v160, 4, v151
	v_and_b32_e32 v153, 0xf0f0f0f, v153
	v_lshlrev_b32_e32 v161, 4, v154
	v_and_or_b32 v144, 0x30303030, v151, v144
	v_lshrrev_b32_e32 v148, 16, v145
	v_and_or_b32 v141, 0x30303030, v160, v150
	v_and_b32_e32 v149, 0x3f00, v145
	v_lshlrev_b16 v145, 8, v145
	v_lshrrev_b32_e32 v150, 16, v118
	v_and_or_b32 v146, 0x30303030, v161, v152
	v_and_or_b32 v147, 0x30303030, v154, v153
	v_and_b32_e32 v151, 0x3f00, v118
	v_lshlrev_b16 v118, 8, v118
	v_lshrrev_b32_e32 v152, 16, v129
	v_lshrrev_b32_e32 v154, 16, v127
	v_and_b32_e32 v153, 0x3f00, v129
	v_lshlrev_b16 v129, 8, v129
	v_lshrrev_b32_e32 v156, 16, v128
	v_lshrrev_b32_e32 v158, 16, v126
	v_lshlrev_b16 v127, 8, v127
	v_lshrrev_b32_e32 v160, 16, v130
	v_lshrrev_b32_e32 v162, 16, v142
	v_and_b32_e32 v157, 0x3f00, v128
	v_lshlrev_b16 v128, 8, v128
	v_lshrrev_b32_e32 v164, 16, v143
	v_lshrrev_b32_e32 v166, 16, v140
	v_and_b32_e32 v159, 0x3f00, v126
	v_lshlrev_b16 v126, 8, v126
	v_lshrrev_b32_e32 v168, 16, v141
	v_lshrrev_b32_e32 v170, 16, v144
	v_add_nc_u16 v145, 0xe000, v145
	v_and_b32_e32 v174, 0x3f00, v148
	v_lshlrev_b16 v148, 8, v148
	v_and_b32_e32 v175, 0x3f00, v150
	v_lshlrev_b16 v150, 8, v150
	v_add_nc_u16 v118, 0xe000, v118
	v_and_b32_e32 v176, 0x3f00, v152
	v_lshlrev_b16 v152, 8, v152
	v_and_b32_e32 v177, 0x3f00, v154
	v_lshlrev_b16 v154, 8, v154
	;; [unrolled: 5-line block ×6, first 2 shown]
	v_or_b32_sdwa v145, v149, v145 dst_sel:DWORD dst_unused:UNUSED_PAD src0_sel:DWORD src1_sel:BYTE_1
	v_add_nc_u16 v148, 0xe000, v148
	v_add_nc_u16 v149, 0xe000, v150
	v_or_b32_sdwa v118, v151, v118 dst_sel:DWORD dst_unused:UNUSED_PAD src0_sel:DWORD src1_sel:BYTE_1
	v_add_nc_u16 v150, 0xe000, v152
	v_add_nc_u16 v151, 0xe000, v154
	;; [unrolled: 3-line block ×3, first 2 shown]
	v_and_b32_e32 v161, 0x3f00, v130
	v_lshlrev_b16 v130, 8, v130
	v_and_b32_e32 v163, 0x3f00, v142
	v_lshlrev_b16 v142, 8, v142
	v_or_b32_sdwa v127, v155, v127 dst_sel:DWORD dst_unused:UNUSED_PAD src0_sel:DWORD src1_sel:BYTE_1
	v_add_nc_u16 v154, 0xe000, v160
	v_add_nc_u16 v155, 0xe000, v162
	v_and_b32_e32 v165, 0x3f00, v143
	v_lshlrev_b16 v143, 8, v143
	v_and_b32_e32 v167, 0x3f00, v140
	v_lshlrev_b16 v140, 8, v140
	v_or_b32_sdwa v128, v157, v128 dst_sel:DWORD dst_unused:UNUSED_PAD src0_sel:DWORD src1_sel:BYTE_1
	v_add_nc_u16 v156, 0xe000, v164
	v_add_nc_u16 v157, 0xe000, v166
	v_and_b32_e32 v169, 0x3f00, v141
	v_lshlrev_b16 v141, 8, v141
	v_and_b32_e32 v171, 0x3f00, v144
	v_lshlrev_b16 v144, 8, v144
	v_or_b32_sdwa v126, v159, v126 dst_sel:DWORD dst_unused:UNUSED_PAD src0_sel:DWORD src1_sel:BYTE_1
	v_add_nc_u16 v158, 0xe000, v168
	v_add_nc_u16 v159, 0xe000, v170
	v_or_b32_sdwa v148, v174, v148 dst_sel:DWORD dst_unused:UNUSED_PAD src0_sel:DWORD src1_sel:BYTE_1
	v_or_b32_sdwa v149, v175, v149 dst_sel:DWORD dst_unused:UNUSED_PAD src0_sel:DWORD src1_sel:BYTE_1
	;; [unrolled: 1-line block ×6, first 2 shown]
	v_add_nc_u16 v130, 0xe000, v130
	v_add_nc_u16 v142, 0xe000, v142
	v_or_b32_sdwa v154, v180, v154 dst_sel:DWORD dst_unused:UNUSED_PAD src0_sel:DWORD src1_sel:BYTE_1
	v_or_b32_sdwa v155, v181, v155 dst_sel:DWORD dst_unused:UNUSED_PAD src0_sel:DWORD src1_sel:BYTE_1
	v_add_nc_u16 v143, 0xe000, v143
	v_add_nc_u16 v140, 0xe000, v140
	v_or_b32_sdwa v156, v182, v156 dst_sel:DWORD dst_unused:UNUSED_PAD src0_sel:DWORD src1_sel:BYTE_1
	v_or_b32_sdwa v157, v183, v157 dst_sel:DWORD dst_unused:UNUSED_PAD src0_sel:DWORD src1_sel:BYTE_1
	;; [unrolled: 4-line block ×3, first 2 shown]
	v_add_nc_u16 v148, 0xe000, v148
	v_add_nc_u16 v149, 0xe000, v149
	;; [unrolled: 1-line block ×6, first 2 shown]
	v_or_b32_sdwa v130, v161, v130 dst_sel:DWORD dst_unused:UNUSED_PAD src0_sel:DWORD src1_sel:BYTE_1
	v_or_b32_sdwa v142, v163, v142 dst_sel:DWORD dst_unused:UNUSED_PAD src0_sel:DWORD src1_sel:BYTE_1
	v_add_nc_u16 v154, 0xe000, v154
	v_add_nc_u16 v155, 0xe000, v155
	v_or_b32_sdwa v143, v165, v143 dst_sel:DWORD dst_unused:UNUSED_PAD src0_sel:DWORD src1_sel:BYTE_1
	v_or_b32_sdwa v140, v167, v140 dst_sel:DWORD dst_unused:UNUSED_PAD src0_sel:DWORD src1_sel:BYTE_1
	v_add_nc_u16 v156, 0xe000, v156
	v_add_nc_u16 v157, 0xe000, v157
	;; [unrolled: 4-line block ×3, first 2 shown]
	v_add_nc_u16 v158, 0xe000, v158
	v_add_nc_u16 v159, 0xe000, v159
	v_lshlrev_b32_e32 v148, 16, v148
	v_lshlrev_b32_e32 v149, 16, v149
	v_add_nc_u16 v129, 0xe000, v129
	v_add_nc_u16 v127, 0xe000, v127
	v_lshlrev_b32_e32 v150, 16, v150
	v_lshlrev_b32_e32 v151, 16, v151
	;; [unrolled: 4-line block ×6, first 2 shown]
	v_or_b32_sdwa v145, v145, v148 dst_sel:DWORD dst_unused:UNUSED_PAD src0_sel:WORD_0 src1_sel:DWORD
	v_or_b32_sdwa v118, v118, v149 dst_sel:DWORD dst_unused:UNUSED_PAD src0_sel:WORD_0 src1_sel:DWORD
	;; [unrolled: 1-line block ×12, first 2 shown]
	ds_write2_b32 v7, v145, v118 offset1:16
	ds_write2_b32 v107, v129, v127 offset0:8 offset1:24
	ds_write2_b32 v108, v128, v126 offset0:16 offset1:32
	;; [unrolled: 1-line block ×5, first 2 shown]
	v_add_co_u32 v126, s1, v100, s12
	v_lshlrev_b16 v118, 8, v147
	v_add_co_ci_u32_e64 v127, null, s18, v101, s1
	s_waitcnt vmcnt(17)
	v_ashrrev_i32_e32 v143, v8, v117
	v_add_co_u32 v117, s1, v103, s12
	v_add_nc_u16 v141, 0xe000, v118
	global_load_ushort v144, v[126:127], off
	v_add_co_ci_u32_e64 v118, null, s18, v104, s1
	v_add_co_u32 v126, s1, v105, s12
	v_add_co_ci_u32_e64 v127, null, s18, v106, s1
	global_load_dword v117, v[117:118], off
	global_load_dword v118, v[126:127], off
	v_lshrrev_b32_e32 v172, 16, v146
	v_and_b32_e32 v173, 0x3f00, v146
	v_lshlrev_b16 v146, 8, v146
	v_lshrrev_b32_e32 v130, 16, v147
	s_waitcnt vmcnt(19)
	v_and_b32_e32 v145, 0xf0f0f0f, v116
	v_and_b32_e32 v186, 0x3f00, v172
	v_lshlrev_b16 v172, 8, v172
	v_add_nc_u16 v146, 0xe000, v146
	v_lshlrev_b16 v142, 8, v130
	v_and_b32_e32 v130, 0x3f00, v130
	v_lshrrev_b32_e32 v116, 4, v116
	v_add_nc_u16 v160, 0xe000, v172
	v_or_b32_sdwa v128, v173, v146 dst_sel:DWORD dst_unused:UNUSED_PAD src0_sel:DWORD src1_sel:BYTE_1
	v_lshlrev_b32_e32 v146, 4, v143
	v_add_nc_u16 v126, 0xe000, v142
	v_and_b32_e32 v140, 0x3f00, v147
	v_or_b32_sdwa v160, v186, v160 dst_sel:DWORD dst_unused:UNUSED_PAD src0_sel:DWORD src1_sel:BYTE_1
	v_and_b32_e32 v116, 0xf0f0f0f, v116
	v_and_or_b32 v127, 0x30303030, v146, v145
	v_or_b32_sdwa v126, v130, v126 dst_sel:DWORD dst_unused:UNUSED_PAD src0_sel:DWORD src1_sel:BYTE_1
	v_add_nc_u16 v128, 0xe000, v128
	v_add_nc_u16 v129, 0xe000, v160
	v_or_b32_sdwa v140, v140, v141 dst_sel:DWORD dst_unused:UNUSED_PAD src0_sel:DWORD src1_sel:BYTE_1
	v_lshrrev_b32_e32 v130, 16, v127
	v_lshlrev_b16 v141, 8, v127
	v_and_or_b32 v116, 0x30303030, v143, v116
	v_lshlrev_b32_e32 v129, 16, v129
	v_add_nc_u16 v126, 0xe000, v126
	v_lshlrev_b16 v142, 8, v130
	v_and_b32_e32 v130, 0x3f00, v130
	v_and_b32_e32 v127, 0x3f00, v127
	v_add_nc_u16 v141, 0xe000, v141
	v_or_b32_sdwa v128, v128, v129 dst_sel:DWORD dst_unused:UNUSED_PAD src0_sel:WORD_0 src1_sel:DWORD
	v_add_nc_u16 v142, 0xe000, v142
	v_add_nc_u16 v140, 0xe000, v140
	v_lshlrev_b32_e32 v126, 16, v126
	v_or_b32_sdwa v127, v127, v141 dst_sel:DWORD dst_unused:UNUSED_PAD src0_sel:DWORD src1_sel:BYTE_1
	s_waitcnt vmcnt(18)
	v_ashrrev_i32_e32 v139, v8, v139
	v_or_b32_sdwa v129, v130, v142 dst_sel:DWORD dst_unused:UNUSED_PAD src0_sel:DWORD src1_sel:BYTE_1
	v_lshrrev_b32_e32 v130, 16, v116
	v_or_b32_sdwa v126, v140, v126 dst_sel:DWORD dst_unused:UNUSED_PAD src0_sel:WORD_0 src1_sel:DWORD
	v_lshlrev_b16 v140, 8, v116
	v_add_nc_u16 v127, 0xe000, v127
	v_add_nc_u16 v129, 0xe000, v129
	v_lshlrev_b16 v141, 8, v130
	v_and_b32_e32 v130, 0x3f00, v130
	v_and_b32_e32 v116, 0x3f00, v116
	v_add_nc_u16 v140, 0xe000, v140
	s_waitcnt vmcnt(17)
	v_and_b32_e32 v142, 0xf0f0f0f, v138
	v_add_nc_u16 v141, 0xe000, v141
	v_lshlrev_b32_e32 v143, 4, v139
	v_lshlrev_b32_e32 v129, 16, v129
	ds_write2_b32 v9, v128, v126 offset1:16
	v_or_b32_sdwa v116, v116, v140 dst_sel:DWORD dst_unused:UNUSED_PAD src0_sel:DWORD src1_sel:BYTE_1
	v_or_b32_sdwa v126, v130, v141 dst_sel:DWORD dst_unused:UNUSED_PAD src0_sel:DWORD src1_sel:BYTE_1
	v_and_or_b32 v128, 0x30303030, v143, v142
	v_or_b32_sdwa v127, v127, v129 dst_sel:DWORD dst_unused:UNUSED_PAD src0_sel:WORD_0 src1_sel:DWORD
	v_lshrrev_b32_e32 v129, 4, v138
	v_add_nc_u16 v116, 0xe000, v116
	v_add_nc_u16 v126, 0xe000, v126
	v_lshrrev_b32_e32 v130, 16, v128
	v_lshlrev_b16 v138, 8, v128
	v_and_b32_e32 v129, 0xf0f0f0f, v129
	v_and_b32_e32 v128, 0x3f00, v128
	v_lshlrev_b32_e32 v126, 16, v126
	v_lshlrev_b16 v140, 8, v130
	v_add_nc_u16 v138, 0xe000, v138
	v_and_or_b32 v129, 0x30303030, v139, v129
	s_waitcnt vmcnt(13)
	v_ashrrev_i32_e32 v135, v8, v135
	v_or_b32_sdwa v116, v116, v126 dst_sel:DWORD dst_unused:UNUSED_PAD src0_sel:WORD_0 src1_sel:DWORD
	v_and_b32_e32 v126, 0x3f00, v130
	v_add_nc_u16 v130, 0xe000, v140
	v_or_b32_sdwa v128, v128, v138 dst_sel:DWORD dst_unused:UNUSED_PAD src0_sel:DWORD src1_sel:BYTE_1
	v_lshrrev_b32_e32 v138, 16, v129
	ds_write2_b32 v112, v127, v116 offset0:8 offset1:24
	v_ashrrev_i32_e32 v116, v8, v137
	v_or_b32_sdwa v126, v126, v130 dst_sel:DWORD dst_unused:UNUSED_PAD src0_sel:DWORD src1_sel:BYTE_1
	v_add_nc_u16 v127, 0xe000, v128
	v_lshlrev_b16 v128, 8, v138
	v_and_b32_e32 v130, 0xf0f0f0f, v136
	v_lshlrev_b32_e32 v137, 4, v116
	v_lshlrev_b16 v139, 8, v129
	v_and_b32_e32 v138, 0x3f00, v138
	v_add_nc_u16 v128, 0xe000, v128
	v_and_b32_e32 v129, 0x3f00, v129
	v_and_or_b32 v130, 0x30303030, v137, v130
	v_add_nc_u16 v137, 0xe000, v139
	v_lshrrev_b32_e32 v136, 4, v136
	v_or_b32_sdwa v128, v138, v128 dst_sel:DWORD dst_unused:UNUSED_PAD src0_sel:DWORD src1_sel:BYTE_1
	v_add_nc_u16 v126, 0xe000, v126
	v_lshrrev_b32_e32 v138, 16, v130
	v_or_b32_sdwa v129, v129, v137 dst_sel:DWORD dst_unused:UNUSED_PAD src0_sel:DWORD src1_sel:BYTE_1
	v_lshlrev_b16 v137, 8, v130
	v_and_b32_e32 v136, 0xf0f0f0f, v136
	v_add_nc_u16 v128, 0xe000, v128
	v_lshlrev_b16 v139, 8, v138
	v_and_b32_e32 v130, 0x3f00, v130
	v_add_nc_u16 v137, 0xe000, v137
	v_and_or_b32 v116, 0x30303030, v116, v136
	v_lshlrev_b32_e32 v126, 16, v126
	v_and_b32_e32 v138, 0x3f00, v138
	v_add_nc_u16 v139, 0xe000, v139
	v_add_nc_u16 v129, 0xe000, v129
	v_lshlrev_b32_e32 v128, 16, v128
	v_or_b32_sdwa v130, v130, v137 dst_sel:DWORD dst_unused:UNUSED_PAD src0_sel:DWORD src1_sel:BYTE_1
	v_lshrrev_b32_e32 v137, 16, v116
	v_or_b32_sdwa v136, v138, v139 dst_sel:DWORD dst_unused:UNUSED_PAD src0_sel:DWORD src1_sel:BYTE_1
	v_or_b32_sdwa v126, v127, v126 dst_sel:DWORD dst_unused:UNUSED_PAD src0_sel:WORD_0 src1_sel:DWORD
	v_or_b32_sdwa v127, v129, v128 dst_sel:DWORD dst_unused:UNUSED_PAD src0_sel:WORD_0 src1_sel:DWORD
	v_add_nc_u16 v128, 0xe000, v130
	v_lshlrev_b16 v130, 8, v137
	v_add_nc_u16 v129, 0xe000, v136
	v_lshlrev_b16 v136, 8, v116
	v_and_b32_e32 v137, 0x3f00, v137
	v_and_b32_e32 v116, 0x3f00, v116
	v_add_nc_u16 v130, 0xe000, v130
	v_and_b32_e32 v138, 0xf0f0f0f, v134
	v_add_nc_u16 v136, 0xe000, v136
	v_lshlrev_b32_e32 v139, 4, v135
	v_lshlrev_b32_e32 v129, 16, v129
	v_or_b32_sdwa v130, v137, v130 dst_sel:DWORD dst_unused:UNUSED_PAD src0_sel:DWORD src1_sel:BYTE_1
	v_lshrrev_b32_e32 v134, 4, v134
	v_or_b32_sdwa v116, v116, v136 dst_sel:DWORD dst_unused:UNUSED_PAD src0_sel:DWORD src1_sel:BYTE_1
	v_and_or_b32 v136, 0x30303030, v139, v138
	v_or_b32_sdwa v128, v128, v129 dst_sel:DWORD dst_unused:UNUSED_PAD src0_sel:WORD_0 src1_sel:DWORD
	v_add_nc_u16 v129, 0xe000, v130
	v_and_b32_e32 v130, 0xf0f0f0f, v134
	v_add_nc_u16 v116, 0xe000, v116
	v_lshrrev_b32_e32 v134, 16, v136
	v_lshlrev_b16 v137, 8, v136
	v_lshlrev_b32_e32 v129, 16, v129
	v_and_or_b32 v130, 0x30303030, v135, v130
	v_and_b32_e32 v136, 0x3f00, v136
	v_lshlrev_b16 v135, 8, v134
	v_add_nc_u16 v137, 0xe000, v137
	v_or_b32_sdwa v116, v116, v129 dst_sel:DWORD dst_unused:UNUSED_PAD src0_sel:WORD_0 src1_sel:DWORD
	v_and_b32_e32 v129, 0x3f00, v134
	v_lshrrev_b32_e32 v134, 16, v130
	v_add_nc_u16 v135, 0xe000, v135
	ds_write2_b32 v113, v126, v127 offset0:16 offset1:32
	ds_write2_b32 v114, v128, v116 offset0:24 offset1:40
	v_lshlrev_b16 v128, 8, v130
	s_waitcnt vmcnt(11)
	v_ashrrev_i32_e32 v133, v8, v133
	v_lshlrev_b16 v116, 8, v134
	v_or_b32_sdwa v126, v129, v135 dst_sel:DWORD dst_unused:UNUSED_PAD src0_sel:DWORD src1_sel:BYTE_1
	v_and_b32_e32 v129, 0x3f00, v134
	v_or_b32_sdwa v136, v136, v137 dst_sel:DWORD dst_unused:UNUSED_PAD src0_sel:DWORD src1_sel:BYTE_1
	v_and_b32_e32 v130, 0x3f00, v130
	v_add_nc_u16 v116, 0xe000, v116
	v_add_nc_u16 v126, 0xe000, v126
	;; [unrolled: 1-line block ×3, first 2 shown]
	v_lshlrev_b32_e32 v134, 4, v133
	v_add_nc_u16 v127, 0xe000, v136
	v_or_b32_sdwa v116, v129, v116 dst_sel:DWORD dst_unused:UNUSED_PAD src0_sel:DWORD src1_sel:BYTE_1
	v_and_b32_e32 v129, 0xf0f0f0f, v132
	v_lshrrev_b32_e32 v132, 4, v132
	v_or_b32_sdwa v128, v130, v128 dst_sel:DWORD dst_unused:UNUSED_PAD src0_sel:DWORD src1_sel:BYTE_1
	v_lshlrev_b32_e32 v126, 16, v126
	v_add_nc_u16 v116, 0xe000, v116
	v_and_or_b32 v129, 0x30303030, v134, v129
	v_and_b32_e32 v130, 0xf0f0f0f, v132
	v_add_nc_u16 v128, 0xe000, v128
	v_or_b32_sdwa v126, v127, v126 dst_sel:DWORD dst_unused:UNUSED_PAD src0_sel:WORD_0 src1_sel:DWORD
	v_lshlrev_b32_e32 v116, 16, v116
	v_lshlrev_b16 v132, 8, v129
	v_and_or_b32 v127, 0x30303030, v133, v130
	v_lshrrev_b32_e32 v130, 16, v129
	s_waitcnt vmcnt(7)
	v_ashrrev_i32_e32 v124, v8, v124
	v_or_b32_sdwa v116, v128, v116 dst_sel:DWORD dst_unused:UNUSED_PAD src0_sel:WORD_0 src1_sel:DWORD
	v_and_b32_e32 v128, 0x3f00, v129
	v_lshrrev_b32_e32 v129, 16, v127
	v_lshlrev_b16 v133, 8, v130
	v_add_nc_u16 v132, 0xe000, v132
	ds_write2_b32 v10, v126, v116 offset1:16
	v_and_b32_e32 v116, 0x3f00, v130
	v_lshlrev_b16 v126, 8, v129
	v_add_nc_u16 v130, 0xe000, v133
	v_or_b32_sdwa v128, v128, v132 dst_sel:DWORD dst_unused:UNUSED_PAD src0_sel:DWORD src1_sel:BYTE_1
	v_lshlrev_b16 v132, 8, v127
	v_and_b32_e32 v129, 0x3f00, v129
	v_add_nc_u16 v126, 0xe000, v126
	v_or_b32_sdwa v116, v116, v130 dst_sel:DWORD dst_unused:UNUSED_PAD src0_sel:DWORD src1_sel:BYTE_1
	v_ashrrev_i32_e32 v130, v8, v131
	v_and_b32_e32 v127, 0x3f00, v127
	v_add_nc_u16 v131, 0xe000, v132
	v_or_b32_sdwa v126, v129, v126 dst_sel:DWORD dst_unused:UNUSED_PAD src0_sel:DWORD src1_sel:BYTE_1
	v_and_b32_e32 v129, 0xf0f0f0f, v125
	v_lshlrev_b32_e32 v132, 4, v130
	v_add_nc_u16 v116, 0xe000, v116
	v_or_b32_sdwa v127, v127, v131 dst_sel:DWORD dst_unused:UNUSED_PAD src0_sel:DWORD src1_sel:BYTE_1
	v_add_nc_u16 v126, 0xe000, v126
	v_lshrrev_b32_e32 v125, 4, v125
	v_and_or_b32 v129, 0x30303030, v132, v129
	v_add_nc_u16 v128, 0xe000, v128
	v_lshlrev_b32_e32 v116, 16, v116
	v_add_nc_u16 v127, 0xe000, v127
	v_lshlrev_b32_e32 v126, 16, v126
	v_lshrrev_b32_e32 v131, 16, v129
	v_and_b32_e32 v125, 0xf0f0f0f, v125
	v_or_b32_sdwa v116, v128, v116 dst_sel:DWORD dst_unused:UNUSED_PAD src0_sel:WORD_0 src1_sel:DWORD
	v_lshlrev_b16 v128, 8, v129
	v_or_b32_sdwa v126, v127, v126 dst_sel:DWORD dst_unused:UNUSED_PAD src0_sel:WORD_0 src1_sel:DWORD
	v_lshlrev_b16 v127, 8, v131
	v_and_or_b32 v125, 0x30303030, v130, v125
	v_and_b32_e32 v129, 0x3f00, v129
	v_add_nc_u16 v128, 0xe000, v128
	v_and_b32_e32 v130, 0x3f00, v131
	v_add_nc_u16 v127, 0xe000, v127
	ds_write2_b32 v11, v116, v126 offset1:16
	v_lshrrev_b32_e32 v116, 16, v125
	v_or_b32_sdwa v126, v129, v128 dst_sel:DWORD dst_unused:UNUSED_PAD src0_sel:DWORD src1_sel:BYTE_1
	v_lshlrev_b16 v128, 8, v125
	v_or_b32_sdwa v127, v130, v127 dst_sel:DWORD dst_unused:UNUSED_PAD src0_sel:DWORD src1_sel:BYTE_1
	v_and_b32_e32 v130, 0xf0f0f0f, v123
	v_lshlrev_b16 v129, 8, v116
	v_lshlrev_b32_e32 v131, 4, v124
	v_and_b32_e32 v125, 0x3f00, v125
	v_add_nc_u16 v128, 0xe000, v128
	v_and_b32_e32 v116, 0x3f00, v116
	v_add_nc_u16 v129, 0xe000, v129
	v_and_or_b32 v130, 0x30303030, v131, v130
	v_lshrrev_b32_e32 v123, 4, v123
	v_or_b32_sdwa v125, v125, v128 dst_sel:DWORD dst_unused:UNUSED_PAD src0_sel:DWORD src1_sel:BYTE_1
	v_add_nc_u16 v127, 0xe000, v127
	v_or_b32_sdwa v116, v116, v129 dst_sel:DWORD dst_unused:UNUSED_PAD src0_sel:DWORD src1_sel:BYTE_1
	v_lshrrev_b32_e32 v128, 16, v130
	v_and_b32_e32 v123, 0xf0f0f0f, v123
	v_add_nc_u16 v125, 0xe000, v125
	v_lshlrev_b16 v131, 8, v130
	v_add_nc_u16 v116, 0xe000, v116
	v_lshlrev_b16 v129, 8, v128
	v_and_b32_e32 v128, 0x3f00, v128
	v_and_or_b32 v123, 0x30303030, v124, v123
	v_add_nc_u16 v126, 0xe000, v126
	v_lshlrev_b32_e32 v116, 16, v116
	v_add_nc_u16 v129, 0xe000, v129
	v_lshlrev_b32_e32 v127, 16, v127
	v_and_b32_e32 v130, 0x3f00, v130
	v_add_nc_u16 v131, 0xe000, v131
	v_or_b32_sdwa v116, v125, v116 dst_sel:DWORD dst_unused:UNUSED_PAD src0_sel:WORD_0 src1_sel:DWORD
	v_or_b32_sdwa v124, v128, v129 dst_sel:DWORD dst_unused:UNUSED_PAD src0_sel:DWORD src1_sel:BYTE_1
	s_waitcnt vmcnt(5)
	v_ashrrev_i32_e32 v122, v8, v122
	v_lshrrev_b32_e32 v125, 16, v123
	v_or_b32_sdwa v126, v126, v127 dst_sel:DWORD dst_unused:UNUSED_PAD src0_sel:WORD_0 src1_sel:DWORD
	v_or_b32_sdwa v127, v130, v131 dst_sel:DWORD dst_unused:UNUSED_PAD src0_sel:DWORD src1_sel:BYTE_1
	v_add_nc_u16 v124, 0xe000, v124
	v_and_b32_e32 v128, 0xf0f0f0f, v121
	v_lshlrev_b32_e32 v129, 4, v122
	v_lshlrev_b16 v130, 8, v125
	v_add_nc_u16 v127, 0xe000, v127
	v_lshlrev_b32_e32 v124, 16, v124
	v_lshlrev_b16 v131, 8, v123
	v_and_b32_e32 v125, 0x3f00, v125
	v_and_or_b32 v128, 0x30303030, v129, v128
	v_add_nc_u16 v129, 0xe000, v130
	v_or_b32_sdwa v124, v127, v124 dst_sel:DWORD dst_unused:UNUSED_PAD src0_sel:WORD_0 src1_sel:DWORD
	v_and_b32_e32 v123, 0x3f00, v123
	v_add_nc_u16 v127, 0xe000, v131
	v_lshlrev_b16 v130, 8, v128
	v_or_b32_sdwa v125, v125, v129 dst_sel:DWORD dst_unused:UNUSED_PAD src0_sel:DWORD src1_sel:BYTE_1
	v_lshrrev_b32_e32 v129, 16, v128
	v_lshrrev_b32_e32 v121, 4, v121
	v_and_b32_e32 v128, 0x3f00, v128
	v_add_nc_u16 v130, 0xe000, v130
	v_or_b32_sdwa v123, v123, v127 dst_sel:DWORD dst_unused:UNUSED_PAD src0_sel:DWORD src1_sel:BYTE_1
	v_lshlrev_b16 v127, 8, v129
	v_and_b32_e32 v121, 0xf0f0f0f, v121
	v_add_nc_u16 v125, 0xe000, v125
	v_or_b32_sdwa v128, v128, v130 dst_sel:DWORD dst_unused:UNUSED_PAD src0_sel:DWORD src1_sel:BYTE_1
	v_and_b32_e32 v129, 0x3f00, v129
	v_add_nc_u16 v127, 0xe000, v127
	v_and_or_b32 v121, 0x30303030, v122, v121
	s_waitcnt vmcnt(3)
	v_ashrrev_i32_e32 v120, v8, v120
	v_lshrrev_b32_e32 v130, 4, v119
	v_add_nc_u16 v122, 0xe000, v123
	v_lshlrev_b32_e32 v123, 16, v125
	v_add_nc_u16 v125, 0xe000, v128
	v_or_b32_sdwa v127, v129, v127 dst_sel:DWORD dst_unused:UNUSED_PAD src0_sel:DWORD src1_sel:BYTE_1
	v_lshrrev_b32_e32 v128, 16, v121
	v_lshlrev_b16 v129, 8, v121
	v_and_b32_e32 v119, 0xf0f0f0f, v119
	v_lshlrev_b32_e32 v131, 4, v120
	v_and_b32_e32 v130, 0xf0f0f0f, v130
	v_and_b32_e32 v121, 0x3f00, v121
	v_add_nc_u16 v129, 0xe000, v129
	v_lshlrev_b16 v132, 8, v128
	v_and_or_b32 v119, 0x30303030, v131, v119
	v_and_or_b32 v120, 0x30303030, v120, v130
	v_and_b32_e32 v128, 0x3f00, v128
	v_or_b32_sdwa v121, v121, v129 dst_sel:DWORD dst_unused:UNUSED_PAD src0_sel:DWORD src1_sel:BYTE_1
	v_add_nc_u16 v129, 0xe000, v132
	v_lshrrev_b32_e32 v130, 16, v119
	v_lshrrev_b32_e32 v131, 16, v120
	v_and_b32_e32 v132, 0x3f00, v119
	v_lshlrev_b16 v119, 8, v119
	v_or_b32_sdwa v128, v128, v129 dst_sel:DWORD dst_unused:UNUSED_PAD src0_sel:DWORD src1_sel:BYTE_1
	v_lshlrev_b16 v129, 8, v130
	v_lshlrev_b16 v133, 8, v131
	v_and_b32_e32 v130, 0x3f00, v130
	v_lshlrev_b16 v134, 8, v120
	v_and_b32_e32 v131, 0x3f00, v131
	v_add_nc_u16 v129, 0xe000, v129
	v_add_nc_u16 v133, 0xe000, v133
	;; [unrolled: 1-line block ×3, first 2 shown]
	v_and_b32_e32 v120, 0x3f00, v120
	v_add_nc_u16 v127, 0xe000, v127
	v_or_b32_sdwa v129, v130, v129 dst_sel:DWORD dst_unused:UNUSED_PAD src0_sel:DWORD src1_sel:BYTE_1
	v_add_nc_u16 v130, 0xe000, v134
	v_or_b32_sdwa v131, v131, v133 dst_sel:DWORD dst_unused:UNUSED_PAD src0_sel:DWORD src1_sel:BYTE_1
	;; [unrolled: 2-line block ×4, first 2 shown]
	v_add_nc_u16 v130, 0xe000, v131
	v_lshlrev_b32_e32 v127, 16, v127
	v_add_nc_u16 v121, 0xe000, v121
	v_lshlrev_b32_e32 v128, 16, v128
	;; [unrolled: 2-line block ×4, first 2 shown]
	v_or_b32_sdwa v122, v122, v123 dst_sel:DWORD dst_unused:UNUSED_PAD src0_sel:WORD_0 src1_sel:DWORD
	ds_write2_b32 v12, v126, v116 offset1:16
	s_waitcnt vmcnt(2)
	v_cvt_f32_f16_e32 v116, v144
	v_or_b32_sdwa v123, v125, v127 dst_sel:DWORD dst_unused:UNUSED_PAD src0_sel:WORD_0 src1_sel:DWORD
	v_or_b32_sdwa v121, v121, v128 dst_sel:DWORD dst_unused:UNUSED_PAD src0_sel:WORD_0 src1_sel:DWORD
	s_add_i32 s1, s4, 0xffffff80
	v_or_b32_sdwa v119, v119, v129 dst_sel:DWORD dst_unused:UNUSED_PAD src0_sel:WORD_0 src1_sel:DWORD
	v_or_b32_sdwa v120, v120, v130 dst_sel:DWORD dst_unused:UNUSED_PAD src0_sel:WORD_0 src1_sel:DWORD
	s_cmp_lt_i32 s1, s13
	ds_write2_b32 v13, v124, v122 offset1:16
	ds_write2_b32 v14, v123, v121 offset1:16
	;; [unrolled: 1-line block ×3, first 2 shown]
	ds_write_b32 v16, v116
	s_waitcnt vmcnt(1)
	ds_write_b32 v17, v117
	s_waitcnt vmcnt(0)
	ds_write_b32 v18, v118
	s_cbranch_scc0 .LBB215_5
; %bb.7:                                ;   in Loop: Header=BB215_6 Depth=1
	v_cmp_gt_i32_e64 s1, s9, v21
	s_and_b32 s5, s0, s1
	s_and_saveexec_b32 s1, s5
	s_cbranch_execz .LBB215_9
; %bb.8:                                ;   in Loop: Header=BB215_6 Depth=1
	v_add_nc_u32_e32 v116, v34, v21
	v_mad_i64_i32 v[116:117], null, v116, 36, v[2:3]
	global_load_dword v116, v[116:117], off offset:4
	s_waitcnt vmcnt(0)
	ds_write_b32 v22, v116
.LBB215_9:                              ;   in Loop: Header=BB215_6 Depth=1
	s_or_b32 exec_lo, exec_lo, s1
	v_cmp_gt_i32_e64 s1, s9, v115
	s_and_b32 s5, s19, s1
	s_and_saveexec_b32 s1, s5
	s_cbranch_execz .LBB215_11
; %bb.10:                               ;   in Loop: Header=BB215_6 Depth=1
	v_add_nc_u32_e32 v116, v34, v115
	v_mad_i64_i32 v[116:117], null, v116, 36, s[6:7]
	global_load_dword v116, v[116:117], off
	v_add_nc_u32_e32 v117, v19, v24
	s_waitcnt vmcnt(0)
	v_cvt_f32_f16_e32 v116, v116
	ds_write_b32 v117, v116
.LBB215_11:                             ;   in Loop: Header=BB215_6 Depth=1
	s_or_b32 exec_lo, exec_lo, s1
	s_waitcnt lgkmcnt(0)
	s_barrier
	buffer_gl0_inv
	ds_read2_b32 v[116:117], v26 offset0:12 offset1:13
	ds_read_b128 v[127:130], v20 offset:48
	ds_read_b128 v[131:134], v20 offset:32
	ds_read2_b32 v[118:119], v26 offset0:4 offset1:5
	ds_read2_b32 v[120:121], v26 offset0:8 offset1:9
	ds_read_b128 v[135:138], v20 offset:16
	ds_read_b128 v[139:142], v20
	ds_read2_b32 v[122:123], v26 offset0:14 offset1:15
	ds_read2_b32 v[143:144], v26 offset0:10 offset1:11
	;; [unrolled: 1-line block ×4, first 2 shown]
	ds_read2_b32 v[149:150], v26 offset1:1
	v_mov_b32_e32 v126, 0
	v_add_nc_u32_e32 v124, 0x20b0, v26
	v_mov_b32_e32 v125, 0
	v_mov_b32_e32 v177, 0
	v_add_nc_u32_e32 v153, 0x2090, v26
	v_mov_b32_e32 v178, 0
	ds_read2_b32 v[151:152], v124 offset1:1
	v_add_nc_u32_e32 v124, 0x4118, v26
	v_add_nc_u32_e32 v165, 0x4138, v26
	s_waitcnt lgkmcnt(11)
	v_dot4c_i32_i8 v126, v116, v127
	v_add_nc_u32_e32 v116, 0x2088, v26
	v_mov_b32_e32 v179, 0
	s_waitcnt lgkmcnt(8)
	v_dot4c_i32_i8 v125, v120, v131
	s_waitcnt lgkmcnt(7)
	v_dot4c_i32_i8 v177, v118, v135
	v_dot4c_i32_i8 v126, v117, v128
	v_add_nc_u32_e32 v117, 0x2080, v26
	v_add_nc_u32_e32 v118, 0x20b8, v26
	v_dot4c_i32_i8 v125, v121, v132
	v_dot4c_i32_i8 v177, v119, v136
	s_waitcnt lgkmcnt(5)
	v_dot4c_i32_i8 v126, v122, v129
	ds_read2_b32 v[121:122], v153 offset1:1
	ds_read2_b32 v[153:154], v116 offset1:1
	ds_read2_b32 v[155:156], v117 offset1:1
	ds_read2_b32 v[117:118], v118 offset1:1
	v_mov_b32_e32 v116, 0
	s_waitcnt lgkmcnt(5)
	v_dot4c_i32_i8 v178, v149, v139
	v_add_nc_u32_e32 v119, 0x20a8, v26
	v_dot4c_i32_i8 v126, v123, v130
	v_dot4c_i32_i8 v125, v143, v133
	s_waitcnt lgkmcnt(4)
	v_dot4c_i32_i8 v116, v151, v127
	v_dot4c_i32_i8 v178, v150, v140
	v_add_nc_u32_e32 v123, 0x2098, v26
	v_add_nc_u32_e32 v120, 0x20a0, v26
	v_dot4c_i32_i8 v177, v145, v137
	v_dot4c_i32_i8 v116, v152, v128
	;; [unrolled: 1-line block ×3, first 2 shown]
	ds_read2_b32 v[149:150], v119 offset1:1
	ds_read2_b32 v[119:120], v120 offset1:1
	;; [unrolled: 1-line block ×3, first 2 shown]
	v_dot4c_i32_i8 v125, v144, v134
	ds_read2_b32 v[143:144], v123 offset1:1
	v_add_nc_u32_e32 v123, 0x4128, v26
	v_add_nc_u32_e32 v124, 0x4120, v26
	v_dot4c_i32_i8 v177, v146, v138
	v_dot4c_i32_i8 v178, v148, v142
	s_waitcnt lgkmcnt(4)
	v_dot4c_i32_i8 v116, v117, v129
	v_add_nc_u32_e32 v117, 0x4130, v26
	ds_read2_b32 v[145:146], v117 offset1:1
	ds_read2_b32 v[147:148], v123 offset1:1
	ds_read2_b32 v[151:152], v124 offset1:1
	v_dot4c_i32_i8 v116, v118, v130
	v_mov_b32_e32 v118, 0
	v_add_nc_u32_e32 v117, 0x4110, v26
	v_add_nc_u32_e32 v123, 0x4108, v26
	;; [unrolled: 1-line block ×3, first 2 shown]
	ds_read2_b32 v[159:160], v117 offset1:1
	ds_read2_b32 v[161:162], v123 offset1:1
	ds_read2_b32 v[163:164], v124 offset1:1
	ds_read2_b32 v[165:166], v165 offset1:1
	s_waitcnt lgkmcnt(9)
	v_dot4c_i32_i8 v118, v119, v131
	v_mov_b32_e32 v124, 0
	v_mov_b32_e32 v119, 0
	v_add_nc_u32_e32 v117, 0x6198, v26
	v_mov_b32_e32 v123, 0
	v_dot4c_i32_i8 v118, v120, v132
	v_dot4c_i32_i8 v124, v121, v135
	v_mov_b32_e32 v120, 0
	ds_read2_b32 v[167:168], v117 offset1:1
	ds_read_b32 v117, v33 offset:384
	v_mov_b32_e32 v121, 0
	s_waitcnt lgkmcnt(6)
	v_dot4c_i32_i8 v119, v151, v131
	v_dot4c_i32_i8 v124, v122, v136
	;; [unrolled: 1-line block ×3, first 2 shown]
	v_add_nc_u32_e32 v145, 0x61a0, v26
	v_dot4c_i32_i8 v123, v155, v139
	v_dot4c_i32_i8 v119, v152, v132
	;; [unrolled: 1-line block ×3, first 2 shown]
	v_add_nc_u32_e32 v143, 0x61b0, v26
	v_dot4c_i32_i8 v120, v146, v128
	s_waitcnt lgkmcnt(5)
	v_dot4c_i32_i8 v121, v159, v135
	v_dot4c_i32_i8 v119, v147, v133
	v_add_nc_u32_e32 v147, 0x6190, v26
	v_dot4c_i32_i8 v124, v144, v138
	v_mov_b32_e32 v122, 0
	v_dot4c_i32_i8 v118, v149, v133
	v_dot4c_i32_i8 v119, v148, v134
	ds_read2_b32 v[143:144], v143 offset1:1
	ds_read2_b32 v[145:146], v145 offset1:1
	;; [unrolled: 1-line block ×3, first 2 shown]
	v_dot4c_i32_i8 v123, v156, v140
	v_dot4c_i32_i8 v121, v160, v136
	s_waitcnt lgkmcnt(6)
	v_dot4c_i32_i8 v122, v163, v139
	v_add_nc_u32_e32 v149, 0x6188, v26
	v_mov_b32_e32 v180, 0
	v_mov_b32_e32 v181, 0
	v_dot4c_i32_i8 v118, v150, v134
	v_add_nc_u32_e32 v150, 0x6180, v26
	v_add_nc_u32_e32 v151, 0x61b8, v26
	v_dot4c_i32_i8 v123, v153, v141
	s_waitcnt lgkmcnt(5)
	v_dot4c_i32_i8 v120, v165, v129
	v_dot4c_i32_i8 v121, v157, v137
	;; [unrolled: 1-line block ×3, first 2 shown]
	ds_read2_b32 v[155:156], v149 offset1:1
	ds_read2_b32 v[159:160], v150 offset1:1
	ds_read2_b32 v[163:164], v151 offset1:1
	v_add_nc_u32_e32 v149, 0x61a8, v26
	v_add_nc_u32_e32 v150, 0x61d8, v26
	v_dot4c_i32_i8 v123, v154, v142
	s_waitcnt lgkmcnt(5)
	v_dot4c_i32_i8 v179, v143, v127
	s_waitcnt lgkmcnt(4)
	;; [unrolled: 2-line block ×3, first 2 shown]
	v_dot4c_i32_i8 v181, v147, v135
	v_dot4c_i32_i8 v120, v166, v130
	ds_read2_b32 v[165:166], v149 offset1:1
	ds_read2_b32 v[169:170], v150 offset1:1
	v_dot4c_i32_i8 v121, v158, v138
	v_dot4c_i32_i8 v179, v144, v128
	;; [unrolled: 1-line block ×4, first 2 shown]
	ds_read_b128 v[143:146], v20 offset:80
	ds_read_b128 v[147:150], v20 offset:64
	ds_read2_b32 v[131:132], v26 offset0:20 offset1:21
	ds_read_b128 v[151:154], v20 offset:112
	ds_read2_b32 v[135:136], v26 offset0:30 offset1:31
	ds_read2_b32 v[157:158], v26 offset0:28 offset1:29
	;; [unrolled: 1-line block ×5, first 2 shown]
	v_mov_b32_e32 v182, 0
	v_mov_b32_e32 v183, 0
	v_dot4c_i32_i8 v122, v161, v141
	v_dot4c_i32_i8 v181, v167, v137
	v_mov_b32_e32 v167, 0
	s_waitcnt lgkmcnt(12)
	v_dot4c_i32_i8 v182, v159, v139
	v_add_nc_u32_e32 v139, 0x61c0, v26
	s_waitcnt lgkmcnt(11)
	v_dot4c_i32_i8 v179, v163, v129
	v_dot4c_i32_i8 v181, v168, v138
	v_mov_b32_e32 v168, 0
	v_dot4c_i32_i8 v182, v160, v140
	v_dot4c_i32_i8 v122, v162, v142
	v_dot4c_i32_i8 v179, v164, v130
	s_waitcnt lgkmcnt(6)
	v_dot4c_i32_i8 v167, v131, v143
	v_add_nc_u32_e32 v131, 0x61d0, v26
	v_dot4c_i32_i8 v180, v165, v133
	s_waitcnt lgkmcnt(3)
	v_dot4c_i32_i8 v168, v157, v151
	v_add_nc_u32_e32 v133, 0x61f0, v26
	v_dot4c_i32_i8 v167, v132, v144
	ds_read2_b32 v[131:132], v131 offset1:1
	ds_read2_b32 v[139:140], v139 offset1:1
	v_dot4c_i32_i8 v168, v158, v152
	v_dot4c_i32_i8 v180, v166, v134
	;; [unrolled: 1-line block ×3, first 2 shown]
	s_waitcnt lgkmcnt(2)
	v_dot4c_i32_i8 v183, v175, v147
	v_add_nc_u32_e32 v157, 0x61f8, v26
	v_dot4c_i32_i8 v168, v135, v153
	ds_read2_b32 v[134:135], v133 offset1:1
	v_add_nc_u32_e32 v133, 0x61c8, v26
	ds_read_b128 v[127:130], v20 offset:96
	ds_read2_b32 v[137:138], v26 offset0:26 offset1:27
	v_dot4c_i32_i8 v182, v156, v142
	v_dot4c_i32_i8 v167, v171, v145
	;; [unrolled: 1-line block ×3, first 2 shown]
	ds_read_b32 v171, v31 offset:256
	ds_read2_b32 v[141:142], v32 offset1:1
	ds_read2_b32 v[155:156], v133 offset1:1
	;; [unrolled: 1-line block ×3, first 2 shown]
	v_mov_b32_e32 v165, 0
	v_add_nc_u32_e32 v159, 0x61e0, v26
	v_dot4c_i32_i8 v167, v172, v146
	v_dot4c_i32_i8 v183, v173, v149
	v_mov_b32_e32 v173, 0
	s_waitcnt lgkmcnt(8)
	v_dot4c_i32_i8 v165, v131, v143
	v_mov_b32_e32 v172, 0
	ds_read2_b32 v[159:160], v159 offset1:1
	v_add_nc_u32_e32 v131, 0x61e8, v26
	s_waitcnt lgkmcnt(8)
	v_dot4c_i32_i8 v173, v139, v147
	v_dot4c_i32_i8 v165, v132, v144
	v_add_nc_u32_e32 v133, 0x20d8, v26
	s_waitcnt lgkmcnt(7)
	v_dot4c_i32_i8 v172, v134, v151
	ds_read2_b32 v[161:162], v131 offset1:1
	ds_read2_b32 v[163:164], v133 offset1:1
	v_dot4c_i32_i8 v173, v140, v148
	v_dot4c_i32_i8 v165, v169, v145
	;; [unrolled: 1-line block ×3, first 2 shown]
	s_waitcnt lgkmcnt(5)
	v_bfe_i32 v135, v141, 8, 8
	v_bfe_i32 v139, v142, 8, 8
	s_waitcnt lgkmcnt(4)
	v_dot4c_i32_i8 v173, v155, v149
	v_dot4c_i32_i8 v165, v170, v146
	ds_read_b128 v[131:134], v24 offset:36944
	v_mul_lo_u32 v135, v181, v135
	v_mov_b32_e32 v169, 0
	v_dot4c_i32_i8 v173, v156, v150
	ds_read2_b32 v[155:156], v25 offset1:1
	v_bfe_i32 v140, v141, 0, 8
	v_mul_lo_u32 v139, v165, v139
	s_waitcnt lgkmcnt(5)
	v_dot4c_i32_i8 v172, v157, v153
	s_waitcnt lgkmcnt(4)
	v_dot4c_i32_i8 v169, v159, v127
	v_bfe_i32 v157, v142, 0, 8
	v_mad_u64_u32 v[165:166], null, v182, v140, v[135:136]
	v_ashrrev_i32_e32 v135, 24, v141
	v_dot4c_i32_i8 v169, v160, v128
	ds_read2_b32 v[159:160], v26 offset0:24 offset1:25
	v_mad_u64_u32 v[139:140], null, v173, v157, v[139:140]
	v_mul_lo_u32 v135, v179, v135
	v_dot4c_i32_i8 v172, v158, v154
	v_cvt_f32_i32_e32 v140, v165
	v_ashrrev_i32_e32 v157, 24, v142
	v_bfe_i32 v141, v141, 16, 8
	s_waitcnt lgkmcnt(4)
	v_dot4c_i32_i8 v169, v161, v129
	v_cvt_f32_i32_e32 v158, v139
	s_waitcnt lgkmcnt(2)
	v_fma_f32 v170, v131, v140, 0
	v_mul_lo_u32 v139, v172, v157
	v_mad_u64_u32 v[140:141], null, v180, v141, v[135:136]
	s_waitcnt lgkmcnt(1)
	v_bfe_i32 v135, v155, 8, 8
	v_dot4c_i32_i8 v169, v162, v130
	v_bfe_i32 v141, v142, 16, 8
	v_mov_b32_e32 v161, 0
	v_bfe_i32 v157, v156, 8, 8
	v_mul_lo_u32 v135, v177, v135
	v_fma_f32 v172, v133, v158, 0
	v_mad_u64_u32 v[141:142], null, v169, v141, v[139:140]
	v_cvt_f32_i32_e32 v142, v140
	v_bfe_i32 v140, v155, 0, 8
	s_waitcnt lgkmcnt(0)
	v_dot4c_i32_i8 v161, v159, v127
	v_mul_lo_u32 v139, v167, v157
	v_dot4c_i32_i8 v168, v136, v154
	v_dot4c_i32_i8 v183, v174, v150
	v_mad_u64_u32 v[157:158], null, v178, v140, v[135:136]
	v_dot4c_i32_i8 v161, v160, v128
	v_cvt_f32_i32_e32 v135, v141
	v_ashrrev_i32_e32 v136, 24, v156
	v_bfe_i32 v159, v156, 0, 8
	v_bfe_i32 v156, v156, 16, 8
	v_dot4c_i32_i8 v161, v137, v129
	v_fmac_f32_e32 v172, v134, v135
	v_cvt_f32_i32_e32 v135, v157
	v_add_nc_u32_e32 v137, 0x20d0, v26
	v_mad_u64_u32 v[139:140], null, v183, v159, v[139:140]
	v_dot4c_i32_i8 v161, v138, v130
	v_fma_f32 v173, v131, v135, 0
	v_mul_lo_u32 v135, v168, v136
	ds_read2_b32 v[136:137], v137 offset1:1
	v_ashrrev_i32_e32 v138, 24, v155
	v_bfe_i32 v157, v155, 16, 8
	v_fmac_f32_e32 v170, v132, v142
	v_cvt_f32_i32_e32 v142, v139
	v_add_nc_u32_e32 v139, 0x20c8, v26
	v_mul_lo_u32 v126, v126, v138
	v_add_nc_u32_e32 v140, 0x20c0, v26
	ds_read2_b32 v[138:139], v139 offset1:1
	ds_read2_b32 v[140:141], v140 offset1:1
	v_mov_b32_e32 v162, 0
	v_mov_b32_e32 v165, 0
	v_mad_u64_u32 v[125:126], null, v125, v157, v[126:127]
	v_add_nc_u32_e32 v126, 0x20f8, v26
	v_fma_f32 v142, v133, v142, 0
	v_mov_b32_e32 v176, 0
	v_mov_b32_e32 v177, 0
	s_waitcnt lgkmcnt(2)
	v_mad_u64_u32 v[155:156], null, v161, v156, v[135:136]
	ds_read_b32 v174, v27
	ds_read_b32 v175, v29 offset:128
	ds_read2_b32 v[156:157], v30 offset1:1
	ds_read2_b32 v[158:159], v28 offset1:1
	;; [unrolled: 1-line block ×3, first 2 shown]
	v_add_nc_u32_e32 v135, 0x20f0, v26
	v_dot4c_i32_i8 v162, v136, v143
	v_add_nc_u32_e32 v126, 0x20e0, v26
	v_add_nc_u32_e32 v166, 0x4148, v26
	;; [unrolled: 1-line block ×3, first 2 shown]
	ds_read2_b32 v[135:136], v135 offset1:1
	v_dot4c_i32_i8 v162, v137, v144
	v_cvt_f32_i32_e32 v137, v155
	v_cvt_f32_i32_e32 v155, v125
	ds_read2_b32 v[125:126], v126 offset1:1
	s_waitcnt lgkmcnt(7)
	v_dot4c_i32_i8 v165, v140, v147
	v_dot4c_i32_i8 v162, v163, v145
	v_fmac_f32_e32 v142, v134, v137
	v_add_nc_u32_e32 v137, 0x20e8, v26
	v_add_nc_u32_e32 v140, 0x4158, v26
	v_dot4c_i32_i8 v165, v141, v148
	v_dot4c_i32_i8 v162, v164, v146
	v_fmac_f32_e32 v173, v132, v155
	s_waitcnt lgkmcnt(3)
	v_bfe_i32 v163, v158, 8, 8
	v_bfe_i32 v164, v159, 8, 8
	v_dot4c_i32_i8 v165, v138, v149
	ds_read2_b32 v[137:138], v137 offset1:1
	ds_read2_b32 v[140:141], v140 offset1:1
	v_add_nc_u32_e32 v155, 0x4160, v26
	v_mul_lo_u32 v124, v124, v163
	v_mov_b32_e32 v178, 0
	s_waitcnt lgkmcnt(3)
	v_dot4c_i32_i8 v176, v135, v151
	v_mul_lo_u32 v135, v162, v164
	v_bfe_i32 v162, v158, 0, 8
	v_dot4c_i32_i8 v165, v139, v150
	v_bfe_i32 v139, v159, 0, 8
	s_waitcnt lgkmcnt(2)
	v_dot4c_i32_i8 v177, v125, v127
	v_dot4c_i32_i8 v176, v136, v152
	v_mad_u64_u32 v[123:124], null, v123, v162, v[124:125]
	v_add_nc_u32_e32 v124, 0x4150, v26
	v_add_nc_u32_e32 v125, 0x4170, v26
	v_mad_u64_u32 v[135:136], null, v165, v139, v[135:136]
	v_dot4c_i32_i8 v177, v126, v128
	v_dot4c_i32_i8 v176, v160, v153
	v_cvt_f32_i32_e32 v139, v123
	ds_read2_b32 v[123:124], v124 offset1:1
	ds_read2_b32 v[125:126], v125 offset1:1
	v_add_nc_u32_e32 v160, 0x4140, v26
	s_waitcnt lgkmcnt(3)
	v_dot4c_i32_i8 v177, v137, v129
	v_cvt_f32_i32_e32 v137, v135
	v_add_nc_u32_e32 v135, 0x4168, v26
	ds_read2_b32 v[135:136], v135 offset1:1
	ds_read2_b32 v[162:163], v155 offset1:1
	;; [unrolled: 1-line block ×5, first 2 shown]
	v_dot4c_i32_i8 v177, v138, v130
	v_fma_f32 v138, v131, v139, 0
	v_mov_b32_e32 v139, 0
	v_bfe_i32 v155, v158, 16, 8
	v_ashrrev_i32_e32 v158, 24, v158
	v_dot4c_i32_i8 v176, v161, v154
	v_mov_b32_e32 v161, 0
	v_bfe_i32 v160, v159, 16, 8
	v_ashrrev_i32_e32 v159, 24, v159
	v_mul_lo_u32 v116, v116, v158
	s_waitcnt lgkmcnt(5)
	v_dot4c_i32_i8 v139, v125, v151
	v_mov_b32_e32 v151, 0
	v_fma_f32 v137, v133, v137, 0
	v_fmac_f32_e32 v6, v174, v173
	v_fmac_f32_e32 v4, v117, v170
	v_dot4c_i32_i8 v139, v126, v152
	v_dot4c_i32_i8 v151, v123, v143
	s_waitcnt lgkmcnt(2)
	v_dot4c_i32_i8 v178, v164, v147
	v_dot4c_i32_i8 v161, v162, v127
	v_ashrrev_i32_e32 v127, 24, v157
	s_waitcnt lgkmcnt(0)
	v_dot4c_i32_i8 v139, v168, v153
	v_dot4c_i32_i8 v151, v124, v144
	v_mad_u64_u32 v[124:125], null, v118, v155, v[116:117]
	v_bfe_i32 v116, v156, 8, 8
	v_dot4c_i32_i8 v178, v165, v148
	v_dot4c_i32_i8 v151, v140, v145
	v_bfe_i32 v118, v157, 8, 8
	v_bfe_i32 v125, v156, 0, 8
	v_mul_lo_u32 v116, v121, v116
	v_ashrrev_i32_e32 v121, 24, v156
	v_dot4c_i32_i8 v151, v141, v146
	v_dot4c_i32_i8 v178, v166, v149
	;; [unrolled: 1-line block ×4, first 2 shown]
	v_mul_lo_u32 v120, v120, v121
	v_mul_lo_u32 v118, v151, v118
	v_mad_u64_u32 v[121:122], null, v122, v125, v[116:117]
	v_dot4c_i32_i8 v178, v167, v150
	v_bfe_i32 v126, v157, 0, 8
	v_dot4c_i32_i8 v161, v135, v129
	v_bfe_i32 v122, v156, 16, 8
	v_mul_lo_u32 v123, v176, v159
	v_mul_lo_u32 v116, v139, v127
	v_mad_u64_u32 v[125:126], null, v178, v126, v[118:119]
	v_dot4c_i32_i8 v161, v136, v130
	v_bfe_i32 v126, v157, 16, 8
	v_mad_u64_u32 v[118:119], null, v119, v122, v[120:121]
	v_cvt_f32_i32_e32 v122, v121
	v_mad_u64_u32 v[119:120], null, v177, v160, v[123:124]
	v_mad_u64_u32 v[120:121], null, v161, v126, v[116:117]
	v_cvt_f32_i32_e32 v116, v124
	v_cvt_f32_i32_e32 v121, v125
	v_fma_f32 v122, v131, v122, 0
	v_cvt_f32_i32_e32 v118, v118
	v_cvt_f32_i32_e32 v119, v119
	v_fmac_f32_e32 v138, v132, v116
	v_fma_f32 v116, v133, v121, 0
	v_cvt_f32_i32_e32 v120, v120
	v_fmac_f32_e32 v122, v132, v118
	v_fmac_f32_e32 v137, v134, v119
	;; [unrolled: 1-line block ×8, first 2 shown]
	s_cmp_ge_i32 s4, s13
	v_fmac_f32_e32 v97, v171, v116
	s_barrier
	buffer_gl0_inv
	s_cbranch_scc1 .LBB215_5
; %bb.12:                               ;   in Loop: Header=BB215_6 Depth=1
	v_cmp_gt_i32_e64 s1, s9, v23
	s_and_b32 s5, s0, s1
	s_and_saveexec_b32 s1, s5
	s_cbranch_execz .LBB215_14
; %bb.13:                               ;   in Loop: Header=BB215_6 Depth=1
	v_add_nc_u32_e32 v116, v34, v23
	v_mad_i64_i32 v[116:117], null, v116, 36, v[2:3]
	global_load_dword v116, v[116:117], off offset:4
	s_waitcnt vmcnt(0)
	ds_write_b32 v22, v116
.LBB215_14:                             ;   in Loop: Header=BB215_6 Depth=1
	s_or_b32 exec_lo, exec_lo, s1
	s_and_saveexec_b32 s5, vcc_lo
	s_cbranch_execz .LBB215_4
; %bb.15:                               ;   in Loop: Header=BB215_6 Depth=1
	v_add_nc_u32_e32 v116, 4, v115
	v_cmp_gt_i32_e64 s1, s9, v116
	s_and_b32 s1, s0, s1
	s_and_b32 exec_lo, exec_lo, s1
	s_cbranch_execz .LBB215_4
; %bb.16:                               ;   in Loop: Header=BB215_6 Depth=1
	v_ashrrev_i32_e32 v116, 31, v115
	v_add_co_u32 v117, s1, v34, v115
	v_add_co_ci_u32_e64 v118, null, v35, v116, s1
	v_mad_u64_u32 v[116:117], null, v117, 36, s[6:7]
	v_mad_i32_i24 v117, v118, 36, v117
	global_load_dword v116, v[116:117], off offset:144
	v_add_nc_u32_e32 v117, v19, v24
	s_waitcnt vmcnt(0)
	v_cvt_f32_f16_e32 v116, v116
	ds_write_b32 v117, v116
	s_branch .LBB215_4
.LBB215_17:
	s_mul_i32 s0, s11, s8
	s_waitcnt vmcnt(0)
	v_cmp_gt_i32_e32 vcc_lo, s0, v5
	s_and_saveexec_b32 s0, vcc_lo
	s_cbranch_execz .LBB215_26
; %bb.18:
	v_add_nc_u32_e32 v1, s16, v0
	v_mul_lo_u32 v0, v5, s10
	s_mov_b32 s0, exec_lo
	v_cmpx_gt_u32_e64 s10, v1
	s_cbranch_execz .LBB215_20
; %bb.19:
	v_add_nc_u32_e32 v2, v0, v1
	v_mov_b32_e32 v3, 0
	v_cvt_f16_f32_e32 v5, v6
	v_lshlrev_b64 v[2:3], 1, v[2:3]
	v_add_co_u32 v2, vcc_lo, s2, v2
	v_add_co_ci_u32_e64 v3, null, s3, v3, vcc_lo
	global_store_short v[2:3], v5, off
.LBB215_20:
	s_or_b32 exec_lo, exec_lo, s0
	v_add_nc_u32_e32 v2, 32, v1
	s_mov_b32 s0, exec_lo
	v_cmpx_gt_u32_e64 s10, v2
	s_cbranch_execz .LBB215_22
; %bb.21:
	v_add_nc_u32_e32 v2, v0, v2
	v_mov_b32_e32 v3, 0
	v_cvt_f16_f32_e32 v5, v102
	v_lshlrev_b64 v[2:3], 1, v[2:3]
	v_add_co_u32 v2, vcc_lo, s2, v2
	v_add_co_ci_u32_e64 v3, null, s3, v3, vcc_lo
	global_store_short v[2:3], v5, off
.LBB215_22:
	s_or_b32 exec_lo, exec_lo, s0
	v_add_nc_u32_e32 v2, 64, v1
	;; [unrolled: 14-line block ×3, first 2 shown]
	v_cmp_gt_u32_e32 vcc_lo, s10, v1
	s_and_b32 exec_lo, exec_lo, vcc_lo
	s_cbranch_execz .LBB215_26
; %bb.25:
	v_add_nc_u32_e32 v0, v0, v1
	v_mov_b32_e32 v1, 0
	v_cvt_f16_f32_e32 v2, v4
	v_lshlrev_b64 v[0:1], 1, v[0:1]
	v_add_co_u32 v0, vcc_lo, s2, v0
	v_add_co_ci_u32_e64 v1, null, s3, v1, vcc_lo
	global_store_short v[0:1], v2, off
.LBB215_26:
	s_endpgm
	.section	.rodata,"a",@progbits
	.p2align	6, 0x0
	.amdhsa_kernel _ZL8moe_q6_KIN3c104HalfELb0EEvPKvS3_PT_PKiS7_S7_iiiiiii
		.amdhsa_group_segment_fixed_size 37072
		.amdhsa_private_segment_fixed_size 0
		.amdhsa_kernarg_size 76
		.amdhsa_user_sgpr_count 6
		.amdhsa_user_sgpr_private_segment_buffer 1
		.amdhsa_user_sgpr_dispatch_ptr 0
		.amdhsa_user_sgpr_queue_ptr 0
		.amdhsa_user_sgpr_kernarg_segment_ptr 1
		.amdhsa_user_sgpr_dispatch_id 0
		.amdhsa_user_sgpr_flat_scratch_init 0
		.amdhsa_user_sgpr_private_segment_size 0
		.amdhsa_wavefront_size32 1
		.amdhsa_uses_dynamic_stack 0
		.amdhsa_system_sgpr_private_segment_wavefront_offset 0
		.amdhsa_system_sgpr_workgroup_id_x 1
		.amdhsa_system_sgpr_workgroup_id_y 1
		.amdhsa_system_sgpr_workgroup_id_z 0
		.amdhsa_system_sgpr_workgroup_info 0
		.amdhsa_system_vgpr_workitem_id 1
		.amdhsa_next_free_vgpr 187
		.amdhsa_next_free_sgpr 22
		.amdhsa_reserve_vcc 1
		.amdhsa_reserve_flat_scratch 0
		.amdhsa_float_round_mode_32 0
		.amdhsa_float_round_mode_16_64 0
		.amdhsa_float_denorm_mode_32 3
		.amdhsa_float_denorm_mode_16_64 3
		.amdhsa_dx10_clamp 1
		.amdhsa_ieee_mode 1
		.amdhsa_fp16_overflow 0
		.amdhsa_workgroup_processor_mode 1
		.amdhsa_memory_ordered 1
		.amdhsa_forward_progress 1
		.amdhsa_shared_vgpr_count 0
		.amdhsa_exception_fp_ieee_invalid_op 0
		.amdhsa_exception_fp_denorm_src 0
		.amdhsa_exception_fp_ieee_div_zero 0
		.amdhsa_exception_fp_ieee_overflow 0
		.amdhsa_exception_fp_ieee_underflow 0
		.amdhsa_exception_fp_ieee_inexact 0
		.amdhsa_exception_int_div_zero 0
	.end_amdhsa_kernel
	.section	.text._ZL8moe_q6_KIN3c104HalfELb0EEvPKvS3_PT_PKiS7_S7_iiiiiii,"axG",@progbits,_ZL8moe_q6_KIN3c104HalfELb0EEvPKvS3_PT_PKiS7_S7_iiiiiii,comdat
.Lfunc_end215:
	.size	_ZL8moe_q6_KIN3c104HalfELb0EEvPKvS3_PT_PKiS7_S7_iiiiiii, .Lfunc_end215-_ZL8moe_q6_KIN3c104HalfELb0EEvPKvS3_PT_PKiS7_S7_iiiiiii
                                        ; -- End function
	.set _ZL8moe_q6_KIN3c104HalfELb0EEvPKvS3_PT_PKiS7_S7_iiiiiii.num_vgpr, 187
	.set _ZL8moe_q6_KIN3c104HalfELb0EEvPKvS3_PT_PKiS7_S7_iiiiiii.num_agpr, 0
	.set _ZL8moe_q6_KIN3c104HalfELb0EEvPKvS3_PT_PKiS7_S7_iiiiiii.numbered_sgpr, 22
	.set _ZL8moe_q6_KIN3c104HalfELb0EEvPKvS3_PT_PKiS7_S7_iiiiiii.num_named_barrier, 0
	.set _ZL8moe_q6_KIN3c104HalfELb0EEvPKvS3_PT_PKiS7_S7_iiiiiii.private_seg_size, 0
	.set _ZL8moe_q6_KIN3c104HalfELb0EEvPKvS3_PT_PKiS7_S7_iiiiiii.uses_vcc, 1
	.set _ZL8moe_q6_KIN3c104HalfELb0EEvPKvS3_PT_PKiS7_S7_iiiiiii.uses_flat_scratch, 0
	.set _ZL8moe_q6_KIN3c104HalfELb0EEvPKvS3_PT_PKiS7_S7_iiiiiii.has_dyn_sized_stack, 0
	.set _ZL8moe_q6_KIN3c104HalfELb0EEvPKvS3_PT_PKiS7_S7_iiiiiii.has_recursion, 0
	.set _ZL8moe_q6_KIN3c104HalfELb0EEvPKvS3_PT_PKiS7_S7_iiiiiii.has_indirect_call, 0
	.section	.AMDGPU.csdata,"",@progbits
; Kernel info:
; codeLenInByte = 14832
; TotalNumSgprs: 24
; NumVgprs: 187
; ScratchSize: 0
; MemoryBound: 0
; FloatMode: 240
; IeeeMode: 1
; LDSByteSize: 37072 bytes/workgroup (compile time only)
; SGPRBlocks: 0
; VGPRBlocks: 23
; NumSGPRsForWavesPerEU: 24
; NumVGPRsForWavesPerEU: 187
; Occupancy: 5
; WaveLimiterHint : 1
; COMPUTE_PGM_RSRC2:SCRATCH_EN: 0
; COMPUTE_PGM_RSRC2:USER_SGPR: 6
; COMPUTE_PGM_RSRC2:TRAP_HANDLER: 0
; COMPUTE_PGM_RSRC2:TGID_X_EN: 1
; COMPUTE_PGM_RSRC2:TGID_Y_EN: 1
; COMPUTE_PGM_RSRC2:TGID_Z_EN: 0
; COMPUTE_PGM_RSRC2:TIDIG_COMP_CNT: 1
	.section	.text._ZL8moe_q6_KIN3c104HalfELb1EEvPKvS3_PT_PKiS7_S7_iiiiiii,"axG",@progbits,_ZL8moe_q6_KIN3c104HalfELb1EEvPKvS3_PT_PKiS7_S7_iiiiiii,comdat
	.globl	_ZL8moe_q6_KIN3c104HalfELb1EEvPKvS3_PT_PKiS7_S7_iiiiiii ; -- Begin function _ZL8moe_q6_KIN3c104HalfELb1EEvPKvS3_PT_PKiS7_S7_iiiiiii
	.p2align	8
	.type	_ZL8moe_q6_KIN3c104HalfELb1EEvPKvS3_PT_PKiS7_S7_iiiiiii,@function
_ZL8moe_q6_KIN3c104HalfELb1EEvPKvS3_PT_PKiS7_S7_iiiiiii: ; @_ZL8moe_q6_KIN3c104HalfELb1EEvPKvS3_PT_PKiS7_S7_iiiiiii
; %bb.0:
	s_load_dwordx4 s[0:3], s[4:5], 0x18
	s_mov_b32 s8, s7
	s_mov_b32 s9, 0
	s_lshl_b64 s[10:11], s[8:9], 2
	s_waitcnt lgkmcnt(0)
	s_add_u32 s2, s2, s10
	s_addc_u32 s3, s3, s11
	s_load_dword s16, s[2:3], 0x0
	s_waitcnt lgkmcnt(0)
	s_cmpk_gt_u32 s16, 0xff
	s_cbranch_scc1 .LBB216_26
; %bb.1:
	s_load_dwordx2 s[2:3], s[4:5], 0x28
	s_waitcnt lgkmcnt(0)
	s_load_dword s3, s[2:3], 0x0
	s_lshl_b32 s2, s8, 3
	s_waitcnt lgkmcnt(0)
	s_cmp_gt_u32 s2, s3
	s_cbranch_scc1 .LBB216_26
; %bb.2:
	v_add_nc_u32_e32 v19, s2, v1
	v_mov_b32_e32 v20, 0
	v_lshlrev_b64 v[2:3], 2, v[19:20]
	v_mov_b32_e32 v103, v20
	v_mov_b32_e32 v106, v20
	;; [unrolled: 1-line block ×3, first 2 shown]
	v_add_co_u32 v2, vcc_lo, s0, v2
	v_add_co_ci_u32_e64 v3, null, s1, v3, vcc_lo
	global_load_dword v21, v[2:3], off
	s_clause 0x1
	s_load_dwordx8 s[8:15], s[4:5], 0x30
	s_load_dwordx2 s[2:3], s[4:5], 0x10
	s_waitcnt lgkmcnt(0)
	s_lshl_b32 s15, s6, 7
	s_cmpk_lt_i32 s9, 0x100
	s_cbranch_scc1 .LBB216_17
; %bb.3:
	v_and_b32_e32 v2, 31, v0
	s_ashr_i32 s0, s9, 31
	s_ashr_i32 s1, s12, 31
	s_lshr_b32 s0, s0, 24
	s_lshr_b32 s1, s1, 27
	v_lshlrev_b32_e32 v3, 1, v2
	v_cmp_gt_u32_e32 vcc_lo, 16, v2
	v_add_nc_u16 v4, v2, -16
	s_add_i32 s0, s9, s0
	v_lshlrev_b32_e32 v20, 2, v2
	v_add_nc_u32_e32 v5, 0xe0, v3
	s_add_i32 s1, s12, s1
	v_cndmask_b32_e32 v4, v4, v2, vcc_lo
	s_ashr_i32 s12, s0, 8
	s_not_b32 s0, s15
	v_cndmask_b32_e32 v5, v5, v3, vcc_lo
	v_add_nc_u32_e32 v6, 8, v1
	s_add_i32 s0, s10, s0
	v_lshrrev_b32_e32 v19, 5, v0
	v_cmp_lt_u16_e32 vcc_lo, 7, v4
	v_and_b32_e32 v5, 0xfe, v5
	v_add_nc_u32_e32 v4, 16, v1
	v_min_i32_e32 v6, s0, v6
	v_add_nc_u32_e32 v7, 24, v1
	v_lshl_add_u32 v17, v1, 5, v0
	v_sub_nc_u32_e32 v2, v3, v5
	v_and_b32_e32 v3, 15, v0
	v_min_i32_e32 v5, s0, v1
	v_mul_lo_u32 v40, v6, s12
	v_add_nc_u32_e32 v8, 40, v1
	v_add_nc_u32_e32 v9, 48, v1
	v_add_lshl_u32 v18, v2, v3, 2
	v_mul_lo_u32 v39, v5, s12
	v_add_nc_u32_e32 v10, 56, v1
	v_add_nc_u32_e32 v11, 64, v1
	v_add_nc_u32_e32 v12, 0x48, v1
	v_mad_u64_u32 v[2:3], null, 0x104, v5, v[18:19]
	v_min_i32_e32 v5, s0, v4
	v_mad_u64_u32 v[3:4], null, 0x104, v6, v[18:19]
	v_min_i32_e32 v6, s0, v7
	v_add_nc_u32_e32 v7, 32, v1
	v_and_b32_e32 v17, 0x7f, v17
	v_lshrrev_b32_e32 v25, 2, v0
	v_min_i32_e32 v8, s0, v8
	v_add_nc_u32_e32 v13, 0x50, v1
	v_min_i32_e32 v7, s0, v7
	v_min_i32_e32 v9, s0, v9
	v_add_nc_u32_e32 v14, 0x58, v1
	v_mul_lo_u32 v45, v5, s12
	v_mad_u64_u32 v[4:5], null, 0x104, v5, v[18:19]
	v_min_i32_e32 v10, s0, v10
	v_add_nc_u32_e32 v15, 0x60, v1
	v_mul_lo_u32 v49, v6, s12
	v_mad_u64_u32 v[5:6], null, 0x104, v6, v[18:19]
	;; [unrolled: 4-line block ×3, first 2 shown]
	v_min_i32_e32 v12, s0, v12
	v_add_nc_u32_e32 v24, 0x70, v1
	v_min_i32_e32 v26, s0, v17
	v_lshl_add_u32 v17, v1, 3, v25
	v_mul_lo_u32 v57, v8, s12
	v_mad_u64_u32 v[7:8], null, 0x104, v8, v[18:19]
	v_min_i32_e32 v13, s0, v13
	v_mul_lo_u32 v61, v9, s12
	v_mad_u64_u32 v[8:9], null, 0x104, v9, v[18:19]
	v_min_i32_e32 v14, s0, v14
	;; [unrolled: 3-line block ×5, first 2 shown]
	v_ashrrev_i32_e32 v25, 31, v26
	v_and_b32_e32 v27, 0x7f, v17
	v_mul_lo_u32 v77, v13, s12
	v_mad_u64_u32 v[12:13], null, 0x104, v13, v[18:19]
	v_mul_lo_u32 v81, v14, s12
	v_mad_u64_u32 v[13:14], null, 0x104, v14, v[18:19]
	s_abs_i32 s10, s14
	v_mul_lo_u32 v85, v15, s12
	v_mad_u64_u32 v[14:15], null, 0x104, v15, v[18:19]
	v_mul_lo_u32 v89, v16, s12
	v_mad_u64_u32 v[15:16], null, 0x104, v16, v[18:19]
	v_cvt_f32_u32_e32 v28, s10
	v_mul_lo_u32 v93, v24, s12
	v_mad_u64_u32 v[16:17], null, 0x104, v24, v[18:19]
	v_lshrrev_b32_e32 v24, 27, v25
	v_min_i32_e32 v25, s0, v27
	v_xor_b32_e32 v27, 64, v27
	v_add_nc_u32_e32 v17, 0x78, v1
	v_rcp_iflag_f32_e32 v28, v28
	v_lshlrev_b32_e32 v41, 2, v0
	v_ashrrev_i32_e32 v29, 31, v25
	v_min_i32_e32 v27, s0, v27
	v_min_i32_e32 v17, s0, v17
	s_sub_i32 s0, 0, s10
	v_lshlrev_b32_e32 v32, 4, v0
	v_lshrrev_b32_e32 v29, 29, v29
	v_ashrrev_i32_e32 v30, 31, v27
	v_mul_lo_u32 v101, v17, s12
	v_mad_u64_u32 v[17:18], null, 0x104, v17, v[18:19]
	v_mul_f32_e32 v28, 0x4f7ffffe, v28
	v_add_nc_u32_e32 v18, v25, v29
	v_lshrrev_b32_e32 v29, 29, v30
	v_and_b32_e32 v30, 3, v0
	v_lshlrev_b32_e32 v33, 2, v19
	v_cvt_u32_f32_e32 v28, v28
	v_ashrrev_i32_e32 v18, 3, v18
	v_add_nc_u32_e32 v29, v27, v29
	v_lshlrev_b32_e32 v106, 2, v30
	v_add_nc_u32_e32 v36, 64, v0
	v_mul_lo_u32 v30, s0, v28
	v_lshlrev_b32_e32 v18, 2, v18
	v_ashrrev_i32_e32 v29, 3, v29
	s_load_dwordx4 s[4:7], s[4:5], 0x0
	v_lshrrev_b32_e32 v44, 3, v36
	v_lshlrev_b32_e32 v36, 4, v36
	v_add3_u32 v113, v18, v106, 0x8200
	v_lshlrev_b32_e32 v18, 2, v29
	v_mul_hi_u32 v29, v28, v30
	v_add_nc_u32_e32 v30, 32, v0
	s_ashr_i32 s18, s1, 5
	s_mul_i32 s1, s12, s15
	v_add3_u32 v115, v18, v106, 0x8200
	s_waitcnt vmcnt(0)
	v_sub_nc_u32_e32 v18, 0, v21
	v_lshlrev_b32_e32 v43, 4, v30
	s_mul_i32 s8, s16, s8
	v_add_nc_u32_e32 v29, v28, v29
	v_lshrrev_b32_e32 v28, 3, v0
	v_max_i32_e32 v18, v21, v18
	s_mul_hi_i32 s17, s1, 0xd2
	s_mul_i32 s16, s1, 0xd2
	v_and_b32_e32 v38, 7, v0
	v_lshlrev_b32_e32 v31, 2, v28
	v_mul_hi_u32 v35, v18, v29
	v_lshrrev_b32_e32 v29, 3, v30
	v_mad_u64_u32 v[95:96], null, 0xd2, v19, s[16:17]
	v_add3_u32 v30, v32, v31, 0x8200
	v_add3_u32 v32, v41, v33, 0x8e40
	v_lshlrev_b32_e32 v34, 2, v29
	v_lshlrev_b32_e32 v19, 2, v38
	v_mul_lo_u32 v37, v35, s10
	v_and_b32_e32 v42, 28, v41
	v_mul_lo_u32 v109, v25, s12
	v_add3_u32 v33, v43, v34, 0x8200
	v_add_nc_u32_e32 v43, 1, v35
	v_and_b32_e32 v34, 60, v29
	v_lshlrev_b32_e32 v114, 4, v25
	v_add_nc_u32_e32 v25, 0x9050, v41
	v_sub_nc_u32_e32 v18, v18, v37
	v_lshlrev_b32_e32 v37, 2, v44
	v_and_b32_e32 v44, 60, v44
	v_add3_u32 v34, v41, v34, 0x8e40
	v_mad_i64_i32 v[51:52], null, 0xd2, v45, v[95:96]
	v_subrev_nc_u32_e32 v46, s10, v18
	v_cmp_le_u32_e64 s0, s10, v18
	v_mad_i64_i32 v[55:56], null, 0xd2, v49, v[95:96]
	v_mad_i64_i32 v[59:60], null, 0xd2, v53, v[95:96]
	v_cndmask_b32_e64 v43, v35, v43, s0
	v_cndmask_b32_e64 v18, v18, v46, s0
	v_add3_u32 v35, v36, v37, 0x8200
	v_xor_b32_e32 v36, s14, v21
	v_add_nc_u32_e32 v37, 0x60, v0
	v_add_nc_u32_e32 v46, 1, v43
	v_cmp_le_u32_e64 s0, s10, v18
	v_mad_i64_i32 v[63:64], null, 0xd2, v57, v[95:96]
	v_ashrrev_i32_e32 v48, 31, v36
	v_lshrrev_b32_e32 v47, 3, v37
	v_cndmask_b32_e64 v18, v43, v46, s0
	v_add3_u32 v36, v41, v44, 0x8e40
	v_lshlrev_b32_e32 v37, 4, v37
	v_mad_i64_i32 v[67:68], null, 0xd2, v61, v[95:96]
	v_xor_b32_e32 v18, v18, v48
	v_lshlrev_b32_e32 v43, 2, v47
	v_and_b32_e32 v44, 60, v47
	v_mad_i64_i32 v[71:72], null, 0xd2, v65, v[95:96]
	v_sub_nc_u32_e32 v46, v18, v48
	v_lshlrev_b32_e32 v18, 1, v0
	v_add3_u32 v37, v37, v43, 0x8200
	v_add3_u32 v38, v41, v44, 0x8e40
	v_mad_i64_i32 v[43:44], null, 0xd2, v39, v[95:96]
	v_and_or_b32 v102, v18, 32, v19
	s_waitcnt lgkmcnt(0)
	v_add_co_u32 v18, s1, s6, v42
	v_add_co_ci_u32_e64 v19, null, s7, 0, s1
	v_mad_i64_i32 v[47:48], null, 0xd2, v40, v[95:96]
	v_add_co_u32 v41, s1, v43, v102
	v_add_co_ci_u32_e64 v42, null, 0, v44, s1
	v_cmp_gt_i32_e64 s0, s11, v46
	v_add_co_u32 v41, s1, s4, v41
	v_add_co_ci_u32_e64 v42, null, s5, v42, s1
	v_mul_lo_u32 v39, v46, s18
	v_add_co_u32 v41, s1, 0x80, v41
	v_add_co_ci_u32_e64 v42, null, 0, v42, s1
	v_add_co_u32 v46, s1, v47, v102
	v_add_co_ci_u32_e64 v50, null, 0, v48, s1
	;; [unrolled: 2-line block ×32, first 2 shown]
	v_add_co_u32 v67, s1, v67, v20
	v_mad_i64_i32 v[75:76], null, 0xd2, v69, v[95:96]
	v_add_co_ci_u32_e64 v68, null, 0, v68, s1
	v_add_co_u32 v70, s1, s4, v70
	v_add_co_ci_u32_e64 v74, null, s5, v74, s1
	v_add_co_u32 v67, s1, s4, v67
	v_add_co_ci_u32_e64 v68, null, s5, v68, s1
	v_add_co_u32 v69, s1, 0x80, v70
	v_add_co_ci_u32_e64 v70, null, 0, v74, s1
	v_add_co_u32 v74, s1, v75, v102
	v_add_co_ci_u32_e64 v78, null, 0, v76, s1
	v_add_co_u32 v71, s1, v71, v20
	v_mad_i64_i32 v[79:80], null, 0xd2, v73, v[95:96]
	v_add_co_ci_u32_e64 v72, null, 0, v72, s1
	v_add_co_u32 v74, s1, s4, v74
	v_add_co_ci_u32_e64 v78, null, s5, v78, s1
	v_add_co_u32 v71, s1, s4, v71
	v_add_co_ci_u32_e64 v72, null, s5, v72, s1
	v_add_co_u32 v73, s1, 0x80, v74
	v_add_co_ci_u32_e64 v74, null, 0, v78, s1
	v_add_co_u32 v78, s1, v79, v102
	v_add_co_ci_u32_e64 v82, null, 0, v80, s1
	;; [unrolled: 11-line block ×6, first 2 shown]
	v_add_co_u32 v91, s1, v91, v20
	v_add_co_ci_u32_e64 v92, null, 0, v92, s1
	v_add_co_u32 v94, s1, s4, v94
	v_add_co_ci_u32_e64 v103, null, s5, v99, s1
	v_mad_i64_i32 v[99:100], null, 0xd2, v93, v[95:96]
	v_add_co_u32 v91, s1, s4, v91
	v_add_co_ci_u32_e64 v92, null, s5, v92, s1
	v_add_co_u32 v93, s1, 0x80, v94
	v_add_co_ci_u32_e64 v94, null, 0, v103, s1
	;; [unrolled: 2-line block ×4, first 2 shown]
	v_add_co_u32 v107, s1, s4, v103
	v_add_nc_u32_e32 v24, v26, v24
	v_add_co_ci_u32_e64 v108, null, s5, v104, s1
	v_mad_i64_i32 v[103:104], null, 0xd2, v101, v[95:96]
	v_add_co_u32 v95, s1, s4, v97
	v_ashrrev_i32_e32 v24, 5, v24
	v_add_co_ci_u32_e64 v96, null, s5, v98, s1
	v_add_co_u32 v97, s1, 0x80, v107
	v_add_co_ci_u32_e64 v98, null, 0, v108, s1
	v_add_co_u32 v101, s1, v103, v102
	v_cndmask_b32_e64 v23, 0, 2, vcc_lo
	v_mul_lo_u32 v105, v26, s12
	v_lshlrev_b32_e32 v24, 2, v24
	v_lshlrev_b32_e32 v26, 2, v26
	v_cmp_gt_u32_e32 vcc_lo, 4, v0
	v_add_co_ci_u32_e64 v102, null, 0, v104, s1
	v_add_co_u32 v99, s1, v99, v20
	v_add_co_ci_u32_e64 v100, null, 0, v100, s1
	v_add_co_u32 v101, s1, s4, v101
	s_ashr_i32 s19, s8, 31
	v_add3_u32 v24, v24, v26, 0x8e40
	v_mul_lo_u32 v111, v27, s12
	v_lshl_add_u32 v26, v1, 7, 0x8a40
	s_and_b32 s10, vcc_lo, s0
	v_add_co_ci_u32_e64 v102, null, s5, v102, s1
	v_add_co_u32 v99, s1, s4, v99
	s_add_u32 s20, s4, s16
	s_addc_u32 s21, s5, s17
	v_add_co_ci_u32_e64 v100, null, s5, v100, s1
	v_add_co_u32 v101, s1, 0x80, v101
	v_mad_i64_i32 v[107:108], null, 0xd2, v105, s[20:21]
	v_lshlrev_b32_e32 v116, 4, v27
	v_add_nc_u32_e32 v27, v26, v20
	v_add_co_ci_u32_e64 v102, null, 0, v102, s1
	v_add_co_u32 v20, s1, v103, v20
	v_mad_i64_i32 v[109:110], null, 0xd2, v109, 0
	v_add_co_ci_u32_e64 v103, null, 0, v104, s1
	v_mad_i64_i32 v[111:112], null, 0xd2, v111, 0
	v_add_co_u32 v104, s1, s4, v20
	v_add_co_ci_u32_e64 v105, null, s5, v103, s1
	v_add_co_u32 v107, s1, 0xd0, v107
	v_add_co_ci_u32_e64 v108, null, 0, v108, s1
	;; [unrolled: 2-line block ×9, first 2 shown]
	v_add_co_u32 v111, s1, 0xc0, v106
	v_mov_b32_e32 v22, 0
	v_lshlrev_b32_e32 v1, 4, v1
	v_mul_u32_u24_e32 v31, 0x104, v0
	v_ashrrev_i32_e32 v40, 31, v39
	v_add_co_ci_u32_e64 v112, null, 0, v112, s1
	v_add_nc_u32_e32 v113, v113, v114
	v_add_nc_u32_e32 v114, v115, v116
	v_mov_b32_e32 v115, v0
	v_mov_b32_e32 v106, 0
	;; [unrolled: 1-line block ×4, first 2 shown]
	s_movk_i32 s4, 0x80
	s_branch .LBB216_6
.LBB216_4:                              ;   in Loop: Header=BB216_6 Depth=1
	s_or_b32 exec_lo, exec_lo, s5
	s_waitcnt lgkmcnt(0)
	s_barrier
	buffer_gl0_inv
	ds_read2_b32 v[116:117], v31 offset0:44 offset1:45
	ds_read_b128 v[127:130], v26 offset:48
	ds_read_b128 v[131:134], v26 offset:32
	ds_read2_b32 v[118:119], v31 offset0:36 offset1:37
	ds_read2_b32 v[120:121], v31 offset0:40 offset1:41
	ds_read_b128 v[135:138], v26 offset:16
	ds_read_b128 v[139:142], v26
	ds_read2_b32 v[122:123], v31 offset0:46 offset1:47
	ds_read2_b32 v[143:144], v31 offset0:42 offset1:43
	;; [unrolled: 1-line block ×5, first 2 shown]
	v_mov_b32_e32 v126, 0
	v_add_nc_u32_e32 v124, 0x2130, v31
	v_mov_b32_e32 v125, 0
	v_mov_b32_e32 v177, 0
	v_add_nc_u32_e32 v153, 0x2110, v31
	v_mov_b32_e32 v178, 0
	ds_read2_b32 v[151:152], v124 offset1:1
	v_add_nc_u32_e32 v124, 0x4198, v31
	v_add_nc_u32_e32 v165, 0x41b8, v31
	s_waitcnt lgkmcnt(11)
	v_dot4c_i32_i8 v126, v116, v127
	v_add_nc_u32_e32 v116, 0x2108, v31
	v_mov_b32_e32 v179, 0
	s_waitcnt lgkmcnt(8)
	v_dot4c_i32_i8 v125, v120, v131
	s_waitcnt lgkmcnt(7)
	v_dot4c_i32_i8 v177, v118, v135
	v_dot4c_i32_i8 v126, v117, v128
	v_add_nc_u32_e32 v117, 0x2100, v31
	v_add_nc_u32_e32 v118, 0x2138, v31
	v_dot4c_i32_i8 v125, v121, v132
	v_dot4c_i32_i8 v177, v119, v136
	s_waitcnt lgkmcnt(5)
	v_dot4c_i32_i8 v126, v122, v129
	ds_read2_b32 v[121:122], v153 offset1:1
	ds_read2_b32 v[153:154], v116 offset1:1
	;; [unrolled: 1-line block ×4, first 2 shown]
	v_mov_b32_e32 v116, 0
	s_waitcnt lgkmcnt(5)
	v_dot4c_i32_i8 v178, v149, v139
	v_add_nc_u32_e32 v119, 0x2128, v31
	v_dot4c_i32_i8 v126, v123, v130
	v_dot4c_i32_i8 v125, v143, v133
	s_waitcnt lgkmcnt(4)
	v_dot4c_i32_i8 v116, v151, v127
	v_dot4c_i32_i8 v178, v150, v140
	v_add_nc_u32_e32 v123, 0x2118, v31
	v_add_nc_u32_e32 v120, 0x2120, v31
	v_dot4c_i32_i8 v177, v145, v137
	v_dot4c_i32_i8 v116, v152, v128
	;; [unrolled: 1-line block ×3, first 2 shown]
	ds_read2_b32 v[149:150], v119 offset1:1
	ds_read2_b32 v[119:120], v120 offset1:1
	;; [unrolled: 1-line block ×3, first 2 shown]
	v_dot4c_i32_i8 v125, v144, v134
	ds_read2_b32 v[143:144], v123 offset1:1
	v_add_nc_u32_e32 v123, 0x41a8, v31
	v_add_nc_u32_e32 v124, 0x41a0, v31
	v_dot4c_i32_i8 v177, v146, v138
	v_dot4c_i32_i8 v178, v148, v142
	s_waitcnt lgkmcnt(4)
	v_dot4c_i32_i8 v116, v117, v129
	v_add_nc_u32_e32 v117, 0x41b0, v31
	ds_read2_b32 v[145:146], v117 offset1:1
	ds_read2_b32 v[147:148], v123 offset1:1
	;; [unrolled: 1-line block ×3, first 2 shown]
	v_dot4c_i32_i8 v116, v118, v130
	v_mov_b32_e32 v118, 0
	v_add_nc_u32_e32 v117, 0x4190, v31
	v_add_nc_u32_e32 v123, 0x4188, v31
	;; [unrolled: 1-line block ×3, first 2 shown]
	ds_read2_b32 v[159:160], v117 offset1:1
	ds_read2_b32 v[161:162], v123 offset1:1
	;; [unrolled: 1-line block ×4, first 2 shown]
	s_waitcnt lgkmcnt(9)
	v_dot4c_i32_i8 v118, v119, v131
	v_mov_b32_e32 v124, 0
	v_mov_b32_e32 v119, 0
	v_add_nc_u32_e32 v117, 0x6218, v31
	v_mov_b32_e32 v123, 0
	v_dot4c_i32_i8 v118, v120, v132
	v_dot4c_i32_i8 v124, v121, v135
	v_mov_b32_e32 v120, 0
	ds_read2_b32 v[167:168], v117 offset1:1
	ds_read_b32 v117, v38 offset:384
	v_mov_b32_e32 v121, 0
	s_waitcnt lgkmcnt(6)
	v_dot4c_i32_i8 v119, v151, v131
	v_dot4c_i32_i8 v124, v122, v136
	;; [unrolled: 1-line block ×3, first 2 shown]
	v_add_nc_u32_e32 v145, 0x6220, v31
	v_dot4c_i32_i8 v123, v155, v139
	v_dot4c_i32_i8 v119, v152, v132
	;; [unrolled: 1-line block ×3, first 2 shown]
	v_add_nc_u32_e32 v143, 0x6230, v31
	v_dot4c_i32_i8 v120, v146, v128
	s_waitcnt lgkmcnt(5)
	v_dot4c_i32_i8 v121, v159, v135
	v_dot4c_i32_i8 v119, v147, v133
	v_add_nc_u32_e32 v147, 0x6210, v31
	v_dot4c_i32_i8 v124, v144, v138
	v_mov_b32_e32 v122, 0
	v_dot4c_i32_i8 v118, v149, v133
	v_dot4c_i32_i8 v119, v148, v134
	ds_read2_b32 v[143:144], v143 offset1:1
	ds_read2_b32 v[145:146], v145 offset1:1
	;; [unrolled: 1-line block ×3, first 2 shown]
	v_dot4c_i32_i8 v123, v156, v140
	v_dot4c_i32_i8 v121, v160, v136
	s_waitcnt lgkmcnt(6)
	v_dot4c_i32_i8 v122, v163, v139
	v_add_nc_u32_e32 v149, 0x6208, v31
	v_mov_b32_e32 v180, 0
	v_mov_b32_e32 v181, 0
	v_dot4c_i32_i8 v118, v150, v134
	v_add_nc_u32_e32 v150, 0x6200, v31
	v_add_nc_u32_e32 v151, 0x6238, v31
	v_dot4c_i32_i8 v123, v153, v141
	s_waitcnt lgkmcnt(5)
	v_dot4c_i32_i8 v120, v165, v129
	v_dot4c_i32_i8 v121, v157, v137
	;; [unrolled: 1-line block ×3, first 2 shown]
	ds_read2_b32 v[155:156], v149 offset1:1
	ds_read2_b32 v[159:160], v150 offset1:1
	;; [unrolled: 1-line block ×3, first 2 shown]
	v_add_nc_u32_e32 v149, 0x6228, v31
	v_add_nc_u32_e32 v150, 0x6258, v31
	v_dot4c_i32_i8 v123, v154, v142
	s_waitcnt lgkmcnt(5)
	v_dot4c_i32_i8 v179, v143, v127
	s_waitcnt lgkmcnt(4)
	;; [unrolled: 2-line block ×3, first 2 shown]
	v_dot4c_i32_i8 v181, v147, v135
	v_dot4c_i32_i8 v120, v166, v130
	ds_read2_b32 v[165:166], v149 offset1:1
	ds_read2_b32 v[169:170], v150 offset1:1
	v_dot4c_i32_i8 v121, v158, v138
	v_dot4c_i32_i8 v179, v144, v128
	;; [unrolled: 1-line block ×4, first 2 shown]
	ds_read_b128 v[143:146], v26 offset:80
	ds_read_b128 v[147:150], v26 offset:64
	ds_read2_b32 v[131:132], v31 offset0:52 offset1:53
	ds_read_b128 v[151:154], v26 offset:112
	ds_read2_b32 v[135:136], v31 offset0:62 offset1:63
	ds_read2_b32 v[157:158], v31 offset0:60 offset1:61
	;; [unrolled: 1-line block ×5, first 2 shown]
	v_mov_b32_e32 v182, 0
	v_mov_b32_e32 v183, 0
	v_dot4c_i32_i8 v122, v161, v141
	v_dot4c_i32_i8 v181, v167, v137
	v_mov_b32_e32 v167, 0
	s_waitcnt lgkmcnt(12)
	v_dot4c_i32_i8 v182, v159, v139
	v_add_nc_u32_e32 v139, 0x6240, v31
	s_waitcnt lgkmcnt(11)
	v_dot4c_i32_i8 v179, v163, v129
	v_dot4c_i32_i8 v181, v168, v138
	v_mov_b32_e32 v168, 0
	v_dot4c_i32_i8 v182, v160, v140
	v_dot4c_i32_i8 v122, v162, v142
	;; [unrolled: 1-line block ×3, first 2 shown]
	s_waitcnt lgkmcnt(6)
	v_dot4c_i32_i8 v167, v131, v143
	v_add_nc_u32_e32 v131, 0x6250, v31
	v_dot4c_i32_i8 v180, v165, v133
	s_waitcnt lgkmcnt(3)
	v_dot4c_i32_i8 v168, v157, v151
	v_add_nc_u32_e32 v133, 0x6270, v31
	v_dot4c_i32_i8 v167, v132, v144
	ds_read2_b32 v[131:132], v131 offset1:1
	ds_read2_b32 v[139:140], v139 offset1:1
	v_dot4c_i32_i8 v168, v158, v152
	v_dot4c_i32_i8 v180, v166, v134
	;; [unrolled: 1-line block ×3, first 2 shown]
	s_waitcnt lgkmcnt(2)
	v_dot4c_i32_i8 v183, v175, v147
	v_add_nc_u32_e32 v157, 0x6278, v31
	v_dot4c_i32_i8 v168, v135, v153
	ds_read2_b32 v[134:135], v133 offset1:1
	v_add_nc_u32_e32 v133, 0x6248, v31
	ds_read_b128 v[127:130], v26 offset:96
	ds_read2_b32 v[137:138], v31 offset0:58 offset1:59
	v_dot4c_i32_i8 v182, v156, v142
	v_dot4c_i32_i8 v167, v171, v145
	v_dot4c_i32_i8 v183, v176, v148
	ds_read_b32 v171, v36 offset:256
	ds_read2_b32 v[141:142], v37 offset0:2 offset1:3
	ds_read2_b32 v[155:156], v133 offset1:1
	ds_read2_b32 v[157:158], v157 offset1:1
	v_mov_b32_e32 v165, 0
	v_add_nc_u32_e32 v159, 0x6260, v31
	v_dot4c_i32_i8 v167, v172, v146
	v_dot4c_i32_i8 v183, v173, v149
	v_mov_b32_e32 v173, 0
	s_waitcnt lgkmcnt(8)
	v_dot4c_i32_i8 v165, v131, v143
	v_mov_b32_e32 v172, 0
	ds_read2_b32 v[159:160], v159 offset1:1
	v_add_nc_u32_e32 v131, 0x6268, v31
	s_waitcnt lgkmcnt(8)
	v_dot4c_i32_i8 v173, v139, v147
	v_dot4c_i32_i8 v165, v132, v144
	v_add_nc_u32_e32 v133, 0x2158, v31
	s_waitcnt lgkmcnt(7)
	v_dot4c_i32_i8 v172, v134, v151
	ds_read2_b32 v[161:162], v131 offset1:1
	ds_read2_b32 v[163:164], v133 offset1:1
	v_dot4c_i32_i8 v173, v140, v148
	v_dot4c_i32_i8 v165, v169, v145
	;; [unrolled: 1-line block ×3, first 2 shown]
	s_waitcnt lgkmcnt(5)
	v_bfe_i32 v135, v141, 8, 8
	v_bfe_i32 v139, v142, 8, 8
	s_waitcnt lgkmcnt(4)
	v_dot4c_i32_i8 v173, v155, v149
	v_dot4c_i32_i8 v165, v170, v146
	ds_read_b128 v[131:134], v1 offset:36944
	v_mul_lo_u32 v135, v181, v135
	v_mov_b32_e32 v169, 0
	v_dot4c_i32_i8 v173, v156, v150
	ds_read2_b32 v[155:156], v30 offset0:2 offset1:3
	v_bfe_i32 v140, v141, 0, 8
	v_mul_lo_u32 v139, v165, v139
	s_waitcnt lgkmcnt(5)
	v_dot4c_i32_i8 v172, v157, v153
	s_waitcnt lgkmcnt(4)
	v_dot4c_i32_i8 v169, v159, v127
	v_bfe_i32 v157, v142, 0, 8
	v_mad_u64_u32 v[165:166], null, v182, v140, v[135:136]
	v_ashrrev_i32_e32 v135, 24, v141
	v_dot4c_i32_i8 v169, v160, v128
	ds_read2_b32 v[159:160], v31 offset0:56 offset1:57
	v_mad_u64_u32 v[139:140], null, v173, v157, v[139:140]
	v_mul_lo_u32 v135, v179, v135
	v_dot4c_i32_i8 v172, v158, v154
	v_cvt_f32_i32_e32 v140, v165
	v_ashrrev_i32_e32 v157, 24, v142
	v_bfe_i32 v141, v141, 16, 8
	s_waitcnt lgkmcnt(4)
	v_dot4c_i32_i8 v169, v161, v129
	v_cvt_f32_i32_e32 v158, v139
	s_waitcnt lgkmcnt(2)
	v_fma_f32 v170, v131, v140, 0
	v_mul_lo_u32 v139, v172, v157
	v_mad_u64_u32 v[140:141], null, v180, v141, v[135:136]
	s_waitcnt lgkmcnt(1)
	v_bfe_i32 v135, v155, 8, 8
	v_dot4c_i32_i8 v169, v162, v130
	v_bfe_i32 v141, v142, 16, 8
	v_mov_b32_e32 v161, 0
	v_bfe_i32 v157, v156, 8, 8
	v_mul_lo_u32 v135, v177, v135
	v_fma_f32 v172, v133, v158, 0
	v_mad_u64_u32 v[141:142], null, v169, v141, v[139:140]
	v_cvt_f32_i32_e32 v142, v140
	v_bfe_i32 v140, v155, 0, 8
	s_waitcnt lgkmcnt(0)
	v_dot4c_i32_i8 v161, v159, v127
	v_mul_lo_u32 v139, v167, v157
	v_dot4c_i32_i8 v168, v136, v154
	v_dot4c_i32_i8 v183, v174, v150
	v_mad_u64_u32 v[157:158], null, v178, v140, v[135:136]
	v_dot4c_i32_i8 v161, v160, v128
	v_cvt_f32_i32_e32 v135, v141
	v_ashrrev_i32_e32 v136, 24, v156
	v_bfe_i32 v159, v156, 0, 8
	v_bfe_i32 v156, v156, 16, 8
	v_dot4c_i32_i8 v161, v137, v129
	v_fmac_f32_e32 v172, v134, v135
	v_cvt_f32_i32_e32 v135, v157
	v_add_nc_u32_e32 v137, 0x2150, v31
	v_mad_u64_u32 v[139:140], null, v183, v159, v[139:140]
	v_dot4c_i32_i8 v161, v138, v130
	v_fma_f32 v173, v131, v135, 0
	v_mul_lo_u32 v135, v168, v136
	ds_read2_b32 v[136:137], v137 offset1:1
	v_ashrrev_i32_e32 v138, 24, v155
	v_bfe_i32 v157, v155, 16, 8
	v_fmac_f32_e32 v170, v132, v142
	v_cvt_f32_i32_e32 v142, v139
	v_add_nc_u32_e32 v139, 0x2148, v31
	v_mul_lo_u32 v126, v126, v138
	v_add_nc_u32_e32 v140, 0x2140, v31
	ds_read2_b32 v[138:139], v139 offset1:1
	ds_read2_b32 v[140:141], v140 offset1:1
	v_mov_b32_e32 v162, 0
	v_mov_b32_e32 v165, 0
	v_mad_u64_u32 v[125:126], null, v125, v157, v[126:127]
	v_add_nc_u32_e32 v126, 0x2178, v31
	v_fma_f32 v142, v133, v142, 0
	v_mov_b32_e32 v176, 0
	v_mov_b32_e32 v177, 0
	s_waitcnt lgkmcnt(2)
	v_mad_u64_u32 v[155:156], null, v161, v156, v[135:136]
	ds_read_b32 v174, v32
	ds_read_b32 v175, v34 offset:128
	ds_read2_b32 v[156:157], v35 offset0:2 offset1:3
	ds_read2_b32 v[158:159], v33 offset0:2 offset1:3
	ds_read2_b32 v[160:161], v126 offset1:1
	v_add_nc_u32_e32 v135, 0x2170, v31
	v_dot4c_i32_i8 v162, v136, v143
	v_add_nc_u32_e32 v126, 0x2160, v31
	v_add_nc_u32_e32 v166, 0x41c8, v31
	;; [unrolled: 1-line block ×3, first 2 shown]
	ds_read2_b32 v[135:136], v135 offset1:1
	v_dot4c_i32_i8 v162, v137, v144
	v_cvt_f32_i32_e32 v137, v155
	v_cvt_f32_i32_e32 v155, v125
	ds_read2_b32 v[125:126], v126 offset1:1
	s_waitcnt lgkmcnt(7)
	v_dot4c_i32_i8 v165, v140, v147
	v_dot4c_i32_i8 v162, v163, v145
	v_fmac_f32_e32 v142, v134, v137
	v_add_nc_u32_e32 v137, 0x2168, v31
	v_add_nc_u32_e32 v140, 0x41d8, v31
	v_dot4c_i32_i8 v165, v141, v148
	v_dot4c_i32_i8 v162, v164, v146
	v_fmac_f32_e32 v173, v132, v155
	s_waitcnt lgkmcnt(3)
	v_bfe_i32 v163, v158, 8, 8
	v_bfe_i32 v164, v159, 8, 8
	v_dot4c_i32_i8 v165, v138, v149
	ds_read2_b32 v[137:138], v137 offset1:1
	ds_read2_b32 v[140:141], v140 offset1:1
	v_add_nc_u32_e32 v155, 0x41e0, v31
	v_mul_lo_u32 v124, v124, v163
	v_mov_b32_e32 v178, 0
	s_waitcnt lgkmcnt(3)
	v_dot4c_i32_i8 v176, v135, v151
	v_mul_lo_u32 v135, v162, v164
	v_bfe_i32 v162, v158, 0, 8
	v_dot4c_i32_i8 v165, v139, v150
	v_bfe_i32 v139, v159, 0, 8
	s_waitcnt lgkmcnt(2)
	v_dot4c_i32_i8 v177, v125, v127
	v_dot4c_i32_i8 v176, v136, v152
	v_mad_u64_u32 v[123:124], null, v123, v162, v[124:125]
	v_add_nc_u32_e32 v124, 0x41d0, v31
	v_add_nc_u32_e32 v125, 0x41f0, v31
	v_mad_u64_u32 v[135:136], null, v165, v139, v[135:136]
	v_dot4c_i32_i8 v177, v126, v128
	v_dot4c_i32_i8 v176, v160, v153
	v_cvt_f32_i32_e32 v139, v123
	ds_read2_b32 v[123:124], v124 offset1:1
	ds_read2_b32 v[125:126], v125 offset1:1
	v_add_nc_u32_e32 v160, 0x41c0, v31
	s_waitcnt lgkmcnt(3)
	v_dot4c_i32_i8 v177, v137, v129
	v_cvt_f32_i32_e32 v137, v135
	v_add_nc_u32_e32 v135, 0x41e8, v31
	ds_read2_b32 v[135:136], v135 offset1:1
	ds_read2_b32 v[162:163], v155 offset1:1
	;; [unrolled: 1-line block ×5, first 2 shown]
	v_dot4c_i32_i8 v177, v138, v130
	v_fma_f32 v138, v131, v139, 0
	v_mov_b32_e32 v139, 0
	v_bfe_i32 v155, v158, 16, 8
	v_ashrrev_i32_e32 v158, 24, v158
	v_dot4c_i32_i8 v176, v161, v154
	v_mov_b32_e32 v161, 0
	v_bfe_i32 v160, v159, 16, 8
	v_ashrrev_i32_e32 v159, 24, v159
	v_mul_lo_u32 v116, v116, v158
	s_waitcnt lgkmcnt(5)
	v_dot4c_i32_i8 v139, v125, v151
	v_mov_b32_e32 v151, 0
	v_fma_f32 v137, v133, v137, 0
	v_fmac_f32_e32 v22, v174, v173
	v_fmac_f32_e32 v20, v117, v170
	v_dot4c_i32_i8 v139, v126, v152
	v_dot4c_i32_i8 v151, v123, v143
	s_waitcnt lgkmcnt(2)
	v_dot4c_i32_i8 v178, v164, v147
	v_dot4c_i32_i8 v161, v162, v127
	v_ashrrev_i32_e32 v127, 24, v157
	s_waitcnt lgkmcnt(0)
	v_dot4c_i32_i8 v139, v168, v153
	v_dot4c_i32_i8 v151, v124, v144
	v_mad_u64_u32 v[124:125], null, v118, v155, v[116:117]
	v_bfe_i32 v116, v156, 8, 8
	v_dot4c_i32_i8 v178, v165, v148
	v_dot4c_i32_i8 v151, v140, v145
	v_bfe_i32 v118, v157, 8, 8
	v_bfe_i32 v125, v156, 0, 8
	v_mul_lo_u32 v116, v121, v116
	v_ashrrev_i32_e32 v121, 24, v156
	v_dot4c_i32_i8 v151, v141, v146
	v_dot4c_i32_i8 v178, v166, v149
	;; [unrolled: 1-line block ×4, first 2 shown]
	v_mul_lo_u32 v120, v120, v121
	v_mul_lo_u32 v118, v151, v118
	v_mad_u64_u32 v[121:122], null, v122, v125, v[116:117]
	v_dot4c_i32_i8 v178, v167, v150
	v_bfe_i32 v126, v157, 0, 8
	v_dot4c_i32_i8 v161, v135, v129
	v_bfe_i32 v122, v156, 16, 8
	v_mul_lo_u32 v123, v176, v159
	v_mul_lo_u32 v116, v139, v127
	v_mad_u64_u32 v[125:126], null, v178, v126, v[118:119]
	v_dot4c_i32_i8 v161, v136, v130
	v_bfe_i32 v126, v157, 16, 8
	v_mad_u64_u32 v[118:119], null, v119, v122, v[120:121]
	v_cvt_f32_i32_e32 v122, v121
	v_mad_u64_u32 v[119:120], null, v177, v160, v[123:124]
	v_mad_u64_u32 v[120:121], null, v161, v126, v[116:117]
	v_cvt_f32_i32_e32 v116, v124
	v_cvt_f32_i32_e32 v121, v125
	v_fma_f32 v122, v131, v122, 0
	v_cvt_f32_i32_e32 v118, v118
	v_cvt_f32_i32_e32 v119, v119
	v_fmac_f32_e32 v138, v132, v116
	v_fma_f32 v116, v133, v121, 0
	v_cvt_f32_i32_e32 v120, v120
	v_fmac_f32_e32 v122, v132, v118
	v_fmac_f32_e32 v137, v134, v119
	;; [unrolled: 1-line block ×8, first 2 shown]
	s_barrier
	v_fmac_f32_e32 v103, v171, v116
	buffer_gl0_inv
.LBB216_5:                              ;   in Loop: Header=BB216_6 Depth=1
	v_add_co_u32 v41, s1, 0xd2, v41
	v_add_co_ci_u32_e64 v42, null, 0, v42, s1
	v_add_co_u32 v43, s1, 0xd2, v43
	v_add_co_ci_u32_e64 v44, null, 0, v44, s1
	;; [unrolled: 2-line block ×34, first 2 shown]
	v_add_co_u32 v111, s1, 0xd2, v111
	v_add_nc_u32_e32 v29, 8, v29
	v_add_nc_u32_e32 v28, 8, v28
	;; [unrolled: 1-line block ×3, first 2 shown]
	v_add_co_ci_u32_e64 v112, null, 0, v112, s1
	s_add_i32 s12, s12, -1
	s_addk_i32 s4, 0x100
	s_cmp_eq_u32 s12, 0
	s_cbranch_scc1 .LBB216_17
.LBB216_6:                              ; =>This Inner Loop Header: Depth=1
	v_add_co_u32 v116, s1, v43, s8
	v_add_co_ci_u32_e64 v117, null, s19, v44, s1
	global_load_dword v134, v[116:117], off
	v_add_co_u32 v116, s1, v41, s8
	v_add_co_ci_u32_e64 v117, null, s19, v42, s1
	v_add_co_u32 v118, s1, v47, s8
	v_add_co_ci_u32_e64 v119, null, s19, v48, s1
	;; [unrolled: 2-line block ×5, first 2 shown]
	global_load_dword v138, v[116:117], off
	global_load_dword v136, v[118:119], off
	;; [unrolled: 1-line block ×5, first 2 shown]
	v_add_co_u32 v116, s1, v55, s8
	v_add_co_ci_u32_e64 v117, null, s19, v56, s1
	v_add_co_u32 v118, s1, v53, s8
	v_add_co_ci_u32_e64 v119, null, s19, v54, s1
	;; [unrolled: 2-line block ×5, first 2 shown]
	global_load_dword v142, v[116:117], off
	global_load_dword v143, v[118:119], off
	global_load_dword v140, v[120:121], off
	global_load_dword v141, v[122:123], off
	global_load_dword v144, v[124:125], off
	v_add_co_u32 v116, s1, v61, s8
	v_add_co_ci_u32_e64 v117, null, s19, v62, s1
	v_add_co_u32 v118, s1, v67, s8
	v_add_co_ci_u32_e64 v119, null, s19, v68, s1
	;; [unrolled: 2-line block ×3, first 2 shown]
	global_load_dword v165, v[116:117], off
	global_load_dword v166, v[118:119], off
	;; [unrolled: 1-line block ×3, first 2 shown]
	v_add_co_u32 v116, s1, v69, s8
	v_add_co_ci_u32_e64 v117, null, s19, v70, s1
	v_add_co_u32 v118, s1, v71, s8
	v_add_co_ci_u32_e64 v119, null, s19, v72, s1
	global_load_dword v117, v[116:117], off
	global_load_dword v116, v[118:119], off
	v_add_co_u32 v118, s1, v75, s8
	v_add_co_ci_u32_e64 v119, null, s19, v76, s1
	v_add_co_u32 v120, s1, v73, s8
	v_add_co_ci_u32_e64 v121, null, s19, v74, s1
	global_load_dword v122, v[118:119], off
	v_add_co_u32 v123, s1, v79, s8
	global_load_dword v120, v[120:121], off
	v_add_co_ci_u32_e64 v124, null, s19, v80, s1
	v_add_co_u32 v125, s1, v77, s8
	v_add_co_ci_u32_e64 v126, null, s19, v78, s1
	v_add_co_u32 v127, s1, v83, s8
	;; [unrolled: 2-line block ×5, first 2 shown]
	global_load_dword v133, v[125:126], off
	v_add_co_ci_u32_e64 v150, null, s19, v86, s1
	v_add_co_u32 v151, s1, v91, s8
	v_add_co_ci_u32_e64 v152, null, s19, v92, s1
	v_add_co_u32 v118, s1, v89, s8
	;; [unrolled: 2-line block ×8, first 2 shown]
	v_add_co_ci_u32_e64 v164, null, s19, v102, s1
	global_load_dword v132, v[123:124], off
	global_load_dword v130, v[127:128], off
	;; [unrolled: 1-line block ×13, first 2 shown]
	s_waitcnt vmcnt(31)
	v_and_b32_e32 v145, 0xf0f0f0f, v134
	v_lshrrev_b32_e32 v134, 4, v134
	v_and_b32_e32 v134, 0xf0f0f0f, v134
	s_waitcnt vmcnt(30)
	v_ashrrev_i32_e32 v138, v23, v138
	s_waitcnt vmcnt(29)
	v_and_b32_e32 v146, 0xf0f0f0f, v136
	v_lshrrev_b32_e32 v136, 4, v136
	s_waitcnt vmcnt(28)
	v_ashrrev_i32_e32 v137, v23, v137
	s_waitcnt vmcnt(27)
	v_and_b32_e32 v147, 0xf0f0f0f, v135
	v_lshrrev_b32_e32 v135, 4, v135
	s_waitcnt vmcnt(26)
	v_ashrrev_i32_e32 v139, v23, v139
	v_lshlrev_b32_e32 v155, 4, v138
	v_and_b32_e32 v136, 0xf0f0f0f, v136
	v_lshlrev_b32_e32 v156, 4, v137
	v_and_b32_e32 v135, 0xf0f0f0f, v135
	v_lshlrev_b32_e32 v157, 4, v139
	v_and_or_b32 v145, 0x30303030, v155, v145
	v_and_or_b32 v134, 0x30303030, v138, v134
	;; [unrolled: 1-line block ×6, first 2 shown]
	v_lshrrev_b32_e32 v147, 16, v145
	v_lshrrev_b32_e32 v155, 16, v136
	s_waitcnt vmcnt(25)
	v_and_b32_e32 v148, 0xf0f0f0f, v142
	v_lshrrev_b32_e32 v142, 4, v142
	s_waitcnt vmcnt(24)
	v_ashrrev_i32_e32 v143, v23, v143
	s_waitcnt vmcnt(22)
	v_ashrrev_i32_e32 v141, v23, v141
	v_and_b32_e32 v149, 0xf0f0f0f, v140
	v_lshrrev_b32_e32 v140, 4, v140
	s_waitcnt vmcnt(21)
	v_and_b32_e32 v150, 0xf0f0f0f, v144
	v_lshrrev_b32_e32 v144, 4, v144
	v_and_b32_e32 v142, 0xf0f0f0f, v142
	v_lshlrev_b32_e32 v158, 4, v143
	v_lshlrev_b32_e32 v159, 4, v141
	v_and_b32_e32 v140, 0xf0f0f0f, v140
	v_and_b32_e32 v144, 0xf0f0f0f, v144
	v_and_or_b32 v142, 0x30303030, v143, v142
	v_and_or_b32 v139, 0x30303030, v158, v148
	;; [unrolled: 1-line block ×3, first 2 shown]
	s_waitcnt vmcnt(20)
	v_ashrrev_i32_e32 v151, v23, v165
	s_waitcnt vmcnt(19)
	v_and_b32_e32 v152, 0xf0f0f0f, v166
	s_waitcnt vmcnt(18)
	v_ashrrev_i32_e32 v154, v23, v167
	v_and_b32_e32 v148, 0x3f00, v145
	v_lshlrev_b16 v145, 8, v145
	v_lshlrev_b32_e32 v160, 4, v151
	v_lshrrev_b32_e32 v149, 16, v134
	v_lshlrev_b32_e32 v161, 4, v154
	v_and_or_b32 v140, 0x30303030, v141, v140
	v_and_or_b32 v144, 0x30303030, v151, v144
	;; [unrolled: 1-line block ×3, first 2 shown]
	v_and_b32_e32 v150, 0x3f00, v134
	v_lshlrev_b16 v134, 8, v134
	v_lshrrev_b32_e32 v151, 16, v138
	v_and_or_b32 v146, 0x30303030, v161, v152
	v_and_b32_e32 v152, 0x3f00, v138
	v_lshlrev_b16 v138, 8, v138
	v_lshrrev_b32_e32 v157, 16, v137
	v_lshrrev_b32_e32 v159, 16, v135
	v_and_b32_e32 v156, 0x3f00, v136
	v_lshlrev_b16 v136, 8, v136
	v_lshrrev_b32_e32 v161, 16, v139
	v_lshrrev_b32_e32 v163, 16, v142
	v_add_nc_u16 v145, 0xe000, v145
	v_and_b32_e32 v175, 0x3f00, v147
	v_lshlrev_b16 v147, 8, v147
	v_and_b32_e32 v176, 0x3f00, v149
	v_lshlrev_b16 v149, 8, v149
	v_and_b32_e32 v158, 0x3f00, v137
	v_lshlrev_b16 v137, 8, v137
	v_lshrrev_b32_e32 v165, 16, v143
	v_lshrrev_b32_e32 v167, 16, v140
	v_add_nc_u16 v134, 0xe000, v134
	v_and_b32_e32 v177, 0x3f00, v151
	v_lshlrev_b16 v151, 8, v151
	v_and_b32_e32 v178, 0x3f00, v155
	v_lshlrev_b16 v155, 8, v155
	;; [unrolled: 9-line block ×3, first 2 shown]
	v_add_nc_u16 v136, 0xe000, v136
	v_and_b32_e32 v181, 0x3f00, v161
	v_lshlrev_b16 v161, 8, v161
	v_and_b32_e32 v182, 0x3f00, v163
	v_lshlrev_b16 v163, 8, v163
	v_or_b32_sdwa v145, v148, v145 dst_sel:DWORD dst_unused:UNUSED_PAD src0_sel:DWORD src1_sel:BYTE_1
	v_add_nc_u16 v147, 0xe000, v147
	v_add_nc_u16 v148, 0xe000, v149
	;; [unrolled: 1-line block ×3, first 2 shown]
	v_and_b32_e32 v183, 0x3f00, v165
	v_lshlrev_b16 v165, 8, v165
	v_lshlrev_b16 v184, 8, v167
	v_or_b32_sdwa v134, v150, v134 dst_sel:DWORD dst_unused:UNUSED_PAD src0_sel:DWORD src1_sel:BYTE_1
	v_add_nc_u16 v149, 0xe000, v151
	v_add_nc_u16 v150, 0xe000, v155
	;; [unrolled: 1-line block ×3, first 2 shown]
	v_and_b32_e32 v185, 0x3f00, v169
	v_lshlrev_b16 v169, 8, v169
	v_and_b32_e32 v186, 0x3f00, v171
	v_lshlrev_b16 v171, 8, v171
	v_or_b32_sdwa v138, v152, v138 dst_sel:DWORD dst_unused:UNUSED_PAD src0_sel:DWORD src1_sel:BYTE_1
	v_add_nc_u16 v151, 0xe000, v157
	v_add_nc_u16 v152, 0xe000, v159
	v_and_b32_e32 v162, 0x3f00, v139
	v_lshlrev_b16 v139, 8, v139
	v_and_b32_e32 v164, 0x3f00, v142
	v_lshlrev_b16 v142, 8, v142
	v_or_b32_sdwa v136, v156, v136 dst_sel:DWORD dst_unused:UNUSED_PAD src0_sel:DWORD src1_sel:BYTE_1
	v_add_nc_u16 v155, 0xe000, v161
	v_add_nc_u16 v156, 0xe000, v163
	v_or_b32_sdwa v147, v175, v147 dst_sel:DWORD dst_unused:UNUSED_PAD src0_sel:DWORD src1_sel:BYTE_1
	v_or_b32_sdwa v148, v176, v148 dst_sel:DWORD dst_unused:UNUSED_PAD src0_sel:DWORD src1_sel:BYTE_1
	v_lshrrev_b32_e32 v153, 4, v166
	v_and_b32_e32 v166, 0x3f00, v143
	v_lshlrev_b16 v143, 8, v143
	v_and_b32_e32 v168, 0x3f00, v140
	v_lshlrev_b16 v140, 8, v140
	v_and_b32_e32 v167, 0x3f00, v167
	v_or_b32_sdwa v137, v158, v137 dst_sel:DWORD dst_unused:UNUSED_PAD src0_sel:DWORD src1_sel:BYTE_1
	v_add_nc_u16 v157, 0xe000, v165
	v_add_nc_u16 v158, 0xe000, v184
	v_or_b32_sdwa v149, v177, v149 dst_sel:DWORD dst_unused:UNUSED_PAD src0_sel:DWORD src1_sel:BYTE_1
	v_or_b32_sdwa v150, v178, v150 dst_sel:DWORD dst_unused:UNUSED_PAD src0_sel:DWORD src1_sel:BYTE_1
	v_and_b32_e32 v170, 0x3f00, v141
	v_lshlrev_b16 v141, 8, v141
	v_and_b32_e32 v172, 0x3f00, v144
	v_lshlrev_b16 v144, 8, v144
	v_or_b32_sdwa v135, v160, v135 dst_sel:DWORD dst_unused:UNUSED_PAD src0_sel:DWORD src1_sel:BYTE_1
	v_add_nc_u16 v159, 0xe000, v169
	v_add_nc_u16 v160, 0xe000, v171
	v_or_b32_sdwa v151, v179, v151 dst_sel:DWORD dst_unused:UNUSED_PAD src0_sel:DWORD src1_sel:BYTE_1
	v_or_b32_sdwa v152, v180, v152 dst_sel:DWORD dst_unused:UNUSED_PAD src0_sel:DWORD src1_sel:BYTE_1
	v_add_nc_u16 v139, 0xe000, v139
	v_add_nc_u16 v142, 0xe000, v142
	v_or_b32_sdwa v155, v181, v155 dst_sel:DWORD dst_unused:UNUSED_PAD src0_sel:DWORD src1_sel:BYTE_1
	v_or_b32_sdwa v156, v182, v156 dst_sel:DWORD dst_unused:UNUSED_PAD src0_sel:DWORD src1_sel:BYTE_1
	v_add_nc_u16 v147, 0xe000, v147
	v_add_nc_u16 v148, 0xe000, v148
	v_add_nc_u16 v143, 0xe000, v143
	v_add_nc_u16 v140, 0xe000, v140
	v_or_b32_sdwa v157, v183, v157 dst_sel:DWORD dst_unused:UNUSED_PAD src0_sel:DWORD src1_sel:BYTE_1
	v_or_b32_sdwa v158, v167, v158 dst_sel:DWORD dst_unused:UNUSED_PAD src0_sel:DWORD src1_sel:BYTE_1
	v_add_nc_u16 v149, 0xe000, v149
	v_add_nc_u16 v150, 0xe000, v150
	;; [unrolled: 6-line block ×3, first 2 shown]
	v_or_b32_sdwa v139, v162, v139 dst_sel:DWORD dst_unused:UNUSED_PAD src0_sel:DWORD src1_sel:BYTE_1
	v_or_b32_sdwa v142, v164, v142 dst_sel:DWORD dst_unused:UNUSED_PAD src0_sel:DWORD src1_sel:BYTE_1
	v_add_nc_u16 v155, 0xe000, v155
	v_add_nc_u16 v156, 0xe000, v156
	v_add_nc_u16 v145, 0xe000, v145
	v_add_nc_u16 v134, 0xe000, v134
	v_lshlrev_b32_e32 v147, 16, v147
	v_lshlrev_b32_e32 v148, 16, v148
	v_or_b32_sdwa v143, v166, v143 dst_sel:DWORD dst_unused:UNUSED_PAD src0_sel:DWORD src1_sel:BYTE_1
	v_or_b32_sdwa v140, v168, v140 dst_sel:DWORD dst_unused:UNUSED_PAD src0_sel:DWORD src1_sel:BYTE_1
	v_add_nc_u16 v138, 0xe000, v138
	v_add_nc_u16 v136, 0xe000, v136
	v_add_nc_u16 v157, 0xe000, v157
	v_add_nc_u16 v158, 0xe000, v158
	v_lshlrev_b32_e32 v149, 16, v149
	v_lshlrev_b32_e32 v150, 16, v150
	;; [unrolled: 8-line block ×3, first 2 shown]
	v_add_nc_u16 v139, 0xe000, v139
	v_add_nc_u16 v142, 0xe000, v142
	v_lshlrev_b32_e32 v155, 16, v155
	v_lshlrev_b32_e32 v156, 16, v156
	v_or_b32_sdwa v145, v145, v147 dst_sel:DWORD dst_unused:UNUSED_PAD src0_sel:WORD_0 src1_sel:DWORD
	v_or_b32_sdwa v134, v134, v148 dst_sel:DWORD dst_unused:UNUSED_PAD src0_sel:WORD_0 src1_sel:DWORD
	v_and_b32_e32 v153, 0xf0f0f0f, v153
	v_add_nc_u16 v143, 0xe000, v143
	v_add_nc_u16 v140, 0xe000, v140
	v_lshlrev_b32_e32 v157, 16, v157
	v_lshlrev_b32_e32 v158, 16, v158
	v_or_b32_sdwa v138, v138, v149 dst_sel:DWORD dst_unused:UNUSED_PAD src0_sel:WORD_0 src1_sel:DWORD
	v_or_b32_sdwa v136, v136, v150 dst_sel:DWORD dst_unused:UNUSED_PAD src0_sel:WORD_0 src1_sel:DWORD
	v_add_nc_u16 v141, 0xe000, v141
	v_add_nc_u16 v144, 0xe000, v144
	v_lshlrev_b32_e32 v159, 16, v159
	v_lshlrev_b32_e32 v160, 16, v160
	v_or_b32_sdwa v137, v137, v151 dst_sel:DWORD dst_unused:UNUSED_PAD src0_sel:WORD_0 src1_sel:DWORD
	v_or_b32_sdwa v135, v135, v152 dst_sel:DWORD dst_unused:UNUSED_PAD src0_sel:WORD_0 src1_sel:DWORD
	;; [unrolled: 1-line block ×4, first 2 shown]
	ds_write2_b32 v2, v145, v134 offset1:16
	ds_write2_b32 v3, v138, v136 offset1:16
	;; [unrolled: 1-line block ×4, first 2 shown]
	v_add_co_u32 v134, s1, v107, s8
	v_or_b32_sdwa v143, v143, v157 dst_sel:DWORD dst_unused:UNUSED_PAD src0_sel:WORD_0 src1_sel:DWORD
	v_or_b32_sdwa v140, v140, v158 dst_sel:DWORD dst_unused:UNUSED_PAD src0_sel:WORD_0 src1_sel:DWORD
	v_and_or_b32 v136, 0x30303030, v154, v153
	v_or_b32_sdwa v141, v141, v159 dst_sel:DWORD dst_unused:UNUSED_PAD src0_sel:WORD_0 src1_sel:DWORD
	v_or_b32_sdwa v144, v144, v160 dst_sel:DWORD dst_unused:UNUSED_PAD src0_sel:WORD_0 src1_sel:DWORD
	v_add_co_ci_u32_e64 v135, null, s19, v108, s1
	ds_write2_b32 v6, v143, v140 offset1:16
	ds_write2_b32 v7, v141, v144 offset1:16
	v_lshlrev_b16 v137, 8, v136
	global_load_ushort v144, v[134:135], off
	v_add_co_u32 v134, s1, v109, s8
	v_lshrrev_b32_e32 v140, 16, v136
	v_and_b32_e32 v141, 0x3f00, v136
	v_add_co_ci_u32_e64 v135, null, s19, v110, s1
	v_add_co_u32 v136, s1, v111, s8
	v_add_nc_u16 v142, 0xe000, v137
	v_add_co_ci_u32_e64 v137, null, s19, v112, s1
	global_load_dword v134, v[134:135], off
	global_load_dword v135, v[136:137], off
	v_lshrrev_b32_e32 v173, 16, v146
	v_and_b32_e32 v174, 0x3f00, v146
	v_lshlrev_b16 v146, 8, v146
	s_waitcnt vmcnt(20)
	v_ashrrev_i32_e32 v117, v23, v117
	v_lshlrev_b16 v143, 8, v140
	v_lshlrev_b16 v187, 8, v173
	v_and_b32_e32 v173, 0x3f00, v173
	v_add_nc_u16 v146, 0xe000, v146
	s_waitcnt vmcnt(19)
	v_and_b32_e32 v145, 0xf0f0f0f, v116
	v_and_b32_e32 v140, 0x3f00, v140
	v_add_nc_u16 v161, 0xe000, v187
	v_add_nc_u16 v136, 0xe000, v143
	v_or_b32_sdwa v138, v174, v146 dst_sel:DWORD dst_unused:UNUSED_PAD src0_sel:DWORD src1_sel:BYTE_1
	v_lshlrev_b32_e32 v146, 4, v117
	v_lshrrev_b32_e32 v116, 4, v116
	v_or_b32_sdwa v161, v173, v161 dst_sel:DWORD dst_unused:UNUSED_PAD src0_sel:DWORD src1_sel:BYTE_1
	v_or_b32_sdwa v141, v141, v142 dst_sel:DWORD dst_unused:UNUSED_PAD src0_sel:DWORD src1_sel:BYTE_1
	;; [unrolled: 1-line block ×3, first 2 shown]
	v_and_or_b32 v137, 0x30303030, v146, v145
	v_and_b32_e32 v116, 0xf0f0f0f, v116
	v_add_nc_u16 v139, 0xe000, v161
	v_add_nc_u16 v138, 0xe000, v138
	;; [unrolled: 1-line block ×3, first 2 shown]
	v_lshlrev_b16 v142, 8, v137
	v_lshrrev_b32_e32 v140, 16, v137
	v_lshlrev_b32_e32 v139, 16, v139
	v_and_b32_e32 v137, 0x3f00, v137
	v_and_or_b32 v116, 0x30303030, v117, v116
	v_add_nc_u16 v142, 0xe000, v142
	v_add_nc_u16 v141, 0xe000, v141
	v_lshlrev_b16 v143, 8, v140
	v_lshlrev_b32_e32 v117, 16, v136
	v_and_b32_e32 v140, 0x3f00, v140
	v_or_b32_sdwa v136, v137, v142 dst_sel:DWORD dst_unused:UNUSED_PAD src0_sel:DWORD src1_sel:BYTE_1
	v_or_b32_sdwa v137, v138, v139 dst_sel:DWORD dst_unused:UNUSED_PAD src0_sel:WORD_0 src1_sel:DWORD
	v_lshrrev_b32_e32 v139, 16, v116
	v_add_nc_u16 v143, 0xe000, v143
	v_or_b32_sdwa v117, v141, v117 dst_sel:DWORD dst_unused:UNUSED_PAD src0_sel:WORD_0 src1_sel:DWORD
	s_waitcnt vmcnt(17)
	v_ashrrev_i32_e32 v120, v23, v120
	v_and_b32_e32 v142, 0xf0f0f0f, v122
	v_lshlrev_b16 v141, 8, v139
	v_or_b32_sdwa v138, v140, v143 dst_sel:DWORD dst_unused:UNUSED_PAD src0_sel:DWORD src1_sel:BYTE_1
	v_lshlrev_b16 v140, 8, v116
	v_and_b32_e32 v139, 0x3f00, v139
	v_and_b32_e32 v116, 0x3f00, v116
	v_add_nc_u16 v141, 0xe000, v141
	v_add_nc_u16 v138, 0xe000, v138
	;; [unrolled: 1-line block ×3, first 2 shown]
	v_lshlrev_b32_e32 v143, 4, v120
	ds_write2_b32 v8, v137, v117 offset1:16
	v_or_b32_sdwa v117, v139, v141 dst_sel:DWORD dst_unused:UNUSED_PAD src0_sel:DWORD src1_sel:BYTE_1
	v_add_nc_u16 v136, 0xe000, v136
	v_lshlrev_b32_e32 v138, 16, v138
	v_or_b32_sdwa v116, v116, v140 dst_sel:DWORD dst_unused:UNUSED_PAD src0_sel:DWORD src1_sel:BYTE_1
	v_and_or_b32 v137, 0x30303030, v143, v142
	v_lshrrev_b32_e32 v122, 4, v122
	v_add_nc_u16 v117, 0xe000, v117
	v_or_b32_sdwa v136, v136, v138 dst_sel:DWORD dst_unused:UNUSED_PAD src0_sel:WORD_0 src1_sel:DWORD
	v_add_nc_u16 v116, 0xe000, v116
	v_lshrrev_b32_e32 v138, 16, v137
	v_lshlrev_b16 v139, 8, v137
	v_and_b32_e32 v122, 0xf0f0f0f, v122
	v_lshlrev_b32_e32 v117, 16, v117
	v_and_b32_e32 v137, 0x3f00, v137
	v_lshlrev_b16 v140, 8, v138
	v_add_nc_u16 v139, 0xe000, v139
	v_and_or_b32 v120, 0x30303030, v120, v122
	v_or_b32_sdwa v116, v116, v117 dst_sel:DWORD dst_unused:UNUSED_PAD src0_sel:WORD_0 src1_sel:DWORD
	v_and_b32_e32 v117, 0x3f00, v138
	v_add_nc_u16 v122, 0xe000, v140
	v_or_b32_sdwa v137, v137, v139 dst_sel:DWORD dst_unused:UNUSED_PAD src0_sel:DWORD src1_sel:BYTE_1
	v_lshrrev_b32_e32 v138, 16, v120
	ds_write2_b32 v9, v136, v116 offset1:16
	s_waitcnt vmcnt(16)
	v_ashrrev_i32_e32 v116, v23, v133
	v_or_b32_sdwa v117, v117, v122 dst_sel:DWORD dst_unused:UNUSED_PAD src0_sel:DWORD src1_sel:BYTE_1
	v_add_nc_u16 v122, 0xe000, v137
	v_lshlrev_b16 v133, 8, v138
	s_waitcnt vmcnt(15)
	v_and_b32_e32 v136, 0xf0f0f0f, v132
	v_lshlrev_b32_e32 v137, 4, v116
	v_lshlrev_b16 v139, 8, v120
	v_and_b32_e32 v138, 0x3f00, v138
	v_add_nc_u16 v133, 0xe000, v133
	v_and_b32_e32 v120, 0x3f00, v120
	v_and_or_b32 v136, 0x30303030, v137, v136
	v_add_nc_u16 v137, 0xe000, v139
	v_lshrrev_b32_e32 v132, 4, v132
	v_or_b32_sdwa v133, v138, v133 dst_sel:DWORD dst_unused:UNUSED_PAD src0_sel:DWORD src1_sel:BYTE_1
	v_add_nc_u16 v117, 0xe000, v117
	v_lshrrev_b32_e32 v138, 16, v136
	v_or_b32_sdwa v120, v120, v137 dst_sel:DWORD dst_unused:UNUSED_PAD src0_sel:DWORD src1_sel:BYTE_1
	v_lshlrev_b16 v137, 8, v136
	v_and_b32_e32 v132, 0xf0f0f0f, v132
	v_add_nc_u16 v133, 0xe000, v133
	v_lshlrev_b16 v139, 8, v138
	v_and_b32_e32 v136, 0x3f00, v136
	v_add_nc_u16 v137, 0xe000, v137
	v_and_or_b32 v116, 0x30303030, v116, v132
	v_lshlrev_b32_e32 v117, 16, v117
	v_and_b32_e32 v138, 0x3f00, v138
	v_add_nc_u16 v139, 0xe000, v139
	v_lshlrev_b32_e32 v132, 16, v133
	v_or_b32_sdwa v133, v136, v137 dst_sel:DWORD dst_unused:UNUSED_PAD src0_sel:DWORD src1_sel:BYTE_1
	v_lshrrev_b32_e32 v137, 16, v116
	v_add_nc_u16 v120, 0xe000, v120
	v_or_b32_sdwa v136, v138, v139 dst_sel:DWORD dst_unused:UNUSED_PAD src0_sel:DWORD src1_sel:BYTE_1
	v_or_b32_sdwa v117, v122, v117 dst_sel:DWORD dst_unused:UNUSED_PAD src0_sel:WORD_0 src1_sel:DWORD
	v_add_nc_u16 v122, 0xe000, v133
	v_lshlrev_b16 v133, 8, v137
	v_or_b32_sdwa v120, v120, v132 dst_sel:DWORD dst_unused:UNUSED_PAD src0_sel:WORD_0 src1_sel:DWORD
	v_add_nc_u16 v132, 0xe000, v136
	v_lshlrev_b16 v136, 8, v116
	s_waitcnt vmcnt(13)
	v_ashrrev_i32_e32 v131, v23, v131
	v_and_b32_e32 v137, 0x3f00, v137
	v_add_nc_u16 v133, 0xe000, v133
	v_and_b32_e32 v116, 0x3f00, v116
	v_add_nc_u16 v136, 0xe000, v136
	v_and_b32_e32 v138, 0xf0f0f0f, v130
	v_lshlrev_b32_e32 v139, 4, v131
	v_lshlrev_b32_e32 v132, 16, v132
	v_or_b32_sdwa v133, v137, v133 dst_sel:DWORD dst_unused:UNUSED_PAD src0_sel:DWORD src1_sel:BYTE_1
	v_lshrrev_b32_e32 v130, 4, v130
	v_or_b32_sdwa v116, v116, v136 dst_sel:DWORD dst_unused:UNUSED_PAD src0_sel:DWORD src1_sel:BYTE_1
	v_and_or_b32 v136, 0x30303030, v139, v138
	v_or_b32_sdwa v122, v122, v132 dst_sel:DWORD dst_unused:UNUSED_PAD src0_sel:WORD_0 src1_sel:DWORD
	v_add_nc_u16 v132, 0xe000, v133
	v_and_b32_e32 v130, 0xf0f0f0f, v130
	v_add_nc_u16 v116, 0xe000, v116
	v_lshrrev_b32_e32 v133, 16, v136
	v_lshlrev_b16 v137, 8, v136
	v_lshlrev_b32_e32 v132, 16, v132
	v_and_or_b32 v130, 0x30303030, v131, v130
	v_and_b32_e32 v136, 0x3f00, v136
	v_lshlrev_b16 v131, 8, v133
	v_add_nc_u16 v137, 0xe000, v137
	v_or_b32_sdwa v116, v116, v132 dst_sel:DWORD dst_unused:UNUSED_PAD src0_sel:WORD_0 src1_sel:DWORD
	v_and_b32_e32 v132, 0x3f00, v133
	v_lshrrev_b32_e32 v133, 16, v130
	v_add_nc_u16 v131, 0xe000, v131
	ds_write2_b32 v10, v117, v120 offset1:16
	ds_write2_b32 v11, v122, v116 offset1:16
	v_lshlrev_b16 v122, 8, v130
	s_waitcnt vmcnt(11)
	v_ashrrev_i32_e32 v129, v23, v129
	v_lshlrev_b16 v116, 8, v133
	v_or_b32_sdwa v117, v132, v131 dst_sel:DWORD dst_unused:UNUSED_PAD src0_sel:DWORD src1_sel:BYTE_1
	v_and_b32_e32 v131, 0x3f00, v133
	v_or_b32_sdwa v136, v136, v137 dst_sel:DWORD dst_unused:UNUSED_PAD src0_sel:DWORD src1_sel:BYTE_1
	v_and_b32_e32 v130, 0x3f00, v130
	v_add_nc_u16 v116, 0xe000, v116
	v_add_nc_u16 v117, 0xe000, v117
	v_add_nc_u16 v122, 0xe000, v122
	v_lshlrev_b32_e32 v132, 4, v129
	v_add_nc_u16 v120, 0xe000, v136
	v_or_b32_sdwa v116, v131, v116 dst_sel:DWORD dst_unused:UNUSED_PAD src0_sel:DWORD src1_sel:BYTE_1
	v_and_b32_e32 v131, 0xf0f0f0f, v128
	v_lshrrev_b32_e32 v128, 4, v128
	v_or_b32_sdwa v122, v130, v122 dst_sel:DWORD dst_unused:UNUSED_PAD src0_sel:DWORD src1_sel:BYTE_1
	v_lshlrev_b32_e32 v117, 16, v117
	v_add_nc_u16 v116, 0xe000, v116
	v_and_or_b32 v130, 0x30303030, v132, v131
	v_and_b32_e32 v128, 0xf0f0f0f, v128
	v_add_nc_u16 v122, 0xe000, v122
	v_or_b32_sdwa v117, v120, v117 dst_sel:DWORD dst_unused:UNUSED_PAD src0_sel:WORD_0 src1_sel:DWORD
	v_lshlrev_b32_e32 v116, 16, v116
	s_waitcnt vmcnt(9)
	v_ashrrev_i32_e32 v127, v23, v127
	v_and_or_b32 v120, 0x30303030, v129, v128
	v_lshrrev_b32_e32 v128, 16, v130
	v_lshlrev_b16 v129, 8, v130
	v_or_b32_sdwa v116, v122, v116 dst_sel:DWORD dst_unused:UNUSED_PAD src0_sel:WORD_0 src1_sel:DWORD
	v_and_b32_e32 v122, 0x3f00, v130
	v_lshrrev_b32_e32 v130, 16, v120
	v_lshlrev_b16 v131, 8, v128
	v_add_nc_u16 v129, 0xe000, v129
	ds_write2_b32 v12, v117, v116 offset1:16
	v_and_b32_e32 v116, 0x3f00, v128
	v_lshlrev_b16 v117, 8, v130
	v_add_nc_u16 v128, 0xe000, v131
	v_or_b32_sdwa v122, v122, v129 dst_sel:DWORD dst_unused:UNUSED_PAD src0_sel:DWORD src1_sel:BYTE_1
	v_lshlrev_b16 v129, 8, v120
	v_and_b32_e32 v130, 0x3f00, v130
	v_add_nc_u16 v117, 0xe000, v117
	v_or_b32_sdwa v116, v116, v128 dst_sel:DWORD dst_unused:UNUSED_PAD src0_sel:DWORD src1_sel:BYTE_1
	v_and_b32_e32 v120, 0x3f00, v120
	v_add_nc_u16 v128, 0xe000, v129
	v_and_b32_e32 v129, 0xf0f0f0f, v126
	v_or_b32_sdwa v117, v130, v117 dst_sel:DWORD dst_unused:UNUSED_PAD src0_sel:DWORD src1_sel:BYTE_1
	v_lshlrev_b32_e32 v130, 4, v127
	v_add_nc_u16 v116, 0xe000, v116
	v_add_nc_u16 v122, 0xe000, v122
	v_or_b32_sdwa v120, v120, v128 dst_sel:DWORD dst_unused:UNUSED_PAD src0_sel:DWORD src1_sel:BYTE_1
	v_add_nc_u16 v117, 0xe000, v117
	v_and_or_b32 v128, 0x30303030, v130, v129
	v_lshlrev_b32_e32 v116, 16, v116
	v_lshrrev_b32_e32 v126, 4, v126
	v_add_nc_u16 v120, 0xe000, v120
	v_lshlrev_b32_e32 v117, 16, v117
	v_lshrrev_b32_e32 v129, 16, v128
	v_or_b32_sdwa v116, v122, v116 dst_sel:DWORD dst_unused:UNUSED_PAD src0_sel:WORD_0 src1_sel:DWORD
	v_and_b32_e32 v122, 0xf0f0f0f, v126
	v_lshlrev_b16 v126, 8, v128
	v_or_b32_sdwa v117, v120, v117 dst_sel:DWORD dst_unused:UNUSED_PAD src0_sel:WORD_0 src1_sel:DWORD
	v_lshlrev_b16 v120, 8, v129
	v_and_b32_e32 v128, 0x3f00, v128
	v_and_or_b32 v122, 0x30303030, v127, v122
	v_add_nc_u16 v126, 0xe000, v126
	v_and_b32_e32 v127, 0x3f00, v129
	v_add_nc_u16 v120, 0xe000, v120
	ds_write2_b32 v13, v116, v117 offset1:16
	v_lshrrev_b32_e32 v116, 16, v122
	s_waitcnt vmcnt(7)
	v_ashrrev_i32_e32 v125, v23, v125
	v_or_b32_sdwa v117, v128, v126 dst_sel:DWORD dst_unused:UNUSED_PAD src0_sel:DWORD src1_sel:BYTE_1
	v_or_b32_sdwa v120, v127, v120 dst_sel:DWORD dst_unused:UNUSED_PAD src0_sel:DWORD src1_sel:BYTE_1
	v_lshlrev_b16 v126, 8, v122
	v_lshlrev_b16 v127, 8, v116
	v_and_b32_e32 v128, 0xf0f0f0f, v124
	v_lshlrev_b32_e32 v129, 4, v125
	v_and_b32_e32 v122, 0x3f00, v122
	v_add_nc_u16 v126, 0xe000, v126
	v_and_b32_e32 v116, 0x3f00, v116
	v_add_nc_u16 v127, 0xe000, v127
	v_and_or_b32 v128, 0x30303030, v129, v128
	v_add_nc_u16 v120, 0xe000, v120
	v_or_b32_sdwa v122, v122, v126 dst_sel:DWORD dst_unused:UNUSED_PAD src0_sel:DWORD src1_sel:BYTE_1
	v_lshrrev_b32_e32 v124, 4, v124
	v_or_b32_sdwa v116, v116, v127 dst_sel:DWORD dst_unused:UNUSED_PAD src0_sel:DWORD src1_sel:BYTE_1
	v_lshrrev_b32_e32 v126, 16, v128
	v_add_nc_u16 v117, 0xe000, v117
	v_lshlrev_b32_e32 v120, 16, v120
	v_and_b32_e32 v124, 0xf0f0f0f, v124
	v_add_nc_u16 v116, 0xe000, v116
	v_lshlrev_b16 v127, 8, v126
	v_add_nc_u16 v122, 0xe000, v122
	v_lshlrev_b16 v129, 8, v128
	v_and_b32_e32 v126, 0x3f00, v126
	v_lshlrev_b32_e32 v116, 16, v116
	v_add_nc_u16 v127, 0xe000, v127
	v_or_b32_sdwa v117, v117, v120 dst_sel:DWORD dst_unused:UNUSED_PAD src0_sel:WORD_0 src1_sel:DWORD
	v_and_or_b32 v120, 0x30303030, v125, v124
	v_and_b32_e32 v128, 0x3f00, v128
	v_add_nc_u16 v129, 0xe000, v129
	v_or_b32_sdwa v124, v126, v127 dst_sel:DWORD dst_unused:UNUSED_PAD src0_sel:DWORD src1_sel:BYTE_1
	v_or_b32_sdwa v116, v122, v116 dst_sel:DWORD dst_unused:UNUSED_PAD src0_sel:WORD_0 src1_sel:DWORD
	s_waitcnt vmcnt(5)
	v_ashrrev_i32_e32 v122, v23, v123
	v_lshrrev_b32_e32 v123, 16, v120
	v_or_b32_sdwa v125, v128, v129 dst_sel:DWORD dst_unused:UNUSED_PAD src0_sel:DWORD src1_sel:BYTE_1
	v_add_nc_u16 v124, 0xe000, v124
	v_and_b32_e32 v126, 0xf0f0f0f, v121
	v_lshlrev_b32_e32 v127, 4, v122
	v_lshlrev_b16 v128, 8, v123
	v_add_nc_u16 v125, 0xe000, v125
	v_lshlrev_b32_e32 v124, 16, v124
	v_lshlrev_b16 v129, 8, v120
	v_and_b32_e32 v123, 0x3f00, v123
	v_and_or_b32 v126, 0x30303030, v127, v126
	v_add_nc_u16 v127, 0xe000, v128
	v_or_b32_sdwa v124, v125, v124 dst_sel:DWORD dst_unused:UNUSED_PAD src0_sel:WORD_0 src1_sel:DWORD
	v_and_b32_e32 v120, 0x3f00, v120
	v_add_nc_u16 v125, 0xe000, v129
	v_lshlrev_b16 v128, 8, v126
	v_or_b32_sdwa v123, v123, v127 dst_sel:DWORD dst_unused:UNUSED_PAD src0_sel:DWORD src1_sel:BYTE_1
	v_lshrrev_b32_e32 v127, 16, v126
	v_lshrrev_b32_e32 v121, 4, v121
	v_and_b32_e32 v126, 0x3f00, v126
	v_add_nc_u16 v128, 0xe000, v128
	v_or_b32_sdwa v120, v120, v125 dst_sel:DWORD dst_unused:UNUSED_PAD src0_sel:DWORD src1_sel:BYTE_1
	v_lshlrev_b16 v125, 8, v127
	v_and_b32_e32 v121, 0xf0f0f0f, v121
	v_add_nc_u16 v123, 0xe000, v123
	v_or_b32_sdwa v126, v126, v128 dst_sel:DWORD dst_unused:UNUSED_PAD src0_sel:DWORD src1_sel:BYTE_1
	v_and_b32_e32 v127, 0x3f00, v127
	v_add_nc_u16 v125, 0xe000, v125
	v_and_or_b32 v121, 0x30303030, v122, v121
	s_waitcnt vmcnt(3)
	v_ashrrev_i32_e32 v119, v23, v119
	v_lshrrev_b32_e32 v128, 4, v118
	v_lshlrev_b32_e32 v122, 16, v123
	v_add_nc_u16 v123, 0xe000, v126
	v_or_b32_sdwa v125, v127, v125 dst_sel:DWORD dst_unused:UNUSED_PAD src0_sel:DWORD src1_sel:BYTE_1
	v_lshrrev_b32_e32 v126, 16, v121
	v_lshlrev_b16 v127, 8, v121
	v_and_b32_e32 v118, 0xf0f0f0f, v118
	v_lshlrev_b32_e32 v129, 4, v119
	v_and_b32_e32 v128, 0xf0f0f0f, v128
	v_and_b32_e32 v121, 0x3f00, v121
	v_add_nc_u16 v127, 0xe000, v127
	v_lshlrev_b16 v130, 8, v126
	v_and_or_b32 v118, 0x30303030, v129, v118
	v_and_or_b32 v119, 0x30303030, v119, v128
	v_and_b32_e32 v126, 0x3f00, v126
	v_or_b32_sdwa v121, v121, v127 dst_sel:DWORD dst_unused:UNUSED_PAD src0_sel:DWORD src1_sel:BYTE_1
	v_add_nc_u16 v127, 0xe000, v130
	v_lshrrev_b32_e32 v128, 16, v118
	v_lshrrev_b32_e32 v129, 16, v119
	v_and_b32_e32 v130, 0x3f00, v118
	v_lshlrev_b16 v118, 8, v118
	v_or_b32_sdwa v126, v126, v127 dst_sel:DWORD dst_unused:UNUSED_PAD src0_sel:DWORD src1_sel:BYTE_1
	v_lshlrev_b16 v127, 8, v128
	v_lshlrev_b16 v131, 8, v129
	v_and_b32_e32 v128, 0x3f00, v128
	v_lshlrev_b16 v132, 8, v119
	v_and_b32_e32 v129, 0x3f00, v129
	v_add_nc_u16 v127, 0xe000, v127
	v_add_nc_u16 v131, 0xe000, v131
	;; [unrolled: 1-line block ×3, first 2 shown]
	v_and_b32_e32 v119, 0x3f00, v119
	v_add_nc_u16 v125, 0xe000, v125
	v_or_b32_sdwa v127, v128, v127 dst_sel:DWORD dst_unused:UNUSED_PAD src0_sel:DWORD src1_sel:BYTE_1
	v_add_nc_u16 v128, 0xe000, v132
	v_or_b32_sdwa v129, v129, v131 dst_sel:DWORD dst_unused:UNUSED_PAD src0_sel:DWORD src1_sel:BYTE_1
	;; [unrolled: 2-line block ×4, first 2 shown]
	v_add_nc_u16 v128, 0xe000, v129
	v_add_nc_u16 v120, 0xe000, v120
	v_lshlrev_b32_e32 v125, 16, v125
	v_add_nc_u16 v121, 0xe000, v121
	v_lshlrev_b32_e32 v126, 16, v126
	;; [unrolled: 2-line block ×4, first 2 shown]
	v_or_b32_sdwa v120, v120, v122 dst_sel:DWORD dst_unused:UNUSED_PAD src0_sel:WORD_0 src1_sel:DWORD
	ds_write2_b32 v14, v117, v116 offset1:16
	s_waitcnt vmcnt(2)
	v_cvt_f32_f16_e32 v116, v144
	v_or_b32_sdwa v122, v123, v125 dst_sel:DWORD dst_unused:UNUSED_PAD src0_sel:WORD_0 src1_sel:DWORD
	v_or_b32_sdwa v121, v121, v126 dst_sel:DWORD dst_unused:UNUSED_PAD src0_sel:WORD_0 src1_sel:DWORD
	s_add_i32 s1, s4, 0xffffff80
	v_or_b32_sdwa v118, v118, v127 dst_sel:DWORD dst_unused:UNUSED_PAD src0_sel:WORD_0 src1_sel:DWORD
	v_or_b32_sdwa v119, v119, v128 dst_sel:DWORD dst_unused:UNUSED_PAD src0_sel:WORD_0 src1_sel:DWORD
	s_cmp_lt_i32 s1, s9
	ds_write2_b32 v15, v124, v120 offset1:16
	ds_write2_b32 v16, v122, v121 offset1:16
	;; [unrolled: 1-line block ×3, first 2 shown]
	ds_write_b32 v24, v116
	s_waitcnt vmcnt(1)
	ds_write_b32 v113, v134
	s_waitcnt vmcnt(0)
	ds_write_b32 v114, v135
	s_cbranch_scc0 .LBB216_5
; %bb.7:                                ;   in Loop: Header=BB216_6 Depth=1
	v_cmp_gt_i32_e64 s1, s18, v28
	s_and_b32 s5, s0, s1
	s_and_saveexec_b32 s1, s5
	s_cbranch_execz .LBB216_9
; %bb.8:                                ;   in Loop: Header=BB216_6 Depth=1
	v_add_nc_u32_e32 v116, v39, v28
	v_mad_i64_i32 v[116:117], null, v116, 36, v[18:19]
	global_load_dword v116, v[116:117], off offset:4
	s_waitcnt vmcnt(0)
	ds_write_b32 v27, v116
.LBB216_9:                              ;   in Loop: Header=BB216_6 Depth=1
	s_or_b32 exec_lo, exec_lo, s1
	v_cmp_gt_i32_e64 s1, s18, v115
	s_and_b32 s5, s10, s1
	s_and_saveexec_b32 s1, s5
	s_cbranch_execz .LBB216_11
; %bb.10:                               ;   in Loop: Header=BB216_6 Depth=1
	v_add_nc_u32_e32 v116, v39, v115
	v_mad_i64_i32 v[116:117], null, v116, 36, s[6:7]
	global_load_dword v116, v[116:117], off
	v_add_nc_u32_e32 v117, v25, v1
	s_waitcnt vmcnt(0)
	v_cvt_f32_f16_e32 v116, v116
	ds_write_b32 v117, v116
.LBB216_11:                             ;   in Loop: Header=BB216_6 Depth=1
	s_or_b32 exec_lo, exec_lo, s1
	s_waitcnt lgkmcnt(0)
	s_barrier
	buffer_gl0_inv
	ds_read2_b32 v[116:117], v31 offset0:12 offset1:13
	ds_read_b128 v[127:130], v26 offset:48
	ds_read_b128 v[131:134], v26 offset:32
	ds_read2_b32 v[118:119], v31 offset0:4 offset1:5
	ds_read2_b32 v[120:121], v31 offset0:8 offset1:9
	ds_read_b128 v[135:138], v26 offset:16
	ds_read_b128 v[139:142], v26
	ds_read2_b32 v[122:123], v31 offset0:14 offset1:15
	ds_read2_b32 v[143:144], v31 offset0:10 offset1:11
	;; [unrolled: 1-line block ×4, first 2 shown]
	ds_read2_b32 v[149:150], v31 offset1:1
	v_mov_b32_e32 v126, 0
	v_add_nc_u32_e32 v124, 0x20b0, v31
	v_mov_b32_e32 v125, 0
	v_mov_b32_e32 v177, 0
	v_add_nc_u32_e32 v153, 0x2090, v31
	v_mov_b32_e32 v178, 0
	ds_read2_b32 v[151:152], v124 offset1:1
	v_add_nc_u32_e32 v124, 0x4118, v31
	v_add_nc_u32_e32 v165, 0x4138, v31
	s_waitcnt lgkmcnt(11)
	v_dot4c_i32_i8 v126, v116, v127
	v_add_nc_u32_e32 v116, 0x2088, v31
	v_mov_b32_e32 v179, 0
	s_waitcnt lgkmcnt(8)
	v_dot4c_i32_i8 v125, v120, v131
	s_waitcnt lgkmcnt(7)
	v_dot4c_i32_i8 v177, v118, v135
	v_dot4c_i32_i8 v126, v117, v128
	v_add_nc_u32_e32 v117, 0x2080, v31
	v_add_nc_u32_e32 v118, 0x20b8, v31
	v_dot4c_i32_i8 v125, v121, v132
	v_dot4c_i32_i8 v177, v119, v136
	s_waitcnt lgkmcnt(5)
	v_dot4c_i32_i8 v126, v122, v129
	ds_read2_b32 v[121:122], v153 offset1:1
	ds_read2_b32 v[153:154], v116 offset1:1
	;; [unrolled: 1-line block ×4, first 2 shown]
	v_mov_b32_e32 v116, 0
	s_waitcnt lgkmcnt(5)
	v_dot4c_i32_i8 v178, v149, v139
	v_add_nc_u32_e32 v119, 0x20a8, v31
	v_dot4c_i32_i8 v126, v123, v130
	v_dot4c_i32_i8 v125, v143, v133
	s_waitcnt lgkmcnt(4)
	v_dot4c_i32_i8 v116, v151, v127
	v_dot4c_i32_i8 v178, v150, v140
	v_add_nc_u32_e32 v123, 0x2098, v31
	v_add_nc_u32_e32 v120, 0x20a0, v31
	v_dot4c_i32_i8 v177, v145, v137
	v_dot4c_i32_i8 v116, v152, v128
	;; [unrolled: 1-line block ×3, first 2 shown]
	ds_read2_b32 v[149:150], v119 offset1:1
	ds_read2_b32 v[119:120], v120 offset1:1
	;; [unrolled: 1-line block ×3, first 2 shown]
	v_dot4c_i32_i8 v125, v144, v134
	ds_read2_b32 v[143:144], v123 offset1:1
	v_add_nc_u32_e32 v123, 0x4128, v31
	v_add_nc_u32_e32 v124, 0x4120, v31
	v_dot4c_i32_i8 v177, v146, v138
	v_dot4c_i32_i8 v178, v148, v142
	s_waitcnt lgkmcnt(4)
	v_dot4c_i32_i8 v116, v117, v129
	v_add_nc_u32_e32 v117, 0x4130, v31
	ds_read2_b32 v[145:146], v117 offset1:1
	ds_read2_b32 v[147:148], v123 offset1:1
	;; [unrolled: 1-line block ×3, first 2 shown]
	v_dot4c_i32_i8 v116, v118, v130
	v_mov_b32_e32 v118, 0
	v_add_nc_u32_e32 v117, 0x4110, v31
	v_add_nc_u32_e32 v123, 0x4108, v31
	;; [unrolled: 1-line block ×3, first 2 shown]
	ds_read2_b32 v[159:160], v117 offset1:1
	ds_read2_b32 v[161:162], v123 offset1:1
	;; [unrolled: 1-line block ×4, first 2 shown]
	s_waitcnt lgkmcnt(9)
	v_dot4c_i32_i8 v118, v119, v131
	v_mov_b32_e32 v124, 0
	v_mov_b32_e32 v119, 0
	v_add_nc_u32_e32 v117, 0x6198, v31
	v_mov_b32_e32 v123, 0
	v_dot4c_i32_i8 v118, v120, v132
	v_dot4c_i32_i8 v124, v121, v135
	v_mov_b32_e32 v120, 0
	ds_read2_b32 v[167:168], v117 offset1:1
	ds_read_b32 v117, v38 offset:384
	v_mov_b32_e32 v121, 0
	s_waitcnt lgkmcnt(6)
	v_dot4c_i32_i8 v119, v151, v131
	v_dot4c_i32_i8 v124, v122, v136
	;; [unrolled: 1-line block ×3, first 2 shown]
	v_add_nc_u32_e32 v145, 0x61a0, v31
	v_dot4c_i32_i8 v123, v155, v139
	v_dot4c_i32_i8 v119, v152, v132
	;; [unrolled: 1-line block ×3, first 2 shown]
	v_add_nc_u32_e32 v143, 0x61b0, v31
	v_dot4c_i32_i8 v120, v146, v128
	s_waitcnt lgkmcnt(5)
	v_dot4c_i32_i8 v121, v159, v135
	v_dot4c_i32_i8 v119, v147, v133
	v_add_nc_u32_e32 v147, 0x6190, v31
	v_dot4c_i32_i8 v124, v144, v138
	v_mov_b32_e32 v122, 0
	v_dot4c_i32_i8 v118, v149, v133
	v_dot4c_i32_i8 v119, v148, v134
	ds_read2_b32 v[143:144], v143 offset1:1
	ds_read2_b32 v[145:146], v145 offset1:1
	;; [unrolled: 1-line block ×3, first 2 shown]
	v_dot4c_i32_i8 v123, v156, v140
	v_dot4c_i32_i8 v121, v160, v136
	s_waitcnt lgkmcnt(6)
	v_dot4c_i32_i8 v122, v163, v139
	v_add_nc_u32_e32 v149, 0x6188, v31
	v_mov_b32_e32 v180, 0
	v_mov_b32_e32 v181, 0
	v_dot4c_i32_i8 v118, v150, v134
	v_add_nc_u32_e32 v150, 0x6180, v31
	v_add_nc_u32_e32 v151, 0x61b8, v31
	v_dot4c_i32_i8 v123, v153, v141
	s_waitcnt lgkmcnt(5)
	v_dot4c_i32_i8 v120, v165, v129
	v_dot4c_i32_i8 v121, v157, v137
	;; [unrolled: 1-line block ×3, first 2 shown]
	ds_read2_b32 v[155:156], v149 offset1:1
	ds_read2_b32 v[159:160], v150 offset1:1
	;; [unrolled: 1-line block ×3, first 2 shown]
	v_add_nc_u32_e32 v149, 0x61a8, v31
	v_add_nc_u32_e32 v150, 0x61d8, v31
	v_dot4c_i32_i8 v123, v154, v142
	s_waitcnt lgkmcnt(5)
	v_dot4c_i32_i8 v179, v143, v127
	s_waitcnt lgkmcnt(4)
	;; [unrolled: 2-line block ×3, first 2 shown]
	v_dot4c_i32_i8 v181, v147, v135
	v_dot4c_i32_i8 v120, v166, v130
	ds_read2_b32 v[165:166], v149 offset1:1
	ds_read2_b32 v[169:170], v150 offset1:1
	v_dot4c_i32_i8 v121, v158, v138
	v_dot4c_i32_i8 v179, v144, v128
	;; [unrolled: 1-line block ×4, first 2 shown]
	ds_read_b128 v[143:146], v26 offset:80
	ds_read_b128 v[147:150], v26 offset:64
	ds_read2_b32 v[131:132], v31 offset0:20 offset1:21
	ds_read_b128 v[151:154], v26 offset:112
	ds_read2_b32 v[135:136], v31 offset0:30 offset1:31
	ds_read2_b32 v[157:158], v31 offset0:28 offset1:29
	;; [unrolled: 1-line block ×5, first 2 shown]
	v_mov_b32_e32 v182, 0
	v_mov_b32_e32 v183, 0
	v_dot4c_i32_i8 v122, v161, v141
	v_dot4c_i32_i8 v181, v167, v137
	v_mov_b32_e32 v167, 0
	s_waitcnt lgkmcnt(12)
	v_dot4c_i32_i8 v182, v159, v139
	v_add_nc_u32_e32 v139, 0x61c0, v31
	s_waitcnt lgkmcnt(11)
	v_dot4c_i32_i8 v179, v163, v129
	v_dot4c_i32_i8 v181, v168, v138
	v_mov_b32_e32 v168, 0
	v_dot4c_i32_i8 v182, v160, v140
	v_dot4c_i32_i8 v122, v162, v142
	;; [unrolled: 1-line block ×3, first 2 shown]
	s_waitcnt lgkmcnt(6)
	v_dot4c_i32_i8 v167, v131, v143
	v_add_nc_u32_e32 v131, 0x61d0, v31
	v_dot4c_i32_i8 v180, v165, v133
	s_waitcnt lgkmcnt(3)
	v_dot4c_i32_i8 v168, v157, v151
	v_add_nc_u32_e32 v133, 0x61f0, v31
	v_dot4c_i32_i8 v167, v132, v144
	ds_read2_b32 v[131:132], v131 offset1:1
	ds_read2_b32 v[139:140], v139 offset1:1
	v_dot4c_i32_i8 v168, v158, v152
	v_dot4c_i32_i8 v180, v166, v134
	;; [unrolled: 1-line block ×3, first 2 shown]
	s_waitcnt lgkmcnt(2)
	v_dot4c_i32_i8 v183, v175, v147
	v_add_nc_u32_e32 v157, 0x61f8, v31
	v_dot4c_i32_i8 v168, v135, v153
	ds_read2_b32 v[134:135], v133 offset1:1
	v_add_nc_u32_e32 v133, 0x61c8, v31
	ds_read_b128 v[127:130], v26 offset:96
	ds_read2_b32 v[137:138], v31 offset0:26 offset1:27
	v_dot4c_i32_i8 v182, v156, v142
	v_dot4c_i32_i8 v167, v171, v145
	;; [unrolled: 1-line block ×3, first 2 shown]
	ds_read_b32 v171, v36 offset:256
	ds_read2_b32 v[141:142], v37 offset1:1
	ds_read2_b32 v[155:156], v133 offset1:1
	;; [unrolled: 1-line block ×3, first 2 shown]
	v_mov_b32_e32 v165, 0
	v_add_nc_u32_e32 v159, 0x61e0, v31
	v_dot4c_i32_i8 v167, v172, v146
	v_dot4c_i32_i8 v183, v173, v149
	v_mov_b32_e32 v173, 0
	s_waitcnt lgkmcnt(8)
	v_dot4c_i32_i8 v165, v131, v143
	v_mov_b32_e32 v172, 0
	ds_read2_b32 v[159:160], v159 offset1:1
	v_add_nc_u32_e32 v131, 0x61e8, v31
	s_waitcnt lgkmcnt(8)
	v_dot4c_i32_i8 v173, v139, v147
	v_dot4c_i32_i8 v165, v132, v144
	v_add_nc_u32_e32 v133, 0x20d8, v31
	s_waitcnt lgkmcnt(7)
	v_dot4c_i32_i8 v172, v134, v151
	ds_read2_b32 v[161:162], v131 offset1:1
	ds_read2_b32 v[163:164], v133 offset1:1
	v_dot4c_i32_i8 v173, v140, v148
	v_dot4c_i32_i8 v165, v169, v145
	v_dot4c_i32_i8 v172, v135, v152
	s_waitcnt lgkmcnt(5)
	v_bfe_i32 v135, v141, 8, 8
	v_bfe_i32 v139, v142, 8, 8
	s_waitcnt lgkmcnt(4)
	v_dot4c_i32_i8 v173, v155, v149
	v_dot4c_i32_i8 v165, v170, v146
	ds_read_b128 v[131:134], v1 offset:36944
	v_mul_lo_u32 v135, v181, v135
	v_mov_b32_e32 v169, 0
	v_dot4c_i32_i8 v173, v156, v150
	ds_read2_b32 v[155:156], v30 offset1:1
	v_bfe_i32 v140, v141, 0, 8
	v_mul_lo_u32 v139, v165, v139
	s_waitcnt lgkmcnt(5)
	v_dot4c_i32_i8 v172, v157, v153
	s_waitcnt lgkmcnt(4)
	v_dot4c_i32_i8 v169, v159, v127
	v_bfe_i32 v157, v142, 0, 8
	v_mad_u64_u32 v[165:166], null, v182, v140, v[135:136]
	v_ashrrev_i32_e32 v135, 24, v141
	v_dot4c_i32_i8 v169, v160, v128
	ds_read2_b32 v[159:160], v31 offset0:24 offset1:25
	v_mad_u64_u32 v[139:140], null, v173, v157, v[139:140]
	v_mul_lo_u32 v135, v179, v135
	v_dot4c_i32_i8 v172, v158, v154
	v_cvt_f32_i32_e32 v140, v165
	v_ashrrev_i32_e32 v157, 24, v142
	v_bfe_i32 v141, v141, 16, 8
	s_waitcnt lgkmcnt(4)
	v_dot4c_i32_i8 v169, v161, v129
	v_cvt_f32_i32_e32 v158, v139
	s_waitcnt lgkmcnt(2)
	v_fma_f32 v170, v131, v140, 0
	v_mul_lo_u32 v139, v172, v157
	v_mad_u64_u32 v[140:141], null, v180, v141, v[135:136]
	s_waitcnt lgkmcnt(1)
	v_bfe_i32 v135, v155, 8, 8
	v_dot4c_i32_i8 v169, v162, v130
	v_bfe_i32 v141, v142, 16, 8
	v_mov_b32_e32 v161, 0
	v_bfe_i32 v157, v156, 8, 8
	v_mul_lo_u32 v135, v177, v135
	v_fma_f32 v172, v133, v158, 0
	v_mad_u64_u32 v[141:142], null, v169, v141, v[139:140]
	v_cvt_f32_i32_e32 v142, v140
	v_bfe_i32 v140, v155, 0, 8
	s_waitcnt lgkmcnt(0)
	v_dot4c_i32_i8 v161, v159, v127
	v_mul_lo_u32 v139, v167, v157
	v_dot4c_i32_i8 v168, v136, v154
	v_dot4c_i32_i8 v183, v174, v150
	v_mad_u64_u32 v[157:158], null, v178, v140, v[135:136]
	v_dot4c_i32_i8 v161, v160, v128
	v_cvt_f32_i32_e32 v135, v141
	v_ashrrev_i32_e32 v136, 24, v156
	v_bfe_i32 v159, v156, 0, 8
	v_bfe_i32 v156, v156, 16, 8
	v_dot4c_i32_i8 v161, v137, v129
	v_fmac_f32_e32 v172, v134, v135
	v_cvt_f32_i32_e32 v135, v157
	v_add_nc_u32_e32 v137, 0x20d0, v31
	v_mad_u64_u32 v[139:140], null, v183, v159, v[139:140]
	v_dot4c_i32_i8 v161, v138, v130
	v_fma_f32 v173, v131, v135, 0
	v_mul_lo_u32 v135, v168, v136
	ds_read2_b32 v[136:137], v137 offset1:1
	v_ashrrev_i32_e32 v138, 24, v155
	v_bfe_i32 v157, v155, 16, 8
	v_fmac_f32_e32 v170, v132, v142
	v_cvt_f32_i32_e32 v142, v139
	v_add_nc_u32_e32 v139, 0x20c8, v31
	v_mul_lo_u32 v126, v126, v138
	v_add_nc_u32_e32 v140, 0x20c0, v31
	ds_read2_b32 v[138:139], v139 offset1:1
	ds_read2_b32 v[140:141], v140 offset1:1
	v_mov_b32_e32 v162, 0
	v_mov_b32_e32 v165, 0
	v_mad_u64_u32 v[125:126], null, v125, v157, v[126:127]
	v_add_nc_u32_e32 v126, 0x20f8, v31
	v_fma_f32 v142, v133, v142, 0
	v_mov_b32_e32 v176, 0
	v_mov_b32_e32 v177, 0
	s_waitcnt lgkmcnt(2)
	v_mad_u64_u32 v[155:156], null, v161, v156, v[135:136]
	ds_read_b32 v174, v32
	ds_read_b32 v175, v34 offset:128
	ds_read2_b32 v[156:157], v35 offset1:1
	ds_read2_b32 v[158:159], v33 offset1:1
	ds_read2_b32 v[160:161], v126 offset1:1
	v_add_nc_u32_e32 v135, 0x20f0, v31
	v_dot4c_i32_i8 v162, v136, v143
	v_add_nc_u32_e32 v126, 0x20e0, v31
	v_add_nc_u32_e32 v166, 0x4148, v31
	v_add_nc_u32_e32 v168, 0x4178, v31
	ds_read2_b32 v[135:136], v135 offset1:1
	v_dot4c_i32_i8 v162, v137, v144
	v_cvt_f32_i32_e32 v137, v155
	v_cvt_f32_i32_e32 v155, v125
	ds_read2_b32 v[125:126], v126 offset1:1
	s_waitcnt lgkmcnt(7)
	v_dot4c_i32_i8 v165, v140, v147
	v_dot4c_i32_i8 v162, v163, v145
	v_fmac_f32_e32 v142, v134, v137
	v_add_nc_u32_e32 v137, 0x20e8, v31
	v_add_nc_u32_e32 v140, 0x4158, v31
	v_dot4c_i32_i8 v165, v141, v148
	v_dot4c_i32_i8 v162, v164, v146
	v_fmac_f32_e32 v173, v132, v155
	s_waitcnt lgkmcnt(3)
	v_bfe_i32 v163, v158, 8, 8
	v_bfe_i32 v164, v159, 8, 8
	v_dot4c_i32_i8 v165, v138, v149
	ds_read2_b32 v[137:138], v137 offset1:1
	ds_read2_b32 v[140:141], v140 offset1:1
	v_add_nc_u32_e32 v155, 0x4160, v31
	v_mul_lo_u32 v124, v124, v163
	v_mov_b32_e32 v178, 0
	s_waitcnt lgkmcnt(3)
	v_dot4c_i32_i8 v176, v135, v151
	v_mul_lo_u32 v135, v162, v164
	v_bfe_i32 v162, v158, 0, 8
	v_dot4c_i32_i8 v165, v139, v150
	v_bfe_i32 v139, v159, 0, 8
	s_waitcnt lgkmcnt(2)
	v_dot4c_i32_i8 v177, v125, v127
	v_dot4c_i32_i8 v176, v136, v152
	v_mad_u64_u32 v[123:124], null, v123, v162, v[124:125]
	v_add_nc_u32_e32 v124, 0x4150, v31
	v_add_nc_u32_e32 v125, 0x4170, v31
	v_mad_u64_u32 v[135:136], null, v165, v139, v[135:136]
	v_dot4c_i32_i8 v177, v126, v128
	v_dot4c_i32_i8 v176, v160, v153
	v_cvt_f32_i32_e32 v139, v123
	ds_read2_b32 v[123:124], v124 offset1:1
	ds_read2_b32 v[125:126], v125 offset1:1
	v_add_nc_u32_e32 v160, 0x4140, v31
	s_waitcnt lgkmcnt(3)
	v_dot4c_i32_i8 v177, v137, v129
	v_cvt_f32_i32_e32 v137, v135
	v_add_nc_u32_e32 v135, 0x4168, v31
	ds_read2_b32 v[135:136], v135 offset1:1
	ds_read2_b32 v[162:163], v155 offset1:1
	;; [unrolled: 1-line block ×5, first 2 shown]
	v_dot4c_i32_i8 v177, v138, v130
	v_fma_f32 v138, v131, v139, 0
	v_mov_b32_e32 v139, 0
	v_bfe_i32 v155, v158, 16, 8
	v_ashrrev_i32_e32 v158, 24, v158
	v_dot4c_i32_i8 v176, v161, v154
	v_mov_b32_e32 v161, 0
	v_bfe_i32 v160, v159, 16, 8
	v_ashrrev_i32_e32 v159, 24, v159
	v_mul_lo_u32 v116, v116, v158
	s_waitcnt lgkmcnt(5)
	v_dot4c_i32_i8 v139, v125, v151
	v_mov_b32_e32 v151, 0
	v_fma_f32 v137, v133, v137, 0
	v_fmac_f32_e32 v22, v174, v173
	v_fmac_f32_e32 v20, v117, v170
	v_dot4c_i32_i8 v139, v126, v152
	v_dot4c_i32_i8 v151, v123, v143
	s_waitcnt lgkmcnt(2)
	v_dot4c_i32_i8 v178, v164, v147
	v_dot4c_i32_i8 v161, v162, v127
	v_ashrrev_i32_e32 v127, 24, v157
	s_waitcnt lgkmcnt(0)
	v_dot4c_i32_i8 v139, v168, v153
	v_dot4c_i32_i8 v151, v124, v144
	v_mad_u64_u32 v[124:125], null, v118, v155, v[116:117]
	v_bfe_i32 v116, v156, 8, 8
	v_dot4c_i32_i8 v178, v165, v148
	v_dot4c_i32_i8 v151, v140, v145
	v_bfe_i32 v118, v157, 8, 8
	v_bfe_i32 v125, v156, 0, 8
	v_mul_lo_u32 v116, v121, v116
	v_ashrrev_i32_e32 v121, 24, v156
	v_dot4c_i32_i8 v151, v141, v146
	v_dot4c_i32_i8 v178, v166, v149
	v_dot4c_i32_i8 v161, v163, v128
	v_dot4c_i32_i8 v139, v169, v154
	v_mul_lo_u32 v120, v120, v121
	v_mul_lo_u32 v118, v151, v118
	v_mad_u64_u32 v[121:122], null, v122, v125, v[116:117]
	v_dot4c_i32_i8 v178, v167, v150
	v_bfe_i32 v126, v157, 0, 8
	v_dot4c_i32_i8 v161, v135, v129
	v_bfe_i32 v122, v156, 16, 8
	v_mul_lo_u32 v123, v176, v159
	v_mul_lo_u32 v116, v139, v127
	v_mad_u64_u32 v[125:126], null, v178, v126, v[118:119]
	v_dot4c_i32_i8 v161, v136, v130
	v_bfe_i32 v126, v157, 16, 8
	v_mad_u64_u32 v[118:119], null, v119, v122, v[120:121]
	v_cvt_f32_i32_e32 v122, v121
	v_mad_u64_u32 v[119:120], null, v177, v160, v[123:124]
	v_mad_u64_u32 v[120:121], null, v161, v126, v[116:117]
	v_cvt_f32_i32_e32 v116, v124
	v_cvt_f32_i32_e32 v121, v125
	v_fma_f32 v122, v131, v122, 0
	v_cvt_f32_i32_e32 v118, v118
	v_cvt_f32_i32_e32 v119, v119
	v_fmac_f32_e32 v138, v132, v116
	v_fma_f32 v116, v133, v121, 0
	v_cvt_f32_i32_e32 v120, v120
	v_fmac_f32_e32 v122, v132, v118
	v_fmac_f32_e32 v137, v134, v119
	;; [unrolled: 1-line block ×8, first 2 shown]
	s_cmp_ge_i32 s4, s9
	v_fmac_f32_e32 v103, v171, v116
	s_barrier
	buffer_gl0_inv
	s_cbranch_scc1 .LBB216_5
; %bb.12:                               ;   in Loop: Header=BB216_6 Depth=1
	v_cmp_gt_i32_e64 s1, s18, v29
	s_and_b32 s5, s0, s1
	s_and_saveexec_b32 s1, s5
	s_cbranch_execz .LBB216_14
; %bb.13:                               ;   in Loop: Header=BB216_6 Depth=1
	v_add_nc_u32_e32 v116, v39, v29
	v_mad_i64_i32 v[116:117], null, v116, 36, v[18:19]
	global_load_dword v116, v[116:117], off offset:4
	s_waitcnt vmcnt(0)
	ds_write_b32 v27, v116
.LBB216_14:                             ;   in Loop: Header=BB216_6 Depth=1
	s_or_b32 exec_lo, exec_lo, s1
	s_and_saveexec_b32 s5, vcc_lo
	s_cbranch_execz .LBB216_4
; %bb.15:                               ;   in Loop: Header=BB216_6 Depth=1
	v_add_nc_u32_e32 v116, 4, v115
	v_cmp_gt_i32_e64 s1, s18, v116
	s_and_b32 s1, s0, s1
	s_and_b32 exec_lo, exec_lo, s1
	s_cbranch_execz .LBB216_4
; %bb.16:                               ;   in Loop: Header=BB216_6 Depth=1
	v_ashrrev_i32_e32 v116, 31, v115
	v_add_co_u32 v117, s1, v39, v115
	v_add_co_ci_u32_e64 v118, null, v40, v116, s1
	v_mad_u64_u32 v[116:117], null, v117, 36, s[6:7]
	v_mad_i32_i24 v117, v118, 36, v117
	global_load_dword v116, v[116:117], off offset:144
	v_add_nc_u32_e32 v117, v25, v1
	s_waitcnt vmcnt(0)
	v_cvt_f32_f16_e32 v116, v116
	ds_write_b32 v117, v116
	s_branch .LBB216_4
.LBB216_17:
	s_mul_i32 s0, s14, s11
	s_waitcnt vmcnt(0)
	v_cmp_gt_i32_e32 vcc_lo, s0, v21
	s_and_saveexec_b32 s0, vcc_lo
	s_cbranch_execz .LBB216_26
; %bb.18:
	v_add_nc_u32_e32 v1, s15, v0
	v_mul_lo_u32 v0, v21, s13
	s_mov_b32 s0, exec_lo
	v_cmpx_gt_u32_e64 s13, v1
	s_cbranch_execz .LBB216_20
; %bb.19:
	v_add_nc_u32_e32 v2, v0, v1
	v_mov_b32_e32 v3, 0
	v_cvt_f16_f32_e32 v4, v22
	v_lshlrev_b64 v[2:3], 1, v[2:3]
	v_add_co_u32 v2, vcc_lo, s2, v2
	v_add_co_ci_u32_e64 v3, null, s3, v3, vcc_lo
	global_store_short v[2:3], v4, off
.LBB216_20:
	s_or_b32 exec_lo, exec_lo, s0
	v_add_nc_u32_e32 v2, 32, v1
	s_mov_b32 s0, exec_lo
	v_cmpx_gt_u32_e64 s13, v2
	s_cbranch_execz .LBB216_22
; %bb.21:
	v_add_nc_u32_e32 v2, v0, v2
	v_mov_b32_e32 v3, 0
	v_cvt_f16_f32_e32 v4, v106
	v_lshlrev_b64 v[2:3], 1, v[2:3]
	v_add_co_u32 v2, vcc_lo, s2, v2
	v_add_co_ci_u32_e64 v3, null, s3, v3, vcc_lo
	global_store_short v[2:3], v4, off
.LBB216_22:
	s_or_b32 exec_lo, exec_lo, s0
	v_add_nc_u32_e32 v2, 64, v1
	s_mov_b32 s0, exec_lo
	v_cmpx_gt_u32_e64 s13, v2
	s_cbranch_execz .LBB216_24
; %bb.23:
	v_add_nc_u32_e32 v2, v0, v2
	v_mov_b32_e32 v3, 0
	v_cvt_f16_f32_e32 v4, v103
	v_lshlrev_b64 v[2:3], 1, v[2:3]
	v_add_co_u32 v2, vcc_lo, s2, v2
	v_add_co_ci_u32_e64 v3, null, s3, v3, vcc_lo
	global_store_short v[2:3], v4, off
.LBB216_24:
	s_or_b32 exec_lo, exec_lo, s0
	v_add_nc_u32_e32 v1, 0x60, v1
	v_cmp_gt_u32_e32 vcc_lo, s13, v1
	s_and_b32 exec_lo, exec_lo, vcc_lo
	s_cbranch_execz .LBB216_26
; %bb.25:
	v_add_nc_u32_e32 v0, v0, v1
	v_mov_b32_e32 v1, 0
	v_cvt_f16_f32_e32 v2, v20
	v_lshlrev_b64 v[0:1], 1, v[0:1]
	v_add_co_u32 v0, vcc_lo, s2, v0
	v_add_co_ci_u32_e64 v1, null, s3, v1, vcc_lo
	global_store_short v[0:1], v2, off
.LBB216_26:
	s_endpgm
	.section	.rodata,"a",@progbits
	.p2align	6, 0x0
	.amdhsa_kernel _ZL8moe_q6_KIN3c104HalfELb1EEvPKvS3_PT_PKiS7_S7_iiiiiii
		.amdhsa_group_segment_fixed_size 37072
		.amdhsa_private_segment_fixed_size 0
		.amdhsa_kernarg_size 76
		.amdhsa_user_sgpr_count 6
		.amdhsa_user_sgpr_private_segment_buffer 1
		.amdhsa_user_sgpr_dispatch_ptr 0
		.amdhsa_user_sgpr_queue_ptr 0
		.amdhsa_user_sgpr_kernarg_segment_ptr 1
		.amdhsa_user_sgpr_dispatch_id 0
		.amdhsa_user_sgpr_flat_scratch_init 0
		.amdhsa_user_sgpr_private_segment_size 0
		.amdhsa_wavefront_size32 1
		.amdhsa_uses_dynamic_stack 0
		.amdhsa_system_sgpr_private_segment_wavefront_offset 0
		.amdhsa_system_sgpr_workgroup_id_x 1
		.amdhsa_system_sgpr_workgroup_id_y 1
		.amdhsa_system_sgpr_workgroup_id_z 0
		.amdhsa_system_sgpr_workgroup_info 0
		.amdhsa_system_vgpr_workitem_id 1
		.amdhsa_next_free_vgpr 188
		.amdhsa_next_free_sgpr 22
		.amdhsa_reserve_vcc 1
		.amdhsa_reserve_flat_scratch 0
		.amdhsa_float_round_mode_32 0
		.amdhsa_float_round_mode_16_64 0
		.amdhsa_float_denorm_mode_32 3
		.amdhsa_float_denorm_mode_16_64 3
		.amdhsa_dx10_clamp 1
		.amdhsa_ieee_mode 1
		.amdhsa_fp16_overflow 0
		.amdhsa_workgroup_processor_mode 1
		.amdhsa_memory_ordered 1
		.amdhsa_forward_progress 1
		.amdhsa_shared_vgpr_count 0
		.amdhsa_exception_fp_ieee_invalid_op 0
		.amdhsa_exception_fp_denorm_src 0
		.amdhsa_exception_fp_ieee_div_zero 0
		.amdhsa_exception_fp_ieee_overflow 0
		.amdhsa_exception_fp_ieee_underflow 0
		.amdhsa_exception_fp_ieee_inexact 0
		.amdhsa_exception_int_div_zero 0
	.end_amdhsa_kernel
	.section	.text._ZL8moe_q6_KIN3c104HalfELb1EEvPKvS3_PT_PKiS7_S7_iiiiiii,"axG",@progbits,_ZL8moe_q6_KIN3c104HalfELb1EEvPKvS3_PT_PKiS7_S7_iiiiiii,comdat
.Lfunc_end216:
	.size	_ZL8moe_q6_KIN3c104HalfELb1EEvPKvS3_PT_PKiS7_S7_iiiiiii, .Lfunc_end216-_ZL8moe_q6_KIN3c104HalfELb1EEvPKvS3_PT_PKiS7_S7_iiiiiii
                                        ; -- End function
	.set _ZL8moe_q6_KIN3c104HalfELb1EEvPKvS3_PT_PKiS7_S7_iiiiiii.num_vgpr, 188
	.set _ZL8moe_q6_KIN3c104HalfELb1EEvPKvS3_PT_PKiS7_S7_iiiiiii.num_agpr, 0
	.set _ZL8moe_q6_KIN3c104HalfELb1EEvPKvS3_PT_PKiS7_S7_iiiiiii.numbered_sgpr, 22
	.set _ZL8moe_q6_KIN3c104HalfELb1EEvPKvS3_PT_PKiS7_S7_iiiiiii.num_named_barrier, 0
	.set _ZL8moe_q6_KIN3c104HalfELb1EEvPKvS3_PT_PKiS7_S7_iiiiiii.private_seg_size, 0
	.set _ZL8moe_q6_KIN3c104HalfELb1EEvPKvS3_PT_PKiS7_S7_iiiiiii.uses_vcc, 1
	.set _ZL8moe_q6_KIN3c104HalfELb1EEvPKvS3_PT_PKiS7_S7_iiiiiii.uses_flat_scratch, 0
	.set _ZL8moe_q6_KIN3c104HalfELb1EEvPKvS3_PT_PKiS7_S7_iiiiiii.has_dyn_sized_stack, 0
	.set _ZL8moe_q6_KIN3c104HalfELb1EEvPKvS3_PT_PKiS7_S7_iiiiiii.has_recursion, 0
	.set _ZL8moe_q6_KIN3c104HalfELb1EEvPKvS3_PT_PKiS7_S7_iiiiiii.has_indirect_call, 0
	.section	.AMDGPU.csdata,"",@progbits
; Kernel info:
; codeLenInByte = 15132
; TotalNumSgprs: 24
; NumVgprs: 188
; ScratchSize: 0
; MemoryBound: 0
; FloatMode: 240
; IeeeMode: 1
; LDSByteSize: 37072 bytes/workgroup (compile time only)
; SGPRBlocks: 0
; VGPRBlocks: 23
; NumSGPRsForWavesPerEU: 24
; NumVGPRsForWavesPerEU: 188
; Occupancy: 5
; WaveLimiterHint : 1
; COMPUTE_PGM_RSRC2:SCRATCH_EN: 0
; COMPUTE_PGM_RSRC2:USER_SGPR: 6
; COMPUTE_PGM_RSRC2:TRAP_HANDLER: 0
; COMPUTE_PGM_RSRC2:TGID_X_EN: 1
; COMPUTE_PGM_RSRC2:TGID_Y_EN: 1
; COMPUTE_PGM_RSRC2:TGID_Z_EN: 0
; COMPUTE_PGM_RSRC2:TIDIG_COMP_CNT: 1
	.section	.text._ZL8moe_q4_0IN3c108BFloat16ELb0EEvPKvS3_PT_PKiS7_S7_iiiiiii,"axG",@progbits,_ZL8moe_q4_0IN3c108BFloat16ELb0EEvPKvS3_PT_PKiS7_S7_iiiiiii,comdat
	.globl	_ZL8moe_q4_0IN3c108BFloat16ELb0EEvPKvS3_PT_PKiS7_S7_iiiiiii ; -- Begin function _ZL8moe_q4_0IN3c108BFloat16ELb0EEvPKvS3_PT_PKiS7_S7_iiiiiii
	.p2align	8
	.type	_ZL8moe_q4_0IN3c108BFloat16ELb0EEvPKvS3_PT_PKiS7_S7_iiiiiii,@function
_ZL8moe_q4_0IN3c108BFloat16ELb0EEvPKvS3_PT_PKiS7_S7_iiiiiii: ; @_ZL8moe_q4_0IN3c108BFloat16ELb0EEvPKvS3_PT_PKiS7_S7_iiiiiii
; %bb.0:
	s_load_dwordx4 s[0:3], s[4:5], 0x18
	s_mov_b32 s8, s7
	s_mov_b32 s9, 0
	s_lshl_b64 s[10:11], s[8:9], 2
	s_waitcnt lgkmcnt(0)
	s_add_u32 s2, s2, s10
	s_addc_u32 s3, s3, s11
	s_load_dword s7, s[2:3], 0x0
	s_waitcnt lgkmcnt(0)
	s_cmpk_gt_u32 s7, 0xff
	s_cbranch_scc1 .LBB217_30
; %bb.1:
	s_load_dwordx2 s[2:3], s[4:5], 0x28
	s_waitcnt lgkmcnt(0)
	s_load_dword s3, s[2:3], 0x0
	s_lshl_b32 s2, s8, 3
	s_waitcnt lgkmcnt(0)
	s_cmp_gt_u32 s2, s3
	s_cbranch_scc1 .LBB217_30
; %bb.2:
	v_add_nc_u32_e32 v2, s2, v1
	v_mov_b32_e32 v3, 0
	s_lshl_b32 s6, s6, 7
	v_lshlrev_b64 v[4:5], 2, v[2:3]
	v_mov_b32_e32 v10, v3
	v_mov_b32_e32 v20, v3
	v_add_co_u32 v4, vcc_lo, s0, v4
	v_add_co_ci_u32_e64 v5, null, s1, v5, vcc_lo
	global_load_dword v4, v[4:5], off
	s_clause 0x2
	s_load_dwordx2 s[14:15], s[4:5], 0x30
	s_load_dwordx2 s[12:13], s[4:5], 0x10
	s_load_dwordx4 s[8:11], s[4:5], 0x3c
	v_mov_b32_e32 v5, v3
	s_waitcnt lgkmcnt(0)
	s_cmp_lt_i32 s15, 32
	s_cbranch_scc1 .LBB217_21
; %bb.3:
	s_load_dwordx4 s[0:3], s[4:5], 0x0
	s_ashr_i32 s4, s15, 31
	s_ashr_i32 s5, s9, 31
	s_lshr_b32 s4, s4, 27
	s_lshr_b32 s5, s5, 27
	s_add_i32 s4, s15, s4
	s_mul_i32 s14, s7, s14
	s_ashr_i32 s7, s4, 5
	s_add_i32 s5, s9, s5
	s_mul_i32 s17, s7, s6
	s_ashr_i32 s16, s14, 31
	s_ashr_i32 s9, s5, 5
	s_mul_hi_i32 s5, s17, 18
	s_mul_i32 s17, s17, 18
	v_mul_lo_u32 v13, s7, v1
	v_lshlrev_b32_e32 v2, 2, v0
	v_lshl_add_u32 v9, v1, 4, 0x5680
	s_waitcnt vmcnt(0)
	v_xor_b32_e32 v19, s11, v4
	v_and_b32_e32 v10, 31, v0
	v_lshl_add_u32 v8, v1, 7, 0x5280
	s_waitcnt lgkmcnt(0)
	s_add_u32 s0, s0, s14
	s_addc_u32 s1, s1, s16
	s_add_u32 s14, s0, s17
	s_addc_u32 s16, s1, s5
	s_abs_i32 s1, s11
	s_lshl_b32 s5, s7, 3
	v_cvt_f32_u32_e32 v3, s1
	s_sub_i32 s0, 0, s1
	v_add_nc_u32_e32 v15, s5, v13
	v_sub_nc_u32_e32 v23, 0, v4
	v_add_nc_u32_e32 v21, 64, v0
	v_rcp_iflag_f32_e32 v3, v3
	v_and_b32_e32 v12, 12, v2
	v_mad_u32_u24 v14, 0x84, v1, v2
	v_and_b32_e32 v46, 28, v2
	v_add_nc_u32_e32 v17, v9, v2
	v_ashrrev_i32_e32 v2, 31, v19
	v_add_nc_u32_e32 v19, s5, v15
	v_lshl_or_b32 v16, v10, 2, v8
	v_max_i32_e32 v10, v4, v23
	v_lshlrev_b32_e32 v29, 5, v0
	v_mul_f32_e32 v3, 0x4f7ffffe, v3
	v_and_b32_e32 v24, 0xfc, v0
	v_and_b32_e32 v31, 0x1fc, v21
	v_add_nc_u32_e32 v21, s5, v19
	v_lshrrev_b32_e32 v7, 3, v0
	v_cvt_u32_f32_e32 v3, v3
	v_add_nc_u32_e32 v50, v29, v24
	v_add_nc_u32_e32 v20, 32, v0
	;; [unrolled: 1-line block ×4, first 2 shown]
	v_mul_lo_u32 v25, s0, v3
	v_lshl_add_u32 v1, v1, 2, v7
	v_lshrrev_b32_e32 v18, 3, v20
	v_add_nc_u32_e32 v27, s5, v24
	v_and_b32_e32 v30, 0x1fc, v22
	v_and_b32_e32 v20, 0x1fc, v20
	v_add_nc_u32_e32 v33, 32, v1
	v_add_nc_u32_e32 v34, 64, v1
	v_mul_hi_u32 v25, v3, v25
	v_add_nc_u32_e32 v28, s5, v27
	v_and_b32_e32 v6, 7, v0
	v_add_nc_u32_e32 v38, v29, v30
	v_add_nc_u32_e32 v39, v29, v31
	;; [unrolled: 1-line block ×4, first 2 shown]
	v_mul_lo_u32 v26, s7, v1
	v_add_nc_u32_e32 v3, v3, v25
	v_and_b32_e32 v32, 0x7fc, v1
	v_lshlrev_b32_e32 v51, 5, v1
	v_add_nc_u32_e32 v1, 0x60, v1
	v_and_b32_e32 v41, 0xffc, v33
	v_mul_hi_u32 v3, v10, v3
	v_lshlrev_b32_e32 v53, 5, v33
	v_and_b32_e32 v44, 0xffc, v34
	v_lshlrev_b32_e32 v54, 5, v34
	v_lshlrev_b32_e32 v43, 2, v6
	v_add_nc_u32_e32 v31, s5, v29
	v_and_b32_e32 v45, 0xffc, v1
	v_lshlrev_b32_e32 v55, 5, v1
	v_mul_lo_u32 v35, v3, s1
	v_add_nc_u32_e32 v33, 1, v3
	v_add3_u32 v52, v32, v43, 0x4200
	v_add_nc_u32_e32 v32, s5, v31
	s_andn2_b32 s4, s4, 31
	v_add3_u32 v57, v45, v43, 0x4200
	v_add3_u32 v56, v44, v43, 0x4200
	v_cmp_gt_u32_e32 vcc_lo, 4, v0
	v_sub_nc_u32_e32 v10, v10, v35
	v_mov_b32_e32 v5, 0
	v_mad_u32_u24 v11, 0x84, v0, 64
	v_add_nc_u32_e32 v22, 0x35a0, v14
	v_add_nc_u32_e32 v23, 0x39c0, v14
	v_subrev_nc_u32_e32 v34, s1, v10
	v_cmp_le_u32_e64 s0, s1, v10
	v_add_nc_u32_e32 v25, 0x3de0, v14
	v_add_nc_u32_e32 v30, 0x4200, v50
	;; [unrolled: 1-line block ×4, first 2 shown]
	v_cndmask_b32_e64 v3, v3, v33, s0
	v_cndmask_b32_e64 v1, v10, v34, s0
	v_add_nc_u32_e32 v33, s5, v32
	v_add_nc_u32_e32 v34, 0x4e00, v38
	;; [unrolled: 1-line block ×4, first 2 shown]
	v_cmp_le_u32_e64 s0, s1, v1
	v_add_nc_u32_e32 v36, s5, v33
	v_add_nc_u32_e32 v39, 0x4a10, v39
	;; [unrolled: 1-line block ×4, first 2 shown]
	v_cndmask_b32_e64 v1, v3, v10, s0
	v_add_nc_u32_e32 v40, s5, v36
	v_add3_u32 v3, v41, v43, 0x4200
	v_add_nc_u32_e32 v41, s4, v26
	v_add_nc_u32_e32 v51, v52, v51
	v_xor_b32_e32 v1, v1, v2
	v_add_nc_u32_e32 v42, s5, v40
	v_add_nc_u32_e32 v52, v3, v53
	;; [unrolled: 1-line block ×4, first 2 shown]
	v_sub_nc_u32_e32 v10, v1, v2
	v_add_nc_u32_e32 v44, s5, v42
	v_add_co_u32 v1, s0, s2, v46
	v_add_co_ci_u32_e64 v2, null, s3, 0, s0
	v_mul_lo_u32 v45, v10, s9
	v_cmp_gt_i32_e64 s0, s8, v10
	v_add_nc_u32_e32 v46, s4, v43
	v_add_nc_u32_e32 v47, s5, v44
	;; [unrolled: 1-line block ×3, first 2 shown]
	v_mov_b32_e32 v20, 0
	v_mov_b32_e32 v10, 0
	;; [unrolled: 1-line block ×3, first 2 shown]
	v_ashrrev_i32_e32 v48, 31, v45
	s_mov_b32 s17, 0
	s_and_b32 s18, vcc_lo, s0
	s_branch .LBB217_5
.LBB217_4:                              ;   in Loop: Header=BB217_5 Depth=1
	s_add_i32 s17, s17, 8
	s_cmp_ge_i32 s17, s7
	s_cbranch_scc1 .LBB217_21
.LBB217_5:                              ; =>This Loop Header: Depth=1
                                        ;     Child Loop BB217_11 Depth 2
                                        ;     Child Loop BB217_19 Depth 2
	s_mul_i32 s1, s17, 18
	v_lshrrev_b32_e32 v55, 2, v0
	s_mul_hi_u32 s5, s17, 18
	s_add_u32 s4, s14, s1
	s_addc_u32 s5, s16, s5
	v_mad_u64_u32 v[55:56], null, v55, 18, s[4:5]
	v_mad_u64_u32 v[57:58], null, v13, 18, v[55:56]
	;; [unrolled: 1-line block ×5, first 2 shown]
	v_add_co_u32 v57, s1, v57, v12
	v_mad_u64_u32 v[65:66], null, v24, 18, v[55:56]
	v_add_co_ci_u32_e64 v58, null, 0, v58, s1
	v_add_co_u32 v59, s1, v59, v12
	v_mad_u64_u32 v[67:68], null, v27, 18, v[55:56]
	v_add_co_ci_u32_e64 v60, null, 0, v60, s1
	v_add_co_u32 v61, s1, v61, v12
	v_mad_u64_u32 v[69:70], null, v28, 18, v[55:56]
	v_add_co_ci_u32_e64 v62, null, 0, v62, s1
	v_add_co_u32 v63, s1, v63, v12
	v_mad_u64_u32 v[71:72], null, v29, 18, v[55:56]
	v_add_co_ci_u32_e64 v64, null, 0, v64, s1
	v_add_co_u32 v65, s1, v65, v12
	v_add_co_ci_u32_e64 v66, null, 0, v66, s1
	v_add_co_u32 v67, s1, v67, v12
	v_add_co_ci_u32_e64 v68, null, 0, v68, s1
	;; [unrolled: 2-line block ×3, first 2 shown]
	v_add_co_u32 v71, s1, v71, v12
	v_mad_u64_u32 v[73:74], null, v31, 18, v[55:56]
	v_add_co_ci_u32_e64 v72, null, 0, v72, s1
	s_clause 0x7
	global_load_dword v79, v[57:58], off offset:2
	global_load_dword v80, v[59:60], off offset:2
	global_load_dword v81, v[61:62], off offset:2
	global_load_dword v82, v[63:64], off offset:2
	global_load_dword v83, v[65:66], off offset:2
	global_load_dword v84, v[67:68], off offset:2
	global_load_dword v85, v[69:70], off offset:2
	global_load_dword v86, v[71:72], off offset:2
	v_mad_u64_u32 v[57:58], null, v32, 18, v[55:56]
	v_mad_u64_u32 v[61:62], null, v33, 18, v[55:56]
	;; [unrolled: 1-line block ×4, first 2 shown]
	v_add_co_u32 v59, s1, v73, v12
	v_mad_u64_u32 v[65:66], null, v40, 18, v[55:56]
	v_add_co_ci_u32_e64 v60, null, 0, v74, s1
	v_add_co_u32 v57, s1, v57, v12
	v_mad_u64_u32 v[67:68], null, v42, 18, v[55:56]
	v_add_co_ci_u32_e64 v58, null, 0, v58, s1
	v_add_co_u32 v61, s1, v61, v12
	v_mad_u64_u32 v[71:72], null, v26, 18, v[69:70]
	v_mad_u64_u32 v[77:78], null, v44, 18, v[55:56]
	;; [unrolled: 1-line block ×3, first 2 shown]
	v_add_co_ci_u32_e64 v62, null, 0, v62, s1
	v_add_co_u32 v63, s1, v63, v12
	v_mad_u64_u32 v[75:76], null, v43, 18, v[69:70]
	v_mad_u64_u32 v[55:56], null, v47, 18, v[55:56]
	;; [unrolled: 1-line block ×3, first 2 shown]
	v_add_co_ci_u32_e64 v64, null, 0, v64, s1
	v_add_co_u32 v65, s1, v65, v12
	v_add_co_ci_u32_e64 v66, null, 0, v66, s1
	v_add_co_u32 v67, s1, v67, v12
	v_add_co_ci_u32_e64 v68, null, 0, v68, s1
	s_clause 0x3
	global_load_ushort v71, v[71:72], off
	global_load_ushort v72, v[73:74], off
	;; [unrolled: 1-line block ×4, first 2 shown]
	v_add_co_u32 v69, s1, v77, v12
	v_add_co_ci_u32_e64 v70, null, 0, v78, s1
	v_add_co_u32 v55, s1, v55, v12
	v_add_co_ci_u32_e64 v56, null, 0, v56, s1
	s_clause 0x7
	global_load_dword v59, v[59:60], off offset:2
	global_load_dword v57, v[57:58], off offset:2
	;; [unrolled: 1-line block ×8, first 2 shown]
	v_add_nc_u32_e32 v56, 0x420, v14
	s_lshl_b32 s4, s17, 5
	v_add_nc_u32_e32 v64, 0x840, v14
	v_add_nc_u32_e32 v65, 0xc60, v14
	s_cmp_lt_i32 s4, s15
	v_add_nc_u32_e32 v66, 0x1080, v14
	v_add_nc_u32_e32 v67, 0x14a0, v14
	;; [unrolled: 1-line block ×9, first 2 shown]
	s_waitcnt vmcnt(11)
	v_cvt_f32_f16_e32 v71, v71
	s_waitcnt vmcnt(10)
	v_cvt_f32_f16_e32 v72, v72
	;; [unrolled: 2-line block ×4, first 2 shown]
	ds_write_b32 v14, v79
	ds_write_b32 v56, v80
	;; [unrolled: 1-line block ×8, first 2 shown]
	s_waitcnt vmcnt(7)
	ds_write_b32 v70, v59
	s_waitcnt vmcnt(6)
	ds_write_b32 v75, v57
	;; [unrolled: 2-line block ×8, first 2 shown]
	ds_write_b32 v51, v71
	ds_write_b32 v52, v72
	;; [unrolled: 1-line block ×4, first 2 shown]
	s_cbranch_scc0 .LBB217_4
; %bb.6:                                ;   in Loop: Header=BB217_5 Depth=1
	v_add_nc_u32_e32 v55, s17, v7
	v_cmp_gt_i32_e64 s1, s9, v55
	s_and_b32 s5, s0, s1
	s_and_saveexec_b32 s1, s5
	s_cbranch_execz .LBB217_8
; %bb.7:                                ;   in Loop: Header=BB217_5 Depth=1
	v_add_nc_u32_e32 v55, v45, v55
	v_mad_i64_i32 v[55:56], null, v55, 36, v[1:2]
	global_load_dword v55, v[55:56], off offset:4
	s_waitcnt vmcnt(0)
	ds_write_b32 v16, v55
.LBB217_8:                              ;   in Loop: Header=BB217_5 Depth=1
	s_or_b32 exec_lo, exec_lo, s1
	v_add_nc_u32_e32 v55, s17, v0
	v_cmp_gt_i32_e64 s1, s9, v55
	s_and_b32 s5, s18, s1
	s_and_saveexec_b32 s1, s5
	s_cbranch_execz .LBB217_10
; %bb.9:                                ;   in Loop: Header=BB217_5 Depth=1
	v_add_nc_u32_e32 v56, v45, v55
	v_mad_i64_i32 v[56:57], null, v56, 36, s[2:3]
	global_load_dword v56, v[56:57], off
	s_waitcnt vmcnt(0)
	ds_write_b32 v17, v56
.LBB217_10:                             ;   in Loop: Header=BB217_5 Depth=1
	s_or_b32 exec_lo, exec_lo, s1
	v_mov_b32_e32 v56, v8
	v_mov_b32_e32 v57, v9
	v_mul_u32_u24_e32 v62, 0x84, v0
	v_mov_b32_e32 v58, v30
	v_mov_b32_e32 v59, v37
	;; [unrolled: 1-line block ×4, first 2 shown]
	s_mov_b32 s1, -4
	s_waitcnt lgkmcnt(0)
	s_barrier
	buffer_gl0_inv
.LBB217_11:                             ;   Parent Loop BB217_5 Depth=1
                                        ; =>  This Inner Loop Header: Depth=2
	v_add_nc_u32_e32 v75, 0x1080, v62
	v_add_nc_u32_e32 v77, 0x1088, v62
	;; [unrolled: 1-line block ×3, first 2 shown]
	ds_read_b128 v[63:66], v56
	ds_read_b128 v[67:70], v56 offset:16
	ds_read2_b32 v[71:72], v62 offset0:2 offset1:3
	v_add_nc_u32_e32 v81, 0x2108, v62
	ds_read_b32 v90, v57
	ds_read2_b32 v[73:74], v62 offset1:1
	ds_read_b32 v91, v58
	ds_read_b32 v92, v59
	ds_read_b32 v93, v60
	ds_read_b32 v94, v61
	v_add_nc_u32_e32 v83, 0x3180, v62
	v_add_nc_u32_e32 v85, 0x3188, v62
	ds_read2_b32 v[75:76], v75 offset1:1
	ds_read2_b32 v[77:78], v77 offset1:1
	;; [unrolled: 1-line block ×6, first 2 shown]
	v_mov_b32_e32 v87, 0
	v_mov_b32_e32 v88, 0
	;; [unrolled: 1-line block ×4, first 2 shown]
	v_add_nc_u32_e32 v62, 16, v62
	v_add_nc_u32_e32 v61, 4, v61
	;; [unrolled: 1-line block ×7, first 2 shown]
	s_add_i32 s1, s1, 4
	s_waitcnt lgkmcnt(10)
	v_and_b32_e32 v96, 0xf0f0f0f, v73
	v_lshrrev_b32_e32 v73, 4, v73
	s_waitcnt lgkmcnt(5)
	v_and_b32_e32 v100, 0xf0f0f0f, v76
	v_lshrrev_b32_e32 v76, 4, v76
	s_waitcnt lgkmcnt(4)
	v_and_b32_e32 v101, 0xf0f0f0f, v77
	v_dot4c_i32_i8 v87, v96, v63
	v_and_b32_e32 v73, 0xf0f0f0f, v73
	v_and_b32_e32 v96, 0xf0f0f0f, v75
	v_lshrrev_b32_e32 v75, 4, v75
	v_lshrrev_b32_e32 v77, 4, v77
	s_waitcnt lgkmcnt(3)
	v_and_b32_e32 v103, 0xf0f0f0f, v79
	v_lshrrev_b32_e32 v79, 4, v79
	s_waitcnt lgkmcnt(1)
	v_and_b32_e32 v107, 0xf0f0f0f, v83
	v_lshrrev_b32_e32 v83, 4, v83
	v_dot4c_i32_i8 v87, v73, v67
	v_and_b32_e32 v73, 0xf0f0f0f, v75
	v_dot4c_i32_i8 v88, v96, v63
	v_and_b32_e32 v75, 0xf0f0f0f, v76
	v_and_b32_e32 v76, 0xf0f0f0f, v77
	;; [unrolled: 1-line block ×3, first 2 shown]
	v_dot4c_i32_i8 v89, v103, v63
	v_and_b32_e32 v79, 0xf0f0f0f, v83
	v_dot4c_i32_i8 v95, v107, v63
	v_and_b32_e32 v97, 0xf0f0f0f, v74
	v_lshrrev_b32_e32 v74, 4, v74
	v_and_b32_e32 v102, 0xf0f0f0f, v78
	v_lshrrev_b32_e32 v78, 4, v78
	v_and_b32_e32 v104, 0xf0f0f0f, v80
	v_lshrrev_b32_e32 v80, 4, v80
	v_and_b32_e32 v108, 0xf0f0f0f, v84
	v_lshrrev_b32_e32 v84, 4, v84
	v_dot4c_i32_i8 v88, v73, v67
	v_dot4c_i32_i8 v89, v77, v67
	v_dot4c_i32_i8 v95, v79, v67
	v_and_b32_e32 v74, 0xf0f0f0f, v74
	v_and_b32_e32 v63, 0xf0f0f0f, v78
	;; [unrolled: 1-line block ×4, first 2 shown]
	v_dot4c_i32_i8 v87, v97, v64
	v_dot4c_i32_i8 v88, v100, v64
	;; [unrolled: 1-line block ×4, first 2 shown]
	v_and_b32_e32 v98, 0xf0f0f0f, v71
	v_lshrrev_b32_e32 v71, 4, v71
	v_and_b32_e32 v105, 0xf0f0f0f, v81
	v_lshrrev_b32_e32 v81, 4, v81
	s_waitcnt lgkmcnt(0)
	v_and_b32_e32 v109, 0xf0f0f0f, v85
	v_lshrrev_b32_e32 v85, 4, v85
	v_dot4c_i32_i8 v87, v74, v68
	v_dot4c_i32_i8 v88, v75, v68
	;; [unrolled: 1-line block ×4, first 2 shown]
	v_and_b32_e32 v71, 0xf0f0f0f, v71
	v_and_b32_e32 v64, 0xf0f0f0f, v81
	;; [unrolled: 1-line block ×3, first 2 shown]
	v_dot4c_i32_i8 v87, v98, v65
	v_dot4c_i32_i8 v88, v101, v65
	;; [unrolled: 1-line block ×4, first 2 shown]
	v_and_b32_e32 v99, 0xf0f0f0f, v72
	v_lshrrev_b32_e32 v72, 4, v72
	v_and_b32_e32 v106, 0xf0f0f0f, v82
	v_lshrrev_b32_e32 v82, 4, v82
	;; [unrolled: 2-line block ×3, first 2 shown]
	v_dot4c_i32_i8 v87, v71, v69
	v_dot4c_i32_i8 v88, v76, v69
	;; [unrolled: 1-line block ×4, first 2 shown]
	v_and_b32_e32 v72, 0xf0f0f0f, v72
	v_and_b32_e32 v65, 0xf0f0f0f, v82
	;; [unrolled: 1-line block ×3, first 2 shown]
	v_dot4c_i32_i8 v87, v99, v66
	v_dot4c_i32_i8 v88, v102, v66
	;; [unrolled: 1-line block ×4, first 2 shown]
	v_cvt_f32_f16_sdwa v66, v90 dst_sel:DWORD dst_unused:UNUSED_PAD src0_sel:WORD_1
	v_dot4c_i32_i8 v87, v72, v70
	v_dot4c_i32_i8 v88, v63, v70
	;; [unrolled: 1-line block ×4, first 2 shown]
	v_mul_f32_e32 v63, 0xc1000000, v66
	v_cvt_f32_i32_e32 v64, v87
	v_cvt_f32_i32_e32 v65, v88
	;; [unrolled: 1-line block ×4, first 2 shown]
	s_cmp_lt_u32 s1, 12
	v_fma_mix_f32 v64, v90, v64, v63 op_sel_hi:[1,0,0]
	v_fma_mix_f32 v65, v90, v65, v63 op_sel_hi:[1,0,0]
	;; [unrolled: 1-line block ×4, first 2 shown]
	v_fmac_f32_e32 v5, v91, v64
	v_fmac_f32_e32 v20, v92, v65
	;; [unrolled: 1-line block ×4, first 2 shown]
	s_cbranch_scc1 .LBB217_11
; %bb.12:                               ;   in Loop: Header=BB217_5 Depth=1
	s_bitset1_b32 s4, 7
	s_cmp_ge_i32 s4, s15
	s_barrier
	buffer_gl0_inv
	s_cbranch_scc1 .LBB217_4
; %bb.13:                               ;   in Loop: Header=BB217_5 Depth=1
	v_add_nc_u32_e32 v56, s17, v18
	v_cmp_gt_i32_e64 s1, s9, v56
	s_and_b32 s4, s0, s1
	s_and_saveexec_b32 s1, s4
	s_cbranch_execz .LBB217_15
; %bb.14:                               ;   in Loop: Header=BB217_5 Depth=1
	v_add_nc_u32_e32 v56, v45, v56
	v_mad_i64_i32 v[56:57], null, v56, 36, v[1:2]
	global_load_dword v56, v[56:57], off offset:4
	s_waitcnt vmcnt(0)
	ds_write_b32 v16, v56
.LBB217_15:                             ;   in Loop: Header=BB217_5 Depth=1
	s_or_b32 exec_lo, exec_lo, s1
	s_and_saveexec_b32 s4, vcc_lo
	s_cbranch_execz .LBB217_18
; %bb.16:                               ;   in Loop: Header=BB217_5 Depth=1
	v_or_b32_e32 v56, 4, v55
	v_cmp_gt_i32_e64 s1, s9, v56
	s_and_b32 s1, s0, s1
	s_and_b32 exec_lo, exec_lo, s1
	s_cbranch_execz .LBB217_18
; %bb.17:                               ;   in Loop: Header=BB217_5 Depth=1
	v_ashrrev_i32_e32 v56, 31, v55
	v_add_co_u32 v55, s1, v45, v55
	v_add_co_ci_u32_e64 v57, null, v48, v56, s1
	v_mad_u64_u32 v[55:56], null, v55, 36, s[2:3]
	v_mad_i32_i24 v56, v57, 36, v56
	global_load_dword v55, v[55:56], off offset:144
	s_waitcnt vmcnt(0)
	ds_write_b32 v17, v55
.LBB217_18:                             ;   in Loop: Header=BB217_5 Depth=1
	s_or_b32 exec_lo, exec_lo, s4
	v_mov_b32_e32 v55, v9
	v_mov_b32_e32 v56, v8
	;; [unrolled: 1-line block ×7, first 2 shown]
	s_mov_b32 s1, 12
	s_waitcnt lgkmcnt(0)
	s_barrier
	buffer_gl0_inv
.LBB217_19:                             ;   Parent Loop BB217_5 Depth=1
                                        ; =>  This Inner Loop Header: Depth=2
	v_add_nc_u32_e32 v74, 0x1080, v61
	v_add_nc_u32_e32 v76, 0x1088, v61
	;; [unrolled: 1-line block ×3, first 2 shown]
	ds_read_b128 v[62:65], v56
	ds_read_b128 v[66:69], v56 offset:16
	ds_read_b32 v86, v55
	ds_read2_b32 v[70:71], v61 offset0:2 offset1:3
	v_add_nc_u32_e32 v80, 0x2108, v61
	ds_read2_b32 v[72:73], v61 offset1:1
	ds_read_b32 v90, v57
	ds_read_b32 v91, v58
	;; [unrolled: 1-line block ×4, first 2 shown]
	v_add_nc_u32_e32 v82, 0x3180, v61
	v_add_nc_u32_e32 v84, 0x3188, v61
	ds_read2_b32 v[74:75], v74 offset1:1
	ds_read2_b32 v[76:77], v76 offset1:1
	;; [unrolled: 1-line block ×6, first 2 shown]
	v_mov_b32_e32 v87, 0
	v_mov_b32_e32 v88, 0
	;; [unrolled: 1-line block ×4, first 2 shown]
	v_add_nc_u32_e32 v61, 16, v61
	v_add_nc_u32_e32 v60, 4, v60
	;; [unrolled: 1-line block ×7, first 2 shown]
	s_add_i32 s1, s1, 4
	s_waitcnt lgkmcnt(10)
	v_and_b32_e32 v95, 0xf0f0f0f, v72
	v_lshrrev_b32_e32 v72, 4, v72
	s_waitcnt lgkmcnt(5)
	v_and_b32_e32 v99, 0xf0f0f0f, v75
	v_lshrrev_b32_e32 v75, 4, v75
	s_waitcnt lgkmcnt(4)
	v_and_b32_e32 v100, 0xf0f0f0f, v76
	v_dot4c_i32_i8 v87, v95, v62
	v_and_b32_e32 v72, 0xf0f0f0f, v72
	v_and_b32_e32 v95, 0xf0f0f0f, v74
	v_lshrrev_b32_e32 v74, 4, v74
	v_lshrrev_b32_e32 v76, 4, v76
	s_waitcnt lgkmcnt(3)
	v_and_b32_e32 v102, 0xf0f0f0f, v78
	v_lshrrev_b32_e32 v78, 4, v78
	s_waitcnt lgkmcnt(1)
	v_and_b32_e32 v106, 0xf0f0f0f, v82
	v_lshrrev_b32_e32 v82, 4, v82
	v_dot4c_i32_i8 v87, v72, v66
	v_and_b32_e32 v72, 0xf0f0f0f, v74
	v_dot4c_i32_i8 v88, v95, v62
	v_and_b32_e32 v74, 0xf0f0f0f, v75
	v_and_b32_e32 v75, 0xf0f0f0f, v76
	;; [unrolled: 1-line block ×3, first 2 shown]
	v_dot4c_i32_i8 v89, v102, v62
	v_and_b32_e32 v78, 0xf0f0f0f, v82
	v_dot4c_i32_i8 v94, v106, v62
	v_and_b32_e32 v96, 0xf0f0f0f, v73
	v_lshrrev_b32_e32 v73, 4, v73
	v_and_b32_e32 v101, 0xf0f0f0f, v77
	v_lshrrev_b32_e32 v77, 4, v77
	;; [unrolled: 2-line block ×4, first 2 shown]
	v_dot4c_i32_i8 v88, v72, v66
	v_dot4c_i32_i8 v89, v76, v66
	;; [unrolled: 1-line block ×3, first 2 shown]
	v_and_b32_e32 v73, 0xf0f0f0f, v73
	v_and_b32_e32 v62, 0xf0f0f0f, v77
	;; [unrolled: 1-line block ×4, first 2 shown]
	v_dot4c_i32_i8 v87, v96, v63
	v_dot4c_i32_i8 v88, v99, v63
	;; [unrolled: 1-line block ×4, first 2 shown]
	v_and_b32_e32 v97, 0xf0f0f0f, v70
	v_lshrrev_b32_e32 v70, 4, v70
	v_and_b32_e32 v104, 0xf0f0f0f, v80
	v_lshrrev_b32_e32 v80, 4, v80
	s_waitcnt lgkmcnt(0)
	v_and_b32_e32 v108, 0xf0f0f0f, v84
	v_lshrrev_b32_e32 v84, 4, v84
	v_dot4c_i32_i8 v87, v73, v67
	v_dot4c_i32_i8 v88, v74, v67
	;; [unrolled: 1-line block ×4, first 2 shown]
	v_and_b32_e32 v70, 0xf0f0f0f, v70
	v_and_b32_e32 v63, 0xf0f0f0f, v80
	;; [unrolled: 1-line block ×3, first 2 shown]
	v_dot4c_i32_i8 v87, v97, v64
	v_dot4c_i32_i8 v88, v100, v64
	v_dot4c_i32_i8 v89, v104, v64
	v_dot4c_i32_i8 v94, v108, v64
	v_and_b32_e32 v98, 0xf0f0f0f, v71
	v_lshrrev_b32_e32 v71, 4, v71
	v_and_b32_e32 v105, 0xf0f0f0f, v81
	v_lshrrev_b32_e32 v81, 4, v81
	;; [unrolled: 2-line block ×3, first 2 shown]
	v_dot4c_i32_i8 v87, v70, v68
	v_dot4c_i32_i8 v88, v75, v68
	;; [unrolled: 1-line block ×4, first 2 shown]
	v_and_b32_e32 v71, 0xf0f0f0f, v71
	v_and_b32_e32 v64, 0xf0f0f0f, v81
	;; [unrolled: 1-line block ×3, first 2 shown]
	v_dot4c_i32_i8 v87, v98, v65
	v_dot4c_i32_i8 v88, v101, v65
	;; [unrolled: 1-line block ×4, first 2 shown]
	v_cvt_f32_f16_sdwa v65, v86 dst_sel:DWORD dst_unused:UNUSED_PAD src0_sel:WORD_1
	v_dot4c_i32_i8 v87, v71, v69
	v_dot4c_i32_i8 v88, v62, v69
	;; [unrolled: 1-line block ×4, first 2 shown]
	v_mul_f32_e32 v62, 0xc1000000, v65
	v_cvt_f32_i32_e32 v63, v87
	v_cvt_f32_i32_e32 v64, v88
	;; [unrolled: 1-line block ×4, first 2 shown]
	s_cmp_lt_u32 s1, 28
	v_fma_mix_f32 v63, v86, v63, v62 op_sel_hi:[1,0,0]
	v_fma_mix_f32 v64, v86, v64, v62 op_sel_hi:[1,0,0]
	;; [unrolled: 1-line block ×4, first 2 shown]
	v_fmac_f32_e32 v5, v90, v63
	v_fmac_f32_e32 v20, v91, v64
	;; [unrolled: 1-line block ×4, first 2 shown]
	s_cbranch_scc1 .LBB217_19
; %bb.20:                               ;   in Loop: Header=BB217_5 Depth=1
	s_barrier
	buffer_gl0_inv
	s_branch .LBB217_4
.LBB217_21:
	s_mul_i32 s0, s11, s8
	s_waitcnt vmcnt(0)
	v_cmp_gt_i32_e32 vcc_lo, s0, v4
	s_and_saveexec_b32 s0, vcc_lo
	s_cbranch_execz .LBB217_30
; %bb.22:
	v_add_nc_u32_e32 v1, s6, v0
	v_mul_lo_u32 v0, v4, s10
	s_mov_b32 s0, exec_lo
	v_cmpx_gt_u32_e64 s10, v1
	s_cbranch_execz .LBB217_24
; %bb.23:
	v_bfe_u32 v2, v5, 16, 1
	v_add_nc_u32_e32 v6, v0, v1
	v_mov_b32_e32 v7, 0
	v_cmp_o_f32_e32 vcc_lo, v5, v5
	v_mov_b32_e32 v8, 0x7fc0
	v_add3_u32 v2, v5, v2, 0x7fff
	v_lshlrev_b64 v[4:5], 1, v[6:7]
	v_cndmask_b32_sdwa v2, v8, v2, vcc_lo dst_sel:DWORD dst_unused:UNUSED_PAD src0_sel:DWORD src1_sel:WORD_1
	v_add_co_u32 v4, vcc_lo, s12, v4
	v_add_co_ci_u32_e64 v5, null, s13, v5, vcc_lo
	global_store_short v[4:5], v2, off
.LBB217_24:
	s_or_b32 exec_lo, exec_lo, s0
	v_add_nc_u32_e32 v2, 32, v1
	s_mov_b32 s0, exec_lo
	v_cmpx_gt_u32_e64 s10, v2
	s_cbranch_execz .LBB217_26
; %bb.25:
	v_add_nc_u32_e32 v4, v0, v2
	v_mov_b32_e32 v5, 0
	v_bfe_u32 v6, v20, 16, 1
	v_cmp_o_f32_e32 vcc_lo, v20, v20
	v_mov_b32_e32 v2, 0x7fc0
	v_lshlrev_b64 v[4:5], 1, v[4:5]
	v_add3_u32 v6, v20, v6, 0x7fff
	v_cndmask_b32_sdwa v2, v2, v6, vcc_lo dst_sel:DWORD dst_unused:UNUSED_PAD src0_sel:DWORD src1_sel:WORD_1
	v_add_co_u32 v4, vcc_lo, s12, v4
	v_add_co_ci_u32_e64 v5, null, s13, v5, vcc_lo
	global_store_short v[4:5], v2, off
.LBB217_26:
	s_or_b32 exec_lo, exec_lo, s0
	v_add_nc_u32_e32 v2, 64, v1
	s_mov_b32 s0, exec_lo
	v_cmpx_gt_u32_e64 s10, v2
	s_cbranch_execz .LBB217_28
; %bb.27:
	v_add_nc_u32_e32 v4, v0, v2
	v_mov_b32_e32 v5, 0
	v_bfe_u32 v6, v10, 16, 1
	v_cmp_o_f32_e32 vcc_lo, v10, v10
	v_mov_b32_e32 v2, 0x7fc0
	v_lshlrev_b64 v[4:5], 1, v[4:5]
	v_add3_u32 v6, v10, v6, 0x7fff
	v_cndmask_b32_sdwa v2, v2, v6, vcc_lo dst_sel:DWORD dst_unused:UNUSED_PAD src0_sel:DWORD src1_sel:WORD_1
	v_add_co_u32 v4, vcc_lo, s12, v4
	v_add_co_ci_u32_e64 v5, null, s13, v5, vcc_lo
	global_store_short v[4:5], v2, off
.LBB217_28:
	s_or_b32 exec_lo, exec_lo, s0
	v_add_nc_u32_e32 v1, 0x60, v1
	v_cmp_gt_u32_e32 vcc_lo, s10, v1
	s_and_b32 exec_lo, exec_lo, vcc_lo
	s_cbranch_execz .LBB217_30
; %bb.29:
	v_add_nc_u32_e32 v0, v0, v1
	v_mov_b32_e32 v1, 0
	v_bfe_u32 v2, v3, 16, 1
	v_cmp_o_f32_e32 vcc_lo, v3, v3
	v_mov_b32_e32 v4, 0x7fc0
	v_lshlrev_b64 v[0:1], 1, v[0:1]
	v_add3_u32 v2, v3, v2, 0x7fff
	v_cndmask_b32_sdwa v2, v4, v2, vcc_lo dst_sel:DWORD dst_unused:UNUSED_PAD src0_sel:DWORD src1_sel:WORD_1
	v_add_co_u32 v0, vcc_lo, s12, v0
	v_add_co_ci_u32_e64 v1, null, s13, v1, vcc_lo
	global_store_short v[0:1], v2, off
.LBB217_30:
	s_endpgm
	.section	.rodata,"a",@progbits
	.p2align	6, 0x0
	.amdhsa_kernel _ZL8moe_q4_0IN3c108BFloat16ELb0EEvPKvS3_PT_PKiS7_S7_iiiiiii
		.amdhsa_group_segment_fixed_size 22272
		.amdhsa_private_segment_fixed_size 0
		.amdhsa_kernarg_size 76
		.amdhsa_user_sgpr_count 6
		.amdhsa_user_sgpr_private_segment_buffer 1
		.amdhsa_user_sgpr_dispatch_ptr 0
		.amdhsa_user_sgpr_queue_ptr 0
		.amdhsa_user_sgpr_kernarg_segment_ptr 1
		.amdhsa_user_sgpr_dispatch_id 0
		.amdhsa_user_sgpr_flat_scratch_init 0
		.amdhsa_user_sgpr_private_segment_size 0
		.amdhsa_wavefront_size32 1
		.amdhsa_uses_dynamic_stack 0
		.amdhsa_system_sgpr_private_segment_wavefront_offset 0
		.amdhsa_system_sgpr_workgroup_id_x 1
		.amdhsa_system_sgpr_workgroup_id_y 1
		.amdhsa_system_sgpr_workgroup_id_z 0
		.amdhsa_system_sgpr_workgroup_info 0
		.amdhsa_system_vgpr_workitem_id 1
		.amdhsa_next_free_vgpr 111
		.amdhsa_next_free_sgpr 19
		.amdhsa_reserve_vcc 1
		.amdhsa_reserve_flat_scratch 0
		.amdhsa_float_round_mode_32 0
		.amdhsa_float_round_mode_16_64 0
		.amdhsa_float_denorm_mode_32 3
		.amdhsa_float_denorm_mode_16_64 3
		.amdhsa_dx10_clamp 1
		.amdhsa_ieee_mode 1
		.amdhsa_fp16_overflow 0
		.amdhsa_workgroup_processor_mode 1
		.amdhsa_memory_ordered 1
		.amdhsa_forward_progress 1
		.amdhsa_shared_vgpr_count 0
		.amdhsa_exception_fp_ieee_invalid_op 0
		.amdhsa_exception_fp_denorm_src 0
		.amdhsa_exception_fp_ieee_div_zero 0
		.amdhsa_exception_fp_ieee_overflow 0
		.amdhsa_exception_fp_ieee_underflow 0
		.amdhsa_exception_fp_ieee_inexact 0
		.amdhsa_exception_int_div_zero 0
	.end_amdhsa_kernel
	.section	.text._ZL8moe_q4_0IN3c108BFloat16ELb0EEvPKvS3_PT_PKiS7_S7_iiiiiii,"axG",@progbits,_ZL8moe_q4_0IN3c108BFloat16ELb0EEvPKvS3_PT_PKiS7_S7_iiiiiii,comdat
.Lfunc_end217:
	.size	_ZL8moe_q4_0IN3c108BFloat16ELb0EEvPKvS3_PT_PKiS7_S7_iiiiiii, .Lfunc_end217-_ZL8moe_q4_0IN3c108BFloat16ELb0EEvPKvS3_PT_PKiS7_S7_iiiiiii
                                        ; -- End function
	.set _ZL8moe_q4_0IN3c108BFloat16ELb0EEvPKvS3_PT_PKiS7_S7_iiiiiii.num_vgpr, 111
	.set _ZL8moe_q4_0IN3c108BFloat16ELb0EEvPKvS3_PT_PKiS7_S7_iiiiiii.num_agpr, 0
	.set _ZL8moe_q4_0IN3c108BFloat16ELb0EEvPKvS3_PT_PKiS7_S7_iiiiiii.numbered_sgpr, 19
	.set _ZL8moe_q4_0IN3c108BFloat16ELb0EEvPKvS3_PT_PKiS7_S7_iiiiiii.num_named_barrier, 0
	.set _ZL8moe_q4_0IN3c108BFloat16ELb0EEvPKvS3_PT_PKiS7_S7_iiiiiii.private_seg_size, 0
	.set _ZL8moe_q4_0IN3c108BFloat16ELb0EEvPKvS3_PT_PKiS7_S7_iiiiiii.uses_vcc, 1
	.set _ZL8moe_q4_0IN3c108BFloat16ELb0EEvPKvS3_PT_PKiS7_S7_iiiiiii.uses_flat_scratch, 0
	.set _ZL8moe_q4_0IN3c108BFloat16ELb0EEvPKvS3_PT_PKiS7_S7_iiiiiii.has_dyn_sized_stack, 0
	.set _ZL8moe_q4_0IN3c108BFloat16ELb0EEvPKvS3_PT_PKiS7_S7_iiiiiii.has_recursion, 0
	.set _ZL8moe_q4_0IN3c108BFloat16ELb0EEvPKvS3_PT_PKiS7_S7_iiiiiii.has_indirect_call, 0
	.section	.AMDGPU.csdata,"",@progbits
; Kernel info:
; codeLenInByte = 4336
; TotalNumSgprs: 21
; NumVgprs: 111
; ScratchSize: 0
; MemoryBound: 0
; FloatMode: 240
; IeeeMode: 1
; LDSByteSize: 22272 bytes/workgroup (compile time only)
; SGPRBlocks: 0
; VGPRBlocks: 13
; NumSGPRsForWavesPerEU: 21
; NumVGPRsForWavesPerEU: 111
; Occupancy: 9
; WaveLimiterHint : 1
; COMPUTE_PGM_RSRC2:SCRATCH_EN: 0
; COMPUTE_PGM_RSRC2:USER_SGPR: 6
; COMPUTE_PGM_RSRC2:TRAP_HANDLER: 0
; COMPUTE_PGM_RSRC2:TGID_X_EN: 1
; COMPUTE_PGM_RSRC2:TGID_Y_EN: 1
; COMPUTE_PGM_RSRC2:TGID_Z_EN: 0
; COMPUTE_PGM_RSRC2:TIDIG_COMP_CNT: 1
	.section	.text._ZL8moe_q4_0IN3c108BFloat16ELb1EEvPKvS3_PT_PKiS7_S7_iiiiiii,"axG",@progbits,_ZL8moe_q4_0IN3c108BFloat16ELb1EEvPKvS3_PT_PKiS7_S7_iiiiiii,comdat
	.globl	_ZL8moe_q4_0IN3c108BFloat16ELb1EEvPKvS3_PT_PKiS7_S7_iiiiiii ; -- Begin function _ZL8moe_q4_0IN3c108BFloat16ELb1EEvPKvS3_PT_PKiS7_S7_iiiiiii
	.p2align	8
	.type	_ZL8moe_q4_0IN3c108BFloat16ELb1EEvPKvS3_PT_PKiS7_S7_iiiiiii,@function
_ZL8moe_q4_0IN3c108BFloat16ELb1EEvPKvS3_PT_PKiS7_S7_iiiiiii: ; @_ZL8moe_q4_0IN3c108BFloat16ELb1EEvPKvS3_PT_PKiS7_S7_iiiiiii
; %bb.0:
	s_load_dwordx4 s[0:3], s[4:5], 0x18
	s_mov_b32 s8, s7
	s_mov_b32 s9, 0
	s_lshl_b64 s[10:11], s[8:9], 2
	s_waitcnt lgkmcnt(0)
	s_add_u32 s2, s2, s10
	s_addc_u32 s3, s3, s11
	s_load_dword s7, s[2:3], 0x0
	s_waitcnt lgkmcnt(0)
	s_cmpk_gt_u32 s7, 0xff
	s_cbranch_scc1 .LBB218_30
; %bb.1:
	s_load_dwordx2 s[2:3], s[4:5], 0x28
	s_waitcnt lgkmcnt(0)
	s_load_dword s3, s[2:3], 0x0
	s_lshl_b32 s2, s8, 3
	s_waitcnt lgkmcnt(0)
	s_cmp_gt_u32 s2, s3
	s_cbranch_scc1 .LBB218_30
; %bb.2:
	v_add_nc_u32_e32 v12, s2, v1
	v_mov_b32_e32 v13, 0
	s_lshl_b32 s6, s6, 7
	v_lshlrev_b64 v[2:3], 2, v[12:13]
	v_mov_b32_e32 v43, v13
	v_mov_b32_e32 v47, v13
	;; [unrolled: 1-line block ×3, first 2 shown]
	v_add_co_u32 v2, vcc_lo, s0, v2
	v_add_co_ci_u32_e64 v3, null, s1, v3, vcc_lo
	global_load_dword v21, v[2:3], off
	s_clause 0x1
	s_load_dwordx8 s[8:15], s[4:5], 0x30
	s_load_dwordx2 s[16:17], s[4:5], 0x10
	s_waitcnt lgkmcnt(0)
	s_cmp_lt_i32 s9, 32
	s_cbranch_scc1 .LBB218_21
; %bb.3:
	s_load_dwordx4 s[0:3], s[4:5], 0x0
	s_ashr_i32 s4, s9, 31
	s_ashr_i32 s5, s12, 31
	s_lshr_b32 s4, s4, 27
	s_lshr_b32 s5, s5, 27
	s_add_i32 s4, s9, s4
	s_mul_i32 s15, s7, s8
	s_ashr_i32 s7, s4, 5
	s_add_i32 s4, s12, s5
	s_mul_i32 s5, s7, s6
	s_ashr_i32 s18, s15, 31
	s_ashr_i32 s8, s4, 5
	s_mul_hi_i32 s4, s5, 18
	s_mul_i32 s5, s5, 18
	v_add_nc_u32_e32 v2, 8, v1
	v_add_nc_u32_e32 v3, 16, v1
	;; [unrolled: 1-line block ×4, first 2 shown]
	v_lshlrev_b32_e32 v20, 2, v0
	v_add_nc_u32_e32 v9, 40, v1
	s_waitcnt lgkmcnt(0)
	s_add_u32 s0, s0, s15
	s_addc_u32 s1, s1, s18
	s_add_u32 s12, s0, s5
	s_addc_u32 s15, s1, s4
	s_not_b32 s0, s6
	v_add_nc_u32_e32 v10, 48, v1
	s_add_i32 s0, s10, s0
	v_add_nc_u32_e32 v11, 56, v1
	v_min_i32_e32 v4, s0, v1
	v_min_i32_e32 v5, s0, v2
	;; [unrolled: 1-line block ×4, first 2 shown]
	v_add_nc_u32_e32 v12, 64, v1
	v_min_i32_e32 v8, s0, v8
	v_add_nc_u32_e32 v13, 0x48, v1
	s_waitcnt vmcnt(0)
	v_mad_u64_u32 v[2:3], null, 0x84, v4, v[20:21]
	v_min_i32_e32 v9, s0, v9
	v_add_nc_u32_e32 v14, 0x50, v1
	v_mul_lo_u32 v25, v4, s7
	v_mad_u64_u32 v[3:4], null, 0x84, v5, v[20:21]
	v_min_i32_e32 v10, s0, v10
	v_mul_lo_u32 v26, v5, s7
	v_mad_u64_u32 v[4:5], null, 0x84, v6, v[20:21]
	v_min_i32_e32 v11, s0, v11
	;; [unrolled: 3-line block ×5, first 2 shown]
	v_mul_lo_u32 v30, v9, s7
	v_mad_u64_u32 v[8:9], null, 0x84, v10, v[20:21]
	v_add_nc_u32_e32 v16, 0x60, v1
	v_mul_lo_u32 v31, v10, s7
	v_mad_u64_u32 v[9:10], null, 0x84, v11, v[20:21]
	v_mul_lo_u32 v32, v11, s7
	v_mad_u64_u32 v[10:11], null, 0x84, v12, v[20:21]
	;; [unrolled: 2-line block ×3, first 2 shown]
	s_abs_i32 s1, s14
	v_mul_lo_u32 v34, v13, s7
	v_mad_u64_u32 v[12:13], null, 0x84, v14, v[20:21]
	v_min_i32_e32 v13, s0, v16
	v_cvt_f32_u32_e32 v16, s1
	v_add_nc_u32_e32 v15, 0x58, v1
	v_add_nc_u32_e32 v19, 0x70, v1
	v_lshrrev_b32_e32 v38, 3, v0
	s_sub_i32 s4, 0, s1
	v_rcp_iflag_f32_e32 v18, v16
	v_min_i32_e32 v15, s0, v15
	v_add_nc_u32_e32 v17, 0x68, v1
	v_mul_lo_u32 v35, v14, s7
	v_mul_lo_u32 v37, v13, s7
	v_lshl_add_u32 v43, v1, 2, v38
	v_mul_lo_u32 v36, v15, s7
	v_mad_u64_u32 v[14:15], null, 0x84, v15, v[20:21]
	v_mad_u64_u32 v[15:16], null, 0x84, v13, v[20:21]
	v_mul_f32_e32 v18, 0x4f7ffffe, v18
	v_min_i32_e32 v13, s0, v19
	v_add_nc_u32_e32 v19, 0x78, v1
	v_min_i32_e32 v17, s0, v17
	v_add_nc_u32_e32 v47, 32, v43
	v_cvt_u32_f32_e32 v46, v18
	v_sub_nc_u32_e32 v49, 0, v21
	v_min_i32_e32 v19, s0, v19
	v_mul_lo_u32 v39, v17, s7
	v_mad_u64_u32 v[16:17], null, 0x84, v17, v[20:21]
	v_mul_lo_u32 v44, s4, v46
	v_mad_u64_u32 v[17:18], null, 0x84, v13, v[20:21]
	;; [unrolled: 2-line block ×3, first 2 shown]
	v_min_i32_e32 v19, s0, v47
	v_add_nc_u32_e32 v47, 64, v43
	v_mul_hi_u32 v48, v46, v44
	v_max_i32_e32 v49, v21, v49
	v_min_i32_e32 v45, s0, v43
	v_ashrrev_i32_e32 v50, 31, v19
	v_min_i32_e32 v47, s0, v47
	v_add_nc_u32_e32 v43, 0x60, v43
	v_and_b32_e32 v42, 7, v0
	v_mul_lo_u32 v40, v13, s7
	v_add_nc_u32_e32 v46, v46, v48
	v_lshrrev_b32_e32 v48, 30, v50
	v_ashrrev_i32_e32 v50, 31, v47
	v_ashrrev_i32_e32 v13, 31, v45
	v_min_i32_e32 v43, s0, v43
	v_mul_hi_u32 v52, v49, v46
	v_add_nc_u32_e32 v46, v19, v48
	v_lshrrev_b32_e32 v48, 30, v50
	v_lshlrev_b32_e32 v51, 2, v42
	v_lshrrev_b32_e32 v13, 30, v13
	v_ashrrev_i32_e32 v53, 31, v43
	v_mul_lo_u32 v44, v45, s7
	v_add_nc_u32_e32 v48, v47, v48
	v_mul_lo_u32 v50, v52, s1
	v_add_nc_u32_e32 v13, v45, v13
	v_lshlrev_b32_e32 v65, 5, v45
	v_mul_lo_u32 v45, v19, s7
	v_and_b32_e32 v48, -4, v48
	v_lshlrev_b32_e32 v67, 5, v19
	v_lshrrev_b32_e32 v19, 30, v53
	v_xor_b32_e32 v53, s14, v21
	v_sub_nc_u32_e32 v49, v49, v50
	v_add3_u32 v68, v48, v51, 0x4200
	v_add_nc_u32_e32 v48, 1, v52
	v_add_nc_u32_e32 v19, v43, v19
	v_ashrrev_i32_e32 v53, 31, v53
	v_subrev_nc_u32_e32 v50, s1, v49
	v_cmp_le_u32_e32 vcc_lo, s1, v49
	v_and_b32_e32 v13, -4, v13
	v_and_b32_e32 v19, -4, v19
	;; [unrolled: 1-line block ×3, first 2 shown]
	v_add_nc_u32_e32 v56, 64, v0
	v_cndmask_b32_e32 v52, v52, v48, vcc_lo
	v_cndmask_b32_e32 v49, v49, v50, vcc_lo
	v_add3_u32 v69, v19, v51, 0x4200
	v_and_b32_e32 v19, 31, v0
	v_add_nc_u32_e32 v57, 0x60, v0
	v_add_nc_u32_e32 v50, 1, v52
	v_cmp_le_u32_e32 vcc_lo, s1, v49
	v_lshl_add_u32 v49, v1, 7, 0x5280
	v_lshl_add_u32 v1, v1, 4, 0x5680
	v_and_b32_e32 v24, 12, v20
	v_add3_u32 v13, v13, v51, 0x4200
	v_cndmask_b32_e32 v50, v52, v50, vcc_lo
	v_add3_u32 v66, v46, v51, 0x4200
	v_and_b32_e32 v55, 28, v20
	v_add_nc_u32_e32 v51, v1, v20
	v_lshlrev_b32_e32 v58, 5, v0
	v_xor_b32_e32 v52, v50, v53
	v_lshl_or_b32 v50, v19, 2, v49
	v_add_nc_u32_e32 v19, 32, v0
	v_and_b32_e32 v57, 0x1fc, v57
	v_and_b32_e32 v56, 0x1fc, v56
	v_sub_nc_u32_e32 v20, v52, v53
	v_and_b32_e32 v60, 0xfc, v0
	v_and_b32_e32 v59, 0x1fc, v19
	v_mul_lo_u32 v46, v47, s7
	v_lshlrev_b32_e32 v47, 5, v47
	v_mul_lo_u32 v54, v20, s8
	v_mul_lo_u32 v48, v43, s7
	v_lshlrev_b32_e32 v43, 5, v43
	v_add_nc_u32_e32 v61, v58, v57
	v_add_nc_u32_e32 v62, v58, v56
	;; [unrolled: 1-line block ×4, first 2 shown]
	v_cmp_gt_u32_e32 vcc_lo, 4, v0
	v_lshrrev_b32_e32 v53, 3, v19
	v_cmp_gt_i32_e64 s0, s11, v20
	v_add_co_u32 v19, s1, s2, v55
	v_lshrrev_b32_e32 v23, 2, v0
	v_mov_b32_e32 v22, 0
	v_mul_u32_u24_e32 v52, 0x84, v0
	v_add_co_ci_u32_e64 v20, null, s3, 0, s1
	v_ashrrev_i32_e32 v55, 31, v54
	v_add_nc_u32_e32 v56, 0x4e00, v61
	v_add_nc_u32_e32 v57, 0x4a00, v62
	;; [unrolled: 1-line block ×4, first 2 shown]
	v_mad_u32_u24 v60, 0x84, v0, 64
	v_add_nc_u32_e32 v61, 0x4e10, v61
	v_add_nc_u32_e32 v62, 0x4a10, v62
	;; [unrolled: 1-line block ×8, first 2 shown]
	v_mov_b32_e32 v47, 0
	v_mov_b32_e32 v43, 0
	;; [unrolled: 1-line block ×3, first 2 shown]
	s_mov_b32 s10, 0
	s_and_b32 s18, vcc_lo, s0
	s_branch .LBB218_5
.LBB218_4:                              ;   in Loop: Header=BB218_5 Depth=1
	s_add_i32 s10, s10, 8
	s_cmp_ge_i32 s10, s7
	s_cbranch_scc1 .LBB218_21
.LBB218_5:                              ; =>This Loop Header: Depth=1
                                        ;     Child Loop BB218_11 Depth 2
                                        ;     Child Loop BB218_19 Depth 2
	s_mul_i32 s1, s10, 18
	s_mul_hi_u32 s5, s10, 18
	s_add_u32 s4, s12, s1
	s_addc_u32 s5, s15, s5
	v_mad_u64_u32 v[69:70], null, v23, 18, s[4:5]
	v_mad_i64_i32 v[71:72], null, v25, 18, v[69:70]
	v_mad_i64_i32 v[73:74], null, v26, 18, v[69:70]
	;; [unrolled: 1-line block ×4, first 2 shown]
	v_add_co_u32 v71, s1, v71, v24
	v_mad_i64_i32 v[79:80], null, v29, 18, v[69:70]
	v_add_co_ci_u32_e64 v72, null, 0, v72, s1
	v_add_co_u32 v73, s1, v73, v24
	v_mad_i64_i32 v[81:82], null, v30, 18, v[69:70]
	v_add_co_ci_u32_e64 v74, null, 0, v74, s1
	;; [unrolled: 3-line block ×4, first 2 shown]
	v_add_co_u32 v79, s1, v79, v24
	v_add_co_ci_u32_e64 v80, null, 0, v80, s1
	v_add_co_u32 v81, s1, v81, v24
	v_add_co_ci_u32_e64 v82, null, 0, v82, s1
	;; [unrolled: 2-line block ×3, first 2 shown]
	v_add_co_u32 v85, s1, v85, v24
	v_mad_i64_i32 v[87:88], null, v33, 18, v[69:70]
	v_add_co_ci_u32_e64 v86, null, 0, v86, s1
	s_clause 0x7
	global_load_dword v93, v[71:72], off offset:2
	global_load_dword v94, v[73:74], off offset:2
	;; [unrolled: 1-line block ×8, first 2 shown]
	v_mad_i64_i32 v[71:72], null, v34, 18, v[69:70]
	v_mad_i64_i32 v[75:76], null, v35, 18, v[69:70]
	v_mad_u64_u32 v[83:84], null, v42, 18, s[4:5]
	v_mad_i64_i32 v[77:78], null, v36, 18, v[69:70]
	v_add_co_u32 v73, s1, v87, v24
	v_mad_i64_i32 v[79:80], null, v37, 18, v[69:70]
	v_add_co_ci_u32_e64 v74, null, 0, v88, s1
	v_add_co_u32 v71, s1, v71, v24
	v_mad_i64_i32 v[81:82], null, v39, 18, v[69:70]
	v_add_co_ci_u32_e64 v72, null, 0, v72, s1
	v_add_co_u32 v75, s1, v75, v24
	v_mad_i64_i32 v[85:86], null, v44, 18, v[83:84]
	v_mad_i64_i32 v[91:92], null, v40, 18, v[69:70]
	;; [unrolled: 1-line block ×3, first 2 shown]
	v_add_co_ci_u32_e64 v76, null, 0, v76, s1
	v_add_co_u32 v77, s1, v77, v24
	v_mad_i64_i32 v[89:90], null, v46, 18, v[83:84]
	v_mad_i64_i32 v[69:70], null, v41, 18, v[69:70]
	;; [unrolled: 1-line block ×3, first 2 shown]
	v_add_co_ci_u32_e64 v78, null, 0, v78, s1
	v_add_co_u32 v79, s1, v79, v24
	v_add_co_ci_u32_e64 v80, null, 0, v80, s1
	v_add_co_u32 v81, s1, v81, v24
	v_add_co_ci_u32_e64 v82, null, 0, v82, s1
	s_clause 0x3
	global_load_ushort v85, v[85:86], off
	global_load_ushort v86, v[87:88], off
	global_load_ushort v87, v[89:90], off
	global_load_ushort v88, v[83:84], off
	v_add_co_u32 v83, s1, v91, v24
	v_add_co_ci_u32_e64 v84, null, 0, v92, s1
	v_add_co_u32 v69, s1, v69, v24
	v_add_co_ci_u32_e64 v70, null, 0, v70, s1
	s_clause 0x7
	global_load_dword v73, v[73:74], off offset:2
	global_load_dword v71, v[71:72], off offset:2
	;; [unrolled: 1-line block ×8, first 2 shown]
	s_lshl_b32 s4, s10, 5
	s_cmp_lt_i32 s4, s9
	s_waitcnt vmcnt(11)
	v_cvt_f32_f16_e32 v70, v85
	s_waitcnt vmcnt(10)
	v_cvt_f32_f16_e32 v78, v86
	;; [unrolled: 2-line block ×4, first 2 shown]
	ds_write_b32 v2, v93
	ds_write_b32 v3, v94
	;; [unrolled: 1-line block ×8, first 2 shown]
	s_waitcnt vmcnt(7)
	ds_write_b32 v10, v73
	s_waitcnt vmcnt(6)
	ds_write_b32 v11, v71
	;; [unrolled: 2-line block ×8, first 2 shown]
	ds_write_b32 v65, v70
	ds_write_b32 v66, v78
	;; [unrolled: 1-line block ×4, first 2 shown]
	s_cbranch_scc0 .LBB218_4
; %bb.6:                                ;   in Loop: Header=BB218_5 Depth=1
	v_add_nc_u32_e32 v69, s10, v38
	v_cmp_gt_i32_e64 s1, s8, v69
	s_and_b32 s5, s0, s1
	s_and_saveexec_b32 s1, s5
	s_cbranch_execz .LBB218_8
; %bb.7:                                ;   in Loop: Header=BB218_5 Depth=1
	v_add_nc_u32_e32 v69, v54, v69
	v_mad_i64_i32 v[69:70], null, v69, 36, v[19:20]
	global_load_dword v69, v[69:70], off offset:4
	s_waitcnt vmcnt(0)
	ds_write_b32 v50, v69
.LBB218_8:                              ;   in Loop: Header=BB218_5 Depth=1
	s_or_b32 exec_lo, exec_lo, s1
	v_add_nc_u32_e32 v69, s10, v0
	v_cmp_gt_i32_e64 s1, s8, v69
	s_and_b32 s5, s18, s1
	s_and_saveexec_b32 s1, s5
	s_cbranch_execz .LBB218_10
; %bb.9:                                ;   in Loop: Header=BB218_5 Depth=1
	v_add_nc_u32_e32 v70, v54, v69
	v_mad_i64_i32 v[70:71], null, v70, 36, s[2:3]
	global_load_dword v70, v[70:71], off
	s_waitcnt vmcnt(0)
	ds_write_b32 v51, v70
.LBB218_10:                             ;   in Loop: Header=BB218_5 Depth=1
	s_or_b32 exec_lo, exec_lo, s1
	v_mov_b32_e32 v70, v49
	v_mov_b32_e32 v71, v1
	;; [unrolled: 1-line block ×7, first 2 shown]
	s_mov_b32 s1, -4
	s_waitcnt lgkmcnt(0)
	s_barrier
	buffer_gl0_inv
.LBB218_11:                             ;   Parent Loop BB218_5 Depth=1
                                        ; =>  This Inner Loop Header: Depth=2
	v_add_nc_u32_e32 v89, 0x1080, v76
	v_add_nc_u32_e32 v91, 0x1088, v76
	;; [unrolled: 1-line block ×3, first 2 shown]
	ds_read_b128 v[77:80], v70
	ds_read_b128 v[81:84], v70 offset:16
	ds_read2_b32 v[85:86], v76 offset0:2 offset1:3
	v_add_nc_u32_e32 v95, 0x2108, v76
	ds_read_b32 v104, v71
	ds_read2_b32 v[87:88], v76 offset1:1
	ds_read_b32 v105, v72
	ds_read_b32 v106, v73
	;; [unrolled: 1-line block ×4, first 2 shown]
	v_add_nc_u32_e32 v97, 0x3180, v76
	v_add_nc_u32_e32 v99, 0x3188, v76
	ds_read2_b32 v[89:90], v89 offset1:1
	ds_read2_b32 v[91:92], v91 offset1:1
	;; [unrolled: 1-line block ×6, first 2 shown]
	v_mov_b32_e32 v101, 0
	v_mov_b32_e32 v102, 0
	;; [unrolled: 1-line block ×4, first 2 shown]
	v_add_nc_u32_e32 v76, 16, v76
	v_add_nc_u32_e32 v75, 4, v75
	;; [unrolled: 1-line block ×7, first 2 shown]
	s_add_i32 s1, s1, 4
	s_waitcnt lgkmcnt(10)
	v_and_b32_e32 v110, 0xf0f0f0f, v87
	v_lshrrev_b32_e32 v87, 4, v87
	s_waitcnt lgkmcnt(5)
	v_and_b32_e32 v114, 0xf0f0f0f, v90
	v_lshrrev_b32_e32 v90, 4, v90
	s_waitcnt lgkmcnt(4)
	v_and_b32_e32 v115, 0xf0f0f0f, v91
	v_dot4c_i32_i8 v101, v110, v77
	v_and_b32_e32 v87, 0xf0f0f0f, v87
	v_and_b32_e32 v110, 0xf0f0f0f, v89
	v_lshrrev_b32_e32 v89, 4, v89
	v_lshrrev_b32_e32 v91, 4, v91
	s_waitcnt lgkmcnt(3)
	v_and_b32_e32 v117, 0xf0f0f0f, v93
	v_lshrrev_b32_e32 v93, 4, v93
	s_waitcnt lgkmcnt(1)
	v_and_b32_e32 v121, 0xf0f0f0f, v97
	v_lshrrev_b32_e32 v97, 4, v97
	v_dot4c_i32_i8 v101, v87, v81
	v_and_b32_e32 v87, 0xf0f0f0f, v89
	v_dot4c_i32_i8 v102, v110, v77
	v_and_b32_e32 v89, 0xf0f0f0f, v90
	v_and_b32_e32 v90, 0xf0f0f0f, v91
	;; [unrolled: 1-line block ×3, first 2 shown]
	v_dot4c_i32_i8 v103, v117, v77
	v_and_b32_e32 v93, 0xf0f0f0f, v97
	v_dot4c_i32_i8 v109, v121, v77
	v_and_b32_e32 v111, 0xf0f0f0f, v88
	v_lshrrev_b32_e32 v88, 4, v88
	v_and_b32_e32 v116, 0xf0f0f0f, v92
	v_lshrrev_b32_e32 v92, 4, v92
	;; [unrolled: 2-line block ×4, first 2 shown]
	v_dot4c_i32_i8 v102, v87, v81
	v_dot4c_i32_i8 v103, v91, v81
	;; [unrolled: 1-line block ×3, first 2 shown]
	v_and_b32_e32 v88, 0xf0f0f0f, v88
	v_and_b32_e32 v77, 0xf0f0f0f, v92
	;; [unrolled: 1-line block ×4, first 2 shown]
	v_dot4c_i32_i8 v101, v111, v78
	v_dot4c_i32_i8 v102, v114, v78
	;; [unrolled: 1-line block ×4, first 2 shown]
	v_and_b32_e32 v112, 0xf0f0f0f, v85
	v_lshrrev_b32_e32 v85, 4, v85
	v_and_b32_e32 v119, 0xf0f0f0f, v95
	v_lshrrev_b32_e32 v95, 4, v95
	s_waitcnt lgkmcnt(0)
	v_and_b32_e32 v123, 0xf0f0f0f, v99
	v_lshrrev_b32_e32 v99, 4, v99
	v_dot4c_i32_i8 v101, v88, v82
	v_dot4c_i32_i8 v102, v89, v82
	;; [unrolled: 1-line block ×4, first 2 shown]
	v_and_b32_e32 v85, 0xf0f0f0f, v85
	v_and_b32_e32 v78, 0xf0f0f0f, v95
	;; [unrolled: 1-line block ×3, first 2 shown]
	v_dot4c_i32_i8 v101, v112, v79
	v_dot4c_i32_i8 v102, v115, v79
	v_dot4c_i32_i8 v103, v119, v79
	v_dot4c_i32_i8 v109, v123, v79
	v_and_b32_e32 v113, 0xf0f0f0f, v86
	v_lshrrev_b32_e32 v86, 4, v86
	v_and_b32_e32 v120, 0xf0f0f0f, v96
	v_lshrrev_b32_e32 v96, 4, v96
	;; [unrolled: 2-line block ×3, first 2 shown]
	v_dot4c_i32_i8 v101, v85, v83
	v_dot4c_i32_i8 v102, v90, v83
	;; [unrolled: 1-line block ×4, first 2 shown]
	v_and_b32_e32 v86, 0xf0f0f0f, v86
	v_and_b32_e32 v79, 0xf0f0f0f, v96
	v_and_b32_e32 v78, 0xf0f0f0f, v100
	v_dot4c_i32_i8 v101, v113, v80
	v_dot4c_i32_i8 v102, v116, v80
	;; [unrolled: 1-line block ×4, first 2 shown]
	v_cvt_f32_f16_sdwa v80, v104 dst_sel:DWORD dst_unused:UNUSED_PAD src0_sel:WORD_1
	v_dot4c_i32_i8 v101, v86, v84
	v_dot4c_i32_i8 v102, v77, v84
	;; [unrolled: 1-line block ×4, first 2 shown]
	v_mul_f32_e32 v77, 0xc1000000, v80
	v_cvt_f32_i32_e32 v78, v101
	v_cvt_f32_i32_e32 v79, v102
	;; [unrolled: 1-line block ×4, first 2 shown]
	s_cmp_lt_u32 s1, 12
	v_fma_mix_f32 v78, v104, v78, v77 op_sel_hi:[1,0,0]
	v_fma_mix_f32 v79, v104, v79, v77 op_sel_hi:[1,0,0]
	;; [unrolled: 1-line block ×4, first 2 shown]
	v_fmac_f32_e32 v22, v105, v78
	v_fmac_f32_e32 v47, v106, v79
	v_fmac_f32_e32 v43, v107, v80
	v_fmac_f32_e32 v13, v108, v77
	s_cbranch_scc1 .LBB218_11
; %bb.12:                               ;   in Loop: Header=BB218_5 Depth=1
	s_bitset1_b32 s4, 7
	s_cmp_ge_i32 s4, s9
	s_barrier
	buffer_gl0_inv
	s_cbranch_scc1 .LBB218_4
; %bb.13:                               ;   in Loop: Header=BB218_5 Depth=1
	v_add_nc_u32_e32 v70, s10, v53
	v_cmp_gt_i32_e64 s1, s8, v70
	s_and_b32 s4, s0, s1
	s_and_saveexec_b32 s1, s4
	s_cbranch_execz .LBB218_15
; %bb.14:                               ;   in Loop: Header=BB218_5 Depth=1
	v_add_nc_u32_e32 v70, v54, v70
	v_mad_i64_i32 v[70:71], null, v70, 36, v[19:20]
	global_load_dword v70, v[70:71], off offset:4
	s_waitcnt vmcnt(0)
	ds_write_b32 v50, v70
.LBB218_15:                             ;   in Loop: Header=BB218_5 Depth=1
	s_or_b32 exec_lo, exec_lo, s1
	s_and_saveexec_b32 s4, vcc_lo
	s_cbranch_execz .LBB218_18
; %bb.16:                               ;   in Loop: Header=BB218_5 Depth=1
	v_or_b32_e32 v70, 4, v69
	v_cmp_gt_i32_e64 s1, s8, v70
	s_and_b32 s1, s0, s1
	s_and_b32 exec_lo, exec_lo, s1
	s_cbranch_execz .LBB218_18
; %bb.17:                               ;   in Loop: Header=BB218_5 Depth=1
	v_ashrrev_i32_e32 v70, 31, v69
	v_add_co_u32 v69, s1, v54, v69
	v_add_co_ci_u32_e64 v71, null, v55, v70, s1
	v_mad_u64_u32 v[69:70], null, v69, 36, s[2:3]
	v_mad_i32_i24 v70, v71, 36, v70
	global_load_dword v69, v[69:70], off offset:144
	s_waitcnt vmcnt(0)
	ds_write_b32 v51, v69
.LBB218_18:                             ;   in Loop: Header=BB218_5 Depth=1
	s_or_b32 exec_lo, exec_lo, s4
	v_mov_b32_e32 v69, v1
	v_mov_b32_e32 v70, v49
	;; [unrolled: 1-line block ×7, first 2 shown]
	s_mov_b32 s1, 12
	s_waitcnt lgkmcnt(0)
	s_barrier
	buffer_gl0_inv
.LBB218_19:                             ;   Parent Loop BB218_5 Depth=1
                                        ; =>  This Inner Loop Header: Depth=2
	v_add_nc_u32_e32 v88, 0x1080, v75
	v_add_nc_u32_e32 v90, 0x1088, v75
	;; [unrolled: 1-line block ×3, first 2 shown]
	ds_read_b128 v[76:79], v70
	ds_read_b128 v[80:83], v70 offset:16
	ds_read_b32 v100, v69
	ds_read2_b32 v[84:85], v75 offset0:2 offset1:3
	v_add_nc_u32_e32 v94, 0x2108, v75
	ds_read2_b32 v[86:87], v75 offset1:1
	ds_read_b32 v104, v71
	ds_read_b32 v105, v72
	;; [unrolled: 1-line block ×4, first 2 shown]
	v_add_nc_u32_e32 v96, 0x3180, v75
	v_add_nc_u32_e32 v98, 0x3188, v75
	ds_read2_b32 v[88:89], v88 offset1:1
	ds_read2_b32 v[90:91], v90 offset1:1
	;; [unrolled: 1-line block ×6, first 2 shown]
	v_mov_b32_e32 v101, 0
	v_mov_b32_e32 v102, 0
	;; [unrolled: 1-line block ×4, first 2 shown]
	v_add_nc_u32_e32 v75, 16, v75
	v_add_nc_u32_e32 v74, 4, v74
	;; [unrolled: 1-line block ×7, first 2 shown]
	s_add_i32 s1, s1, 4
	s_waitcnt lgkmcnt(10)
	v_and_b32_e32 v109, 0xf0f0f0f, v86
	v_lshrrev_b32_e32 v86, 4, v86
	s_waitcnt lgkmcnt(5)
	v_and_b32_e32 v113, 0xf0f0f0f, v89
	v_lshrrev_b32_e32 v89, 4, v89
	s_waitcnt lgkmcnt(4)
	v_and_b32_e32 v114, 0xf0f0f0f, v90
	v_dot4c_i32_i8 v101, v109, v76
	v_and_b32_e32 v86, 0xf0f0f0f, v86
	v_and_b32_e32 v109, 0xf0f0f0f, v88
	v_lshrrev_b32_e32 v88, 4, v88
	v_lshrrev_b32_e32 v90, 4, v90
	s_waitcnt lgkmcnt(3)
	v_and_b32_e32 v116, 0xf0f0f0f, v92
	v_lshrrev_b32_e32 v92, 4, v92
	s_waitcnt lgkmcnt(1)
	v_and_b32_e32 v120, 0xf0f0f0f, v96
	v_lshrrev_b32_e32 v96, 4, v96
	v_dot4c_i32_i8 v101, v86, v80
	v_and_b32_e32 v86, 0xf0f0f0f, v88
	v_dot4c_i32_i8 v102, v109, v76
	v_and_b32_e32 v88, 0xf0f0f0f, v89
	v_and_b32_e32 v89, 0xf0f0f0f, v90
	;; [unrolled: 1-line block ×3, first 2 shown]
	v_dot4c_i32_i8 v103, v116, v76
	v_and_b32_e32 v92, 0xf0f0f0f, v96
	v_dot4c_i32_i8 v108, v120, v76
	v_and_b32_e32 v110, 0xf0f0f0f, v87
	v_lshrrev_b32_e32 v87, 4, v87
	v_and_b32_e32 v115, 0xf0f0f0f, v91
	v_lshrrev_b32_e32 v91, 4, v91
	;; [unrolled: 2-line block ×4, first 2 shown]
	v_dot4c_i32_i8 v102, v86, v80
	v_dot4c_i32_i8 v103, v90, v80
	;; [unrolled: 1-line block ×3, first 2 shown]
	v_and_b32_e32 v87, 0xf0f0f0f, v87
	v_and_b32_e32 v76, 0xf0f0f0f, v91
	;; [unrolled: 1-line block ×4, first 2 shown]
	v_dot4c_i32_i8 v101, v110, v77
	v_dot4c_i32_i8 v102, v113, v77
	;; [unrolled: 1-line block ×4, first 2 shown]
	v_and_b32_e32 v111, 0xf0f0f0f, v84
	v_lshrrev_b32_e32 v84, 4, v84
	v_and_b32_e32 v118, 0xf0f0f0f, v94
	v_lshrrev_b32_e32 v94, 4, v94
	s_waitcnt lgkmcnt(0)
	v_and_b32_e32 v122, 0xf0f0f0f, v98
	v_lshrrev_b32_e32 v98, 4, v98
	v_dot4c_i32_i8 v101, v87, v81
	v_dot4c_i32_i8 v102, v88, v81
	;; [unrolled: 1-line block ×4, first 2 shown]
	v_and_b32_e32 v84, 0xf0f0f0f, v84
	v_and_b32_e32 v77, 0xf0f0f0f, v94
	;; [unrolled: 1-line block ×3, first 2 shown]
	v_dot4c_i32_i8 v101, v111, v78
	v_dot4c_i32_i8 v102, v114, v78
	;; [unrolled: 1-line block ×4, first 2 shown]
	v_and_b32_e32 v112, 0xf0f0f0f, v85
	v_lshrrev_b32_e32 v85, 4, v85
	v_and_b32_e32 v119, 0xf0f0f0f, v95
	v_lshrrev_b32_e32 v95, 4, v95
	;; [unrolled: 2-line block ×3, first 2 shown]
	v_dot4c_i32_i8 v101, v84, v82
	v_dot4c_i32_i8 v102, v89, v82
	;; [unrolled: 1-line block ×4, first 2 shown]
	v_and_b32_e32 v85, 0xf0f0f0f, v85
	v_and_b32_e32 v78, 0xf0f0f0f, v95
	;; [unrolled: 1-line block ×3, first 2 shown]
	v_dot4c_i32_i8 v101, v112, v79
	v_dot4c_i32_i8 v102, v115, v79
	;; [unrolled: 1-line block ×4, first 2 shown]
	v_cvt_f32_f16_sdwa v79, v100 dst_sel:DWORD dst_unused:UNUSED_PAD src0_sel:WORD_1
	v_dot4c_i32_i8 v101, v85, v83
	v_dot4c_i32_i8 v102, v76, v83
	;; [unrolled: 1-line block ×4, first 2 shown]
	v_mul_f32_e32 v76, 0xc1000000, v79
	v_cvt_f32_i32_e32 v77, v101
	v_cvt_f32_i32_e32 v78, v102
	;; [unrolled: 1-line block ×4, first 2 shown]
	s_cmp_lt_u32 s1, 28
	v_fma_mix_f32 v77, v100, v77, v76 op_sel_hi:[1,0,0]
	v_fma_mix_f32 v78, v100, v78, v76 op_sel_hi:[1,0,0]
	;; [unrolled: 1-line block ×4, first 2 shown]
	v_fmac_f32_e32 v22, v104, v77
	v_fmac_f32_e32 v47, v105, v78
	;; [unrolled: 1-line block ×4, first 2 shown]
	s_cbranch_scc1 .LBB218_19
; %bb.20:                               ;   in Loop: Header=BB218_5 Depth=1
	s_barrier
	buffer_gl0_inv
	s_branch .LBB218_4
.LBB218_21:
	s_mul_i32 s0, s14, s11
	s_waitcnt vmcnt(0)
	v_cmp_gt_i32_e32 vcc_lo, s0, v21
	s_and_saveexec_b32 s0, vcc_lo
	s_cbranch_execz .LBB218_30
; %bb.22:
	v_add_nc_u32_e32 v1, s6, v0
	v_mul_lo_u32 v0, v21, s13
	s_mov_b32 s0, exec_lo
	v_cmpx_gt_u32_e64 s13, v1
	s_cbranch_execz .LBB218_24
; %bb.23:
	v_add_nc_u32_e32 v2, v0, v1
	v_mov_b32_e32 v3, 0
	v_bfe_u32 v4, v22, 16, 1
	v_cmp_o_f32_e32 vcc_lo, v22, v22
	v_mov_b32_e32 v5, 0x7fc0
	v_lshlrev_b64 v[2:3], 1, v[2:3]
	v_add3_u32 v4, v22, v4, 0x7fff
	v_cndmask_b32_sdwa v4, v5, v4, vcc_lo dst_sel:DWORD dst_unused:UNUSED_PAD src0_sel:DWORD src1_sel:WORD_1
	v_add_co_u32 v2, vcc_lo, s16, v2
	v_add_co_ci_u32_e64 v3, null, s17, v3, vcc_lo
	global_store_short v[2:3], v4, off
.LBB218_24:
	s_or_b32 exec_lo, exec_lo, s0
	v_add_nc_u32_e32 v2, 32, v1
	s_mov_b32 s0, exec_lo
	v_cmpx_gt_u32_e64 s13, v2
	s_cbranch_execz .LBB218_26
; %bb.25:
	v_add_nc_u32_e32 v2, v0, v2
	v_mov_b32_e32 v3, 0
	v_bfe_u32 v4, v47, 16, 1
	v_cmp_o_f32_e32 vcc_lo, v47, v47
	v_mov_b32_e32 v5, 0x7fc0
	v_lshlrev_b64 v[2:3], 1, v[2:3]
	v_add3_u32 v4, v47, v4, 0x7fff
	v_cndmask_b32_sdwa v4, v5, v4, vcc_lo dst_sel:DWORD dst_unused:UNUSED_PAD src0_sel:DWORD src1_sel:WORD_1
	v_add_co_u32 v2, vcc_lo, s16, v2
	v_add_co_ci_u32_e64 v3, null, s17, v3, vcc_lo
	global_store_short v[2:3], v4, off
.LBB218_26:
	s_or_b32 exec_lo, exec_lo, s0
	v_add_nc_u32_e32 v2, 64, v1
	;; [unrolled: 18-line block ×3, first 2 shown]
	v_cmp_gt_u32_e32 vcc_lo, s13, v1
	s_and_b32 exec_lo, exec_lo, vcc_lo
	s_cbranch_execz .LBB218_30
; %bb.29:
	v_add_nc_u32_e32 v0, v0, v1
	v_mov_b32_e32 v1, 0
	v_bfe_u32 v2, v13, 16, 1
	v_cmp_o_f32_e32 vcc_lo, v13, v13
	v_mov_b32_e32 v3, 0x7fc0
	v_lshlrev_b64 v[0:1], 1, v[0:1]
	v_add3_u32 v2, v13, v2, 0x7fff
	v_cndmask_b32_sdwa v2, v3, v2, vcc_lo dst_sel:DWORD dst_unused:UNUSED_PAD src0_sel:DWORD src1_sel:WORD_1
	v_add_co_u32 v0, vcc_lo, s16, v0
	v_add_co_ci_u32_e64 v1, null, s17, v1, vcc_lo
	global_store_short v[0:1], v2, off
.LBB218_30:
	s_endpgm
	.section	.rodata,"a",@progbits
	.p2align	6, 0x0
	.amdhsa_kernel _ZL8moe_q4_0IN3c108BFloat16ELb1EEvPKvS3_PT_PKiS7_S7_iiiiiii
		.amdhsa_group_segment_fixed_size 22272
		.amdhsa_private_segment_fixed_size 0
		.amdhsa_kernarg_size 76
		.amdhsa_user_sgpr_count 6
		.amdhsa_user_sgpr_private_segment_buffer 1
		.amdhsa_user_sgpr_dispatch_ptr 0
		.amdhsa_user_sgpr_queue_ptr 0
		.amdhsa_user_sgpr_kernarg_segment_ptr 1
		.amdhsa_user_sgpr_dispatch_id 0
		.amdhsa_user_sgpr_flat_scratch_init 0
		.amdhsa_user_sgpr_private_segment_size 0
		.amdhsa_wavefront_size32 1
		.amdhsa_uses_dynamic_stack 0
		.amdhsa_system_sgpr_private_segment_wavefront_offset 0
		.amdhsa_system_sgpr_workgroup_id_x 1
		.amdhsa_system_sgpr_workgroup_id_y 1
		.amdhsa_system_sgpr_workgroup_id_z 0
		.amdhsa_system_sgpr_workgroup_info 0
		.amdhsa_system_vgpr_workitem_id 1
		.amdhsa_next_free_vgpr 125
		.amdhsa_next_free_sgpr 19
		.amdhsa_reserve_vcc 1
		.amdhsa_reserve_flat_scratch 0
		.amdhsa_float_round_mode_32 0
		.amdhsa_float_round_mode_16_64 0
		.amdhsa_float_denorm_mode_32 3
		.amdhsa_float_denorm_mode_16_64 3
		.amdhsa_dx10_clamp 1
		.amdhsa_ieee_mode 1
		.amdhsa_fp16_overflow 0
		.amdhsa_workgroup_processor_mode 1
		.amdhsa_memory_ordered 1
		.amdhsa_forward_progress 1
		.amdhsa_shared_vgpr_count 0
		.amdhsa_exception_fp_ieee_invalid_op 0
		.amdhsa_exception_fp_denorm_src 0
		.amdhsa_exception_fp_ieee_div_zero 0
		.amdhsa_exception_fp_ieee_overflow 0
		.amdhsa_exception_fp_ieee_underflow 0
		.amdhsa_exception_fp_ieee_inexact 0
		.amdhsa_exception_int_div_zero 0
	.end_amdhsa_kernel
	.section	.text._ZL8moe_q4_0IN3c108BFloat16ELb1EEvPKvS3_PT_PKiS7_S7_iiiiiii,"axG",@progbits,_ZL8moe_q4_0IN3c108BFloat16ELb1EEvPKvS3_PT_PKiS7_S7_iiiiiii,comdat
.Lfunc_end218:
	.size	_ZL8moe_q4_0IN3c108BFloat16ELb1EEvPKvS3_PT_PKiS7_S7_iiiiiii, .Lfunc_end218-_ZL8moe_q4_0IN3c108BFloat16ELb1EEvPKvS3_PT_PKiS7_S7_iiiiiii
                                        ; -- End function
	.set _ZL8moe_q4_0IN3c108BFloat16ELb1EEvPKvS3_PT_PKiS7_S7_iiiiiii.num_vgpr, 125
	.set _ZL8moe_q4_0IN3c108BFloat16ELb1EEvPKvS3_PT_PKiS7_S7_iiiiiii.num_agpr, 0
	.set _ZL8moe_q4_0IN3c108BFloat16ELb1EEvPKvS3_PT_PKiS7_S7_iiiiiii.numbered_sgpr, 19
	.set _ZL8moe_q4_0IN3c108BFloat16ELb1EEvPKvS3_PT_PKiS7_S7_iiiiiii.num_named_barrier, 0
	.set _ZL8moe_q4_0IN3c108BFloat16ELb1EEvPKvS3_PT_PKiS7_S7_iiiiiii.private_seg_size, 0
	.set _ZL8moe_q4_0IN3c108BFloat16ELb1EEvPKvS3_PT_PKiS7_S7_iiiiiii.uses_vcc, 1
	.set _ZL8moe_q4_0IN3c108BFloat16ELb1EEvPKvS3_PT_PKiS7_S7_iiiiiii.uses_flat_scratch, 0
	.set _ZL8moe_q4_0IN3c108BFloat16ELb1EEvPKvS3_PT_PKiS7_S7_iiiiiii.has_dyn_sized_stack, 0
	.set _ZL8moe_q4_0IN3c108BFloat16ELb1EEvPKvS3_PT_PKiS7_S7_iiiiiii.has_recursion, 0
	.set _ZL8moe_q4_0IN3c108BFloat16ELb1EEvPKvS3_PT_PKiS7_S7_iiiiiii.has_indirect_call, 0
	.section	.AMDGPU.csdata,"",@progbits
; Kernel info:
; codeLenInByte = 4644
; TotalNumSgprs: 21
; NumVgprs: 125
; ScratchSize: 0
; MemoryBound: 0
; FloatMode: 240
; IeeeMode: 1
; LDSByteSize: 22272 bytes/workgroup (compile time only)
; SGPRBlocks: 0
; VGPRBlocks: 15
; NumSGPRsForWavesPerEU: 21
; NumVGPRsForWavesPerEU: 125
; Occupancy: 8
; WaveLimiterHint : 1
; COMPUTE_PGM_RSRC2:SCRATCH_EN: 0
; COMPUTE_PGM_RSRC2:USER_SGPR: 6
; COMPUTE_PGM_RSRC2:TRAP_HANDLER: 0
; COMPUTE_PGM_RSRC2:TGID_X_EN: 1
; COMPUTE_PGM_RSRC2:TGID_Y_EN: 1
; COMPUTE_PGM_RSRC2:TGID_Z_EN: 0
; COMPUTE_PGM_RSRC2:TIDIG_COMP_CNT: 1
	.section	.text._ZL8moe_q4_1IN3c108BFloat16ELb0EEvPKvS3_PT_PKiS7_S7_iiiiiii,"axG",@progbits,_ZL8moe_q4_1IN3c108BFloat16ELb0EEvPKvS3_PT_PKiS7_S7_iiiiiii,comdat
	.globl	_ZL8moe_q4_1IN3c108BFloat16ELb0EEvPKvS3_PT_PKiS7_S7_iiiiiii ; -- Begin function _ZL8moe_q4_1IN3c108BFloat16ELb0EEvPKvS3_PT_PKiS7_S7_iiiiiii
	.p2align	8
	.type	_ZL8moe_q4_1IN3c108BFloat16ELb0EEvPKvS3_PT_PKiS7_S7_iiiiiii,@function
_ZL8moe_q4_1IN3c108BFloat16ELb0EEvPKvS3_PT_PKiS7_S7_iiiiiii: ; @_ZL8moe_q4_1IN3c108BFloat16ELb0EEvPKvS3_PT_PKiS7_S7_iiiiiii
; %bb.0:
	s_load_dwordx4 s[0:3], s[4:5], 0x18
	s_mov_b32 s8, s7
	s_mov_b32 s9, 0
	s_lshl_b64 s[10:11], s[8:9], 2
	s_waitcnt lgkmcnt(0)
	s_add_u32 s2, s2, s10
	s_addc_u32 s3, s3, s11
	s_load_dword s7, s[2:3], 0x0
	s_waitcnt lgkmcnt(0)
	s_cmpk_gt_u32 s7, 0xff
	s_cbranch_scc1 .LBB219_30
; %bb.1:
	s_load_dwordx2 s[2:3], s[4:5], 0x28
	s_waitcnt lgkmcnt(0)
	s_load_dword s3, s[2:3], 0x0
	s_lshl_b32 s2, s8, 3
	s_waitcnt lgkmcnt(0)
	s_cmp_gt_u32 s2, s3
	s_cbranch_scc1 .LBB219_30
; %bb.2:
	v_add_nc_u32_e32 v2, s2, v1
	v_mov_b32_e32 v3, 0
	s_lshl_b32 s6, s6, 7
	v_lshlrev_b64 v[4:5], 2, v[2:3]
	v_mov_b32_e32 v10, v3
	v_mov_b32_e32 v20, v3
	v_add_co_u32 v4, vcc_lo, s0, v4
	v_add_co_ci_u32_e64 v5, null, s1, v5, vcc_lo
	global_load_dword v4, v[4:5], off
	s_clause 0x2
	s_load_dwordx2 s[14:15], s[4:5], 0x30
	s_load_dwordx2 s[12:13], s[4:5], 0x10
	s_load_dwordx4 s[8:11], s[4:5], 0x3c
	v_mov_b32_e32 v5, v3
	s_waitcnt lgkmcnt(0)
	s_cmp_lt_i32 s15, 32
	s_cbranch_scc1 .LBB219_21
; %bb.3:
	s_load_dwordx4 s[0:3], s[4:5], 0x0
	s_ashr_i32 s4, s15, 31
	s_ashr_i32 s5, s9, 31
	s_lshr_b32 s4, s4, 27
	s_lshr_b32 s5, s5, 27
	s_add_i32 s4, s15, s4
	s_mul_i32 s14, s7, s14
	s_ashr_i32 s7, s4, 5
	s_add_i32 s5, s9, s5
	s_mul_i32 s17, s7, s6
	s_ashr_i32 s16, s14, 31
	s_ashr_i32 s9, s5, 5
	s_mul_hi_i32 s5, s17, 20
	s_mul_i32 s17, s17, 20
	v_mul_lo_u32 v13, s7, v1
	v_lshlrev_b32_e32 v2, 2, v0
	v_lshl_add_u32 v9, v1, 4, 0x5680
	s_waitcnt vmcnt(0)
	v_xor_b32_e32 v19, s11, v4
	v_and_b32_e32 v10, 31, v0
	v_lshl_add_u32 v8, v1, 7, 0x5280
	s_waitcnt lgkmcnt(0)
	s_add_u32 s0, s0, s14
	s_addc_u32 s1, s1, s16
	s_add_u32 s14, s0, s17
	s_addc_u32 s16, s1, s5
	s_abs_i32 s1, s11
	s_lshl_b32 s5, s7, 3
	v_cvt_f32_u32_e32 v3, s1
	s_sub_i32 s0, 0, s1
	v_add_nc_u32_e32 v15, s5, v13
	v_sub_nc_u32_e32 v23, 0, v4
	v_add_nc_u32_e32 v21, 64, v0
	v_rcp_iflag_f32_e32 v3, v3
	v_and_b32_e32 v12, 12, v2
	v_mad_u32_u24 v14, 0x84, v1, v2
	v_and_b32_e32 v46, 28, v2
	v_add_nc_u32_e32 v17, v9, v2
	v_ashrrev_i32_e32 v2, 31, v19
	v_add_nc_u32_e32 v19, s5, v15
	v_lshl_or_b32 v16, v10, 2, v8
	v_max_i32_e32 v10, v4, v23
	v_lshlrev_b32_e32 v29, 5, v0
	v_mul_f32_e32 v3, 0x4f7ffffe, v3
	v_and_b32_e32 v24, 0xfc, v0
	v_and_b32_e32 v31, 0x1fc, v21
	v_add_nc_u32_e32 v21, s5, v19
	v_lshrrev_b32_e32 v7, 3, v0
	v_cvt_u32_f32_e32 v3, v3
	v_add_nc_u32_e32 v50, v29, v24
	v_add_nc_u32_e32 v20, 32, v0
	;; [unrolled: 1-line block ×4, first 2 shown]
	v_mul_lo_u32 v25, s0, v3
	v_lshl_add_u32 v1, v1, 2, v7
	v_lshrrev_b32_e32 v18, 3, v20
	v_add_nc_u32_e32 v27, s5, v24
	v_and_b32_e32 v30, 0x1fc, v22
	v_and_b32_e32 v20, 0x1fc, v20
	v_add_nc_u32_e32 v33, 32, v1
	v_add_nc_u32_e32 v34, 64, v1
	v_mul_hi_u32 v25, v3, v25
	v_add_nc_u32_e32 v28, s5, v27
	v_and_b32_e32 v6, 7, v0
	v_add_nc_u32_e32 v38, v29, v30
	v_add_nc_u32_e32 v39, v29, v31
	;; [unrolled: 1-line block ×4, first 2 shown]
	v_mul_lo_u32 v26, s7, v1
	v_add_nc_u32_e32 v3, v3, v25
	v_and_b32_e32 v32, 0x7fc, v1
	v_lshlrev_b32_e32 v51, 5, v1
	v_add_nc_u32_e32 v1, 0x60, v1
	v_and_b32_e32 v41, 0xffc, v33
	v_mul_hi_u32 v3, v10, v3
	v_lshlrev_b32_e32 v53, 5, v33
	v_and_b32_e32 v44, 0xffc, v34
	v_lshlrev_b32_e32 v54, 5, v34
	v_lshlrev_b32_e32 v43, 2, v6
	v_add_nc_u32_e32 v31, s5, v29
	v_and_b32_e32 v45, 0xffc, v1
	v_lshlrev_b32_e32 v55, 5, v1
	v_mul_lo_u32 v35, v3, s1
	v_add_nc_u32_e32 v33, 1, v3
	v_add3_u32 v52, v32, v43, 0x4200
	v_add_nc_u32_e32 v32, s5, v31
	s_andn2_b32 s4, s4, 31
	v_add3_u32 v57, v45, v43, 0x4200
	v_add3_u32 v56, v44, v43, 0x4200
	v_cmp_gt_u32_e32 vcc_lo, 4, v0
	v_sub_nc_u32_e32 v10, v10, v35
	v_mov_b32_e32 v5, 0
	v_mad_u32_u24 v11, 0x84, v0, 64
	v_add_nc_u32_e32 v22, 0x35a0, v14
	v_add_nc_u32_e32 v23, 0x39c0, v14
	v_subrev_nc_u32_e32 v34, s1, v10
	v_cmp_le_u32_e64 s0, s1, v10
	v_add_nc_u32_e32 v25, 0x3de0, v14
	v_add_nc_u32_e32 v30, 0x4200, v50
	;; [unrolled: 1-line block ×4, first 2 shown]
	v_cndmask_b32_e64 v3, v3, v33, s0
	v_cndmask_b32_e64 v1, v10, v34, s0
	v_add_nc_u32_e32 v33, s5, v32
	v_add_nc_u32_e32 v34, 0x4e00, v38
	;; [unrolled: 1-line block ×4, first 2 shown]
	v_cmp_le_u32_e64 s0, s1, v1
	v_add_nc_u32_e32 v36, s5, v33
	v_add_nc_u32_e32 v39, 0x4a10, v39
	;; [unrolled: 1-line block ×4, first 2 shown]
	v_cndmask_b32_e64 v1, v3, v10, s0
	v_add_nc_u32_e32 v40, s5, v36
	v_add3_u32 v3, v41, v43, 0x4200
	v_add_nc_u32_e32 v41, s4, v26
	v_add_nc_u32_e32 v51, v52, v51
	v_xor_b32_e32 v1, v1, v2
	v_add_nc_u32_e32 v42, s5, v40
	v_add_nc_u32_e32 v52, v3, v53
	;; [unrolled: 1-line block ×4, first 2 shown]
	v_sub_nc_u32_e32 v10, v1, v2
	v_add_nc_u32_e32 v44, s5, v42
	v_add_co_u32 v1, s0, s2, v46
	v_add_co_ci_u32_e64 v2, null, s3, 0, s0
	v_mul_lo_u32 v45, v10, s9
	v_cmp_gt_i32_e64 s0, s8, v10
	v_add_nc_u32_e32 v46, s4, v43
	v_add_nc_u32_e32 v47, s5, v44
	;; [unrolled: 1-line block ×3, first 2 shown]
	v_mov_b32_e32 v20, 0
	v_mov_b32_e32 v10, 0
	;; [unrolled: 1-line block ×3, first 2 shown]
	v_ashrrev_i32_e32 v48, 31, v45
	s_mov_b32 s17, 0
	s_and_b32 s18, vcc_lo, s0
	s_branch .LBB219_5
.LBB219_4:                              ;   in Loop: Header=BB219_5 Depth=1
	s_add_i32 s17, s17, 8
	s_cmp_ge_i32 s17, s7
	s_cbranch_scc1 .LBB219_21
.LBB219_5:                              ; =>This Loop Header: Depth=1
                                        ;     Child Loop BB219_11 Depth 2
                                        ;     Child Loop BB219_19 Depth 2
	s_mul_i32 s1, s17, 20
	v_lshrrev_b32_e32 v55, 2, v0
	s_mul_hi_u32 s5, s17, 20
	s_add_u32 s4, s14, s1
	s_addc_u32 s5, s16, s5
	v_mad_u64_u32 v[55:56], null, v55, 20, s[4:5]
	v_mad_u64_u32 v[57:58], null, v13, 20, v[55:56]
	;; [unrolled: 1-line block ×5, first 2 shown]
	v_add_co_u32 v57, s1, v57, v12
	v_mad_u64_u32 v[65:66], null, v24, 20, v[55:56]
	v_add_co_ci_u32_e64 v58, null, 0, v58, s1
	v_add_co_u32 v59, s1, v59, v12
	v_mad_u64_u32 v[67:68], null, v27, 20, v[55:56]
	v_add_co_ci_u32_e64 v60, null, 0, v60, s1
	;; [unrolled: 3-line block ×4, first 2 shown]
	v_add_co_u32 v65, s1, v65, v12
	v_add_co_ci_u32_e64 v66, null, 0, v66, s1
	v_add_co_u32 v67, s1, v67, v12
	v_add_co_ci_u32_e64 v68, null, 0, v68, s1
	;; [unrolled: 2-line block ×3, first 2 shown]
	v_add_co_u32 v71, s1, v71, v12
	v_mad_u64_u32 v[73:74], null, v31, 20, v[55:56]
	v_add_co_ci_u32_e64 v72, null, 0, v72, s1
	s_clause 0x7
	global_load_dword v79, v[57:58], off offset:4
	global_load_dword v80, v[59:60], off offset:4
	;; [unrolled: 1-line block ×8, first 2 shown]
	v_mad_u64_u32 v[57:58], null, v32, 20, v[55:56]
	v_mad_u64_u32 v[61:62], null, v33, 20, v[55:56]
	;; [unrolled: 1-line block ×3, first 2 shown]
	v_add_co_u32 v59, s1, v73, v12
	v_mad_u64_u32 v[65:66], null, v40, 20, v[55:56]
	v_add_co_ci_u32_e64 v60, null, 0, v74, s1
	v_add_co_u32 v57, s1, v57, v12
	v_mad_u64_u32 v[67:68], null, v42, 20, v[55:56]
	v_add_co_ci_u32_e64 v58, null, 0, v58, s1
	;; [unrolled: 3-line block ×5, first 2 shown]
	v_add_co_u32 v67, s1, v67, v12
	v_add_co_ci_u32_e64 v68, null, 0, v68, s1
	v_add_co_u32 v69, s1, v69, v12
	v_add_co_ci_u32_e64 v70, null, 0, v70, s1
	;; [unrolled: 2-line block ×3, first 2 shown]
	v_mad_u64_u32 v[73:74], null, v26, 20, v[71:72]
	v_mad_u64_u32 v[75:76], null, v41, 20, v[71:72]
	;; [unrolled: 1-line block ×4, first 2 shown]
	s_clause 0xb
	global_load_dword v59, v[59:60], off offset:4
	global_load_dword v57, v[57:58], off offset:4
	;; [unrolled: 1-line block ×8, first 2 shown]
	global_load_dword v56, v[73:74], off
	global_load_dword v64, v[75:76], off
	global_load_dword v65, v[77:78], off
	global_load_dword v66, v[71:72], off
	v_add_nc_u32_e32 v67, 0x420, v14
	s_lshl_b32 s4, s17, 5
	v_add_nc_u32_e32 v68, 0x840, v14
	v_add_nc_u32_e32 v69, 0xc60, v14
	s_cmp_lt_i32 s4, s15
	v_add_nc_u32_e32 v70, 0x1080, v14
	v_add_nc_u32_e32 v71, 0x14a0, v14
	;; [unrolled: 1-line block ×9, first 2 shown]
	s_waitcnt vmcnt(19)
	ds_write_b32 v14, v79
	s_waitcnt vmcnt(18)
	ds_write_b32 v67, v80
	;; [unrolled: 2-line block ×20, first 2 shown]
	s_cbranch_scc0 .LBB219_4
; %bb.6:                                ;   in Loop: Header=BB219_5 Depth=1
	v_add_nc_u32_e32 v55, s17, v7
	v_cmp_gt_i32_e64 s1, s9, v55
	s_and_b32 s5, s0, s1
	s_and_saveexec_b32 s1, s5
	s_cbranch_execz .LBB219_8
; %bb.7:                                ;   in Loop: Header=BB219_5 Depth=1
	v_add_nc_u32_e32 v55, v45, v55
	v_mad_i64_i32 v[55:56], null, v55, 36, v[1:2]
	global_load_dword v55, v[55:56], off offset:4
	s_waitcnt vmcnt(0)
	ds_write_b32 v16, v55
.LBB219_8:                              ;   in Loop: Header=BB219_5 Depth=1
	s_or_b32 exec_lo, exec_lo, s1
	v_add_nc_u32_e32 v55, s17, v0
	v_cmp_gt_i32_e64 s1, s9, v55
	s_and_b32 s5, s18, s1
	s_and_saveexec_b32 s1, s5
	s_cbranch_execz .LBB219_10
; %bb.9:                                ;   in Loop: Header=BB219_5 Depth=1
	v_add_nc_u32_e32 v56, v45, v55
	v_mad_i64_i32 v[56:57], null, v56, 36, s[2:3]
	global_load_dword v56, v[56:57], off
	s_waitcnt vmcnt(0)
	ds_write_b32 v17, v56
.LBB219_10:                             ;   in Loop: Header=BB219_5 Depth=1
	s_or_b32 exec_lo, exec_lo, s1
	v_mov_b32_e32 v56, v8
	v_mov_b32_e32 v57, v9
	v_mul_u32_u24_e32 v62, 0x84, v0
	v_mov_b32_e32 v58, v30
	v_mov_b32_e32 v59, v37
	v_mov_b32_e32 v60, v35
	v_mov_b32_e32 v61, v34
	s_mov_b32 s1, -4
	s_waitcnt lgkmcnt(0)
	s_barrier
	buffer_gl0_inv
.LBB219_11:                             ;   Parent Loop BB219_5 Depth=1
                                        ; =>  This Inner Loop Header: Depth=2
	v_add_nc_u32_e32 v75, 0x1080, v62
	v_add_nc_u32_e32 v77, 0x1088, v62
	;; [unrolled: 1-line block ×4, first 2 shown]
	ds_read_b128 v[63:66], v56
	ds_read_b128 v[67:70], v56 offset:16
	ds_read2_b32 v[71:72], v62 offset0:2 offset1:3
	v_add_nc_u32_e32 v83, 0x3180, v62
	ds_read2_b32 v[73:74], v62 offset1:1
	ds_read_b32 v90, v57
	ds_read_b32 v91, v58
	;; [unrolled: 1-line block ×5, first 2 shown]
	v_add_nc_u32_e32 v85, 0x3188, v62
	ds_read2_b32 v[75:76], v75 offset1:1
	ds_read2_b32 v[77:78], v77 offset1:1
	;; [unrolled: 1-line block ×6, first 2 shown]
	v_mov_b32_e32 v87, 0
	v_mov_b32_e32 v88, 0
	;; [unrolled: 1-line block ×4, first 2 shown]
	v_add_nc_u32_e32 v62, 16, v62
	v_add_nc_u32_e32 v61, 4, v61
	;; [unrolled: 1-line block ×7, first 2 shown]
	s_add_i32 s1, s1, 4
	s_waitcnt lgkmcnt(11)
	v_and_b32_e32 v96, 0xf0f0f0f, v73
	v_lshrrev_b32_e32 v73, 4, v73
	s_waitcnt lgkmcnt(5)
	v_and_b32_e32 v100, 0xf0f0f0f, v76
	v_lshrrev_b32_e32 v76, 4, v76
	s_waitcnt lgkmcnt(4)
	v_and_b32_e32 v101, 0xf0f0f0f, v77
	v_dot4c_i32_i8 v87, v96, v63
	v_and_b32_e32 v73, 0xf0f0f0f, v73
	v_and_b32_e32 v96, 0xf0f0f0f, v75
	v_lshrrev_b32_e32 v75, 4, v75
	v_lshrrev_b32_e32 v77, 4, v77
	s_waitcnt lgkmcnt(3)
	v_and_b32_e32 v103, 0xf0f0f0f, v79
	v_lshrrev_b32_e32 v79, 4, v79
	s_waitcnt lgkmcnt(1)
	v_and_b32_e32 v107, 0xf0f0f0f, v83
	v_lshrrev_b32_e32 v83, 4, v83
	v_dot4c_i32_i8 v87, v73, v67
	v_and_b32_e32 v73, 0xf0f0f0f, v75
	v_dot4c_i32_i8 v88, v96, v63
	v_and_b32_e32 v75, 0xf0f0f0f, v76
	v_and_b32_e32 v76, 0xf0f0f0f, v77
	;; [unrolled: 1-line block ×3, first 2 shown]
	v_dot4c_i32_i8 v89, v103, v63
	v_and_b32_e32 v79, 0xf0f0f0f, v83
	v_dot4c_i32_i8 v95, v107, v63
	v_and_b32_e32 v97, 0xf0f0f0f, v74
	v_lshrrev_b32_e32 v74, 4, v74
	v_and_b32_e32 v102, 0xf0f0f0f, v78
	v_lshrrev_b32_e32 v78, 4, v78
	;; [unrolled: 2-line block ×4, first 2 shown]
	v_dot4c_i32_i8 v88, v73, v67
	v_dot4c_i32_i8 v89, v77, v67
	;; [unrolled: 1-line block ×3, first 2 shown]
	v_and_b32_e32 v74, 0xf0f0f0f, v74
	v_and_b32_e32 v63, 0xf0f0f0f, v78
	;; [unrolled: 1-line block ×4, first 2 shown]
	v_dot4c_i32_i8 v87, v97, v64
	v_dot4c_i32_i8 v88, v100, v64
	;; [unrolled: 1-line block ×4, first 2 shown]
	v_and_b32_e32 v98, 0xf0f0f0f, v71
	v_lshrrev_b32_e32 v71, 4, v71
	v_and_b32_e32 v105, 0xf0f0f0f, v81
	v_lshrrev_b32_e32 v81, 4, v81
	s_waitcnt lgkmcnt(0)
	v_and_b32_e32 v109, 0xf0f0f0f, v85
	v_lshrrev_b32_e32 v85, 4, v85
	v_dot4c_i32_i8 v87, v74, v68
	v_dot4c_i32_i8 v88, v75, v68
	;; [unrolled: 1-line block ×4, first 2 shown]
	v_and_b32_e32 v71, 0xf0f0f0f, v71
	v_and_b32_e32 v64, 0xf0f0f0f, v81
	;; [unrolled: 1-line block ×3, first 2 shown]
	v_dot4c_i32_i8 v87, v98, v65
	v_dot4c_i32_i8 v88, v101, v65
	v_dot4c_i32_i8 v89, v105, v65
	v_dot4c_i32_i8 v95, v109, v65
	v_and_b32_e32 v99, 0xf0f0f0f, v72
	v_lshrrev_b32_e32 v72, 4, v72
	v_and_b32_e32 v106, 0xf0f0f0f, v82
	v_lshrrev_b32_e32 v82, 4, v82
	v_and_b32_e32 v110, 0xf0f0f0f, v86
	v_lshrrev_b32_e32 v86, 4, v86
	v_dot4c_i32_i8 v87, v71, v69
	v_dot4c_i32_i8 v88, v76, v69
	;; [unrolled: 1-line block ×4, first 2 shown]
	v_and_b32_e32 v72, 0xf0f0f0f, v72
	v_and_b32_e32 v65, 0xf0f0f0f, v82
	;; [unrolled: 1-line block ×3, first 2 shown]
	v_dot4c_i32_i8 v87, v99, v66
	v_dot4c_i32_i8 v88, v102, v66
	;; [unrolled: 1-line block ×4, first 2 shown]
	v_pk_mul_f16 v91, v90, v91
	v_dot4c_i32_i8 v87, v72, v70
	v_dot4c_i32_i8 v88, v63, v70
	;; [unrolled: 1-line block ×4, first 2 shown]
	v_pk_mul_f16 v92, v90, v92
	v_pk_mul_f16 v66, v90, v93
	;; [unrolled: 1-line block ×3, first 2 shown]
	v_cvt_f32_i32_e32 v64, v87
	v_cvt_f32_i32_e32 v65, v88
	;; [unrolled: 1-line block ×4, first 2 shown]
	s_cmp_lt_u32 s1, 12
	v_fma_mix_f32 v64, v91, v64, v91 op_sel:[0,0,1] op_sel_hi:[1,0,1]
	v_fma_mix_f32 v65, v92, v65, v92 op_sel:[0,0,1] op_sel_hi:[1,0,1]
	;; [unrolled: 1-line block ×4, first 2 shown]
	v_add_f32_e32 v5, v5, v64
	v_add_f32_e32 v20, v20, v65
	;; [unrolled: 1-line block ×4, first 2 shown]
	s_cbranch_scc1 .LBB219_11
; %bb.12:                               ;   in Loop: Header=BB219_5 Depth=1
	s_bitset1_b32 s4, 7
	s_cmp_ge_i32 s4, s15
	s_barrier
	buffer_gl0_inv
	s_cbranch_scc1 .LBB219_4
; %bb.13:                               ;   in Loop: Header=BB219_5 Depth=1
	v_add_nc_u32_e32 v56, s17, v18
	v_cmp_gt_i32_e64 s1, s9, v56
	s_and_b32 s4, s0, s1
	s_and_saveexec_b32 s1, s4
	s_cbranch_execz .LBB219_15
; %bb.14:                               ;   in Loop: Header=BB219_5 Depth=1
	v_add_nc_u32_e32 v56, v45, v56
	v_mad_i64_i32 v[56:57], null, v56, 36, v[1:2]
	global_load_dword v56, v[56:57], off offset:4
	s_waitcnt vmcnt(0)
	ds_write_b32 v16, v56
.LBB219_15:                             ;   in Loop: Header=BB219_5 Depth=1
	s_or_b32 exec_lo, exec_lo, s1
	s_and_saveexec_b32 s4, vcc_lo
	s_cbranch_execz .LBB219_18
; %bb.16:                               ;   in Loop: Header=BB219_5 Depth=1
	v_or_b32_e32 v56, 4, v55
	v_cmp_gt_i32_e64 s1, s9, v56
	s_and_b32 s1, s0, s1
	s_and_b32 exec_lo, exec_lo, s1
	s_cbranch_execz .LBB219_18
; %bb.17:                               ;   in Loop: Header=BB219_5 Depth=1
	v_ashrrev_i32_e32 v56, 31, v55
	v_add_co_u32 v55, s1, v45, v55
	v_add_co_ci_u32_e64 v57, null, v48, v56, s1
	v_mad_u64_u32 v[55:56], null, v55, 36, s[2:3]
	v_mad_i32_i24 v56, v57, 36, v56
	global_load_dword v55, v[55:56], off offset:144
	s_waitcnt vmcnt(0)
	ds_write_b32 v17, v55
.LBB219_18:                             ;   in Loop: Header=BB219_5 Depth=1
	s_or_b32 exec_lo, exec_lo, s4
	v_mov_b32_e32 v55, v9
	v_mov_b32_e32 v56, v8
	;; [unrolled: 1-line block ×7, first 2 shown]
	s_mov_b32 s1, 12
	s_waitcnt lgkmcnt(0)
	s_barrier
	buffer_gl0_inv
.LBB219_19:                             ;   Parent Loop BB219_5 Depth=1
                                        ; =>  This Inner Loop Header: Depth=2
	ds_read_b128 v[62:65], v56
	ds_read_b128 v[66:69], v56 offset:16
	ds_read_b32 v86, v55
	ds_read2_b32 v[70:71], v61 offset1:1
	v_add_nc_u32_e32 v74, 0x1080, v61
	v_add_nc_u32_e32 v76, 0x1088, v61
	;; [unrolled: 1-line block ×6, first 2 shown]
	ds_read2_b32 v[72:73], v61 offset0:2 offset1:3
	ds_read_b32 v90, v57
	ds_read_b32 v91, v58
	;; [unrolled: 1-line block ×4, first 2 shown]
	ds_read2_b32 v[74:75], v74 offset1:1
	ds_read2_b32 v[76:77], v76 offset1:1
	;; [unrolled: 1-line block ×6, first 2 shown]
	v_mov_b32_e32 v87, 0
	v_mov_b32_e32 v88, 0
	;; [unrolled: 1-line block ×4, first 2 shown]
	v_add_nc_u32_e32 v61, 16, v61
	v_add_nc_u32_e32 v60, 4, v60
	;; [unrolled: 1-line block ×6, first 2 shown]
	s_waitcnt lgkmcnt(11)
	v_and_b32_e32 v95, 0xf0f0f0f, v70
	v_lshrrev_b32_e32 v70, 4, v70
	v_and_b32_e32 v96, 0xf0f0f0f, v71
	v_lshrrev_b32_e32 v71, 4, v71
	s_waitcnt lgkmcnt(5)
	v_and_b32_e32 v99, 0xf0f0f0f, v75
	v_dot4c_i32_i8 v87, v95, v62
	v_and_b32_e32 v70, 0xf0f0f0f, v70
	v_and_b32_e32 v95, 0xf0f0f0f, v74
	v_lshrrev_b32_e32 v74, 4, v74
	v_lshrrev_b32_e32 v75, 4, v75
	s_waitcnt lgkmcnt(4)
	v_and_b32_e32 v100, 0xf0f0f0f, v76
	v_lshrrev_b32_e32 v76, 4, v76
	s_waitcnt lgkmcnt(3)
	v_and_b32_e32 v102, 0xf0f0f0f, v78
	;; [unrolled: 3-line block ×3, first 2 shown]
	v_lshrrev_b32_e32 v82, 4, v82
	v_dot4c_i32_i8 v87, v70, v66
	v_and_b32_e32 v70, 0xf0f0f0f, v74
	v_dot4c_i32_i8 v88, v95, v62
	v_and_b32_e32 v74, 0xf0f0f0f, v75
	v_and_b32_e32 v75, 0xf0f0f0f, v76
	;; [unrolled: 1-line block ×3, first 2 shown]
	v_dot4c_i32_i8 v89, v102, v62
	v_and_b32_e32 v78, 0xf0f0f0f, v82
	v_dot4c_i32_i8 v94, v106, v62
	v_and_b32_e32 v101, 0xf0f0f0f, v77
	v_lshrrev_b32_e32 v77, 4, v77
	v_and_b32_e32 v103, 0xf0f0f0f, v79
	v_lshrrev_b32_e32 v79, 4, v79
	v_and_b32_e32 v107, 0xf0f0f0f, v83
	v_lshrrev_b32_e32 v83, 4, v83
	v_dot4c_i32_i8 v88, v70, v66
	v_dot4c_i32_i8 v89, v76, v66
	;; [unrolled: 1-line block ×3, first 2 shown]
	v_and_b32_e32 v71, 0xf0f0f0f, v71
	v_and_b32_e32 v62, 0xf0f0f0f, v77
	;; [unrolled: 1-line block ×4, first 2 shown]
	v_dot4c_i32_i8 v87, v96, v63
	v_dot4c_i32_i8 v88, v99, v63
	;; [unrolled: 1-line block ×4, first 2 shown]
	v_and_b32_e32 v97, 0xf0f0f0f, v72
	v_lshrrev_b32_e32 v72, 4, v72
	v_and_b32_e32 v104, 0xf0f0f0f, v80
	v_lshrrev_b32_e32 v80, 4, v80
	s_waitcnt lgkmcnt(0)
	v_and_b32_e32 v108, 0xf0f0f0f, v84
	v_lshrrev_b32_e32 v84, 4, v84
	v_dot4c_i32_i8 v87, v71, v67
	v_dot4c_i32_i8 v88, v74, v67
	;; [unrolled: 1-line block ×4, first 2 shown]
	v_and_b32_e32 v72, 0xf0f0f0f, v72
	v_and_b32_e32 v63, 0xf0f0f0f, v80
	;; [unrolled: 1-line block ×3, first 2 shown]
	v_dot4c_i32_i8 v87, v97, v64
	v_dot4c_i32_i8 v88, v100, v64
	;; [unrolled: 1-line block ×4, first 2 shown]
	v_and_b32_e32 v98, 0xf0f0f0f, v73
	v_lshrrev_b32_e32 v73, 4, v73
	v_and_b32_e32 v105, 0xf0f0f0f, v81
	v_lshrrev_b32_e32 v81, 4, v81
	;; [unrolled: 2-line block ×3, first 2 shown]
	v_dot4c_i32_i8 v87, v72, v68
	v_dot4c_i32_i8 v88, v75, v68
	;; [unrolled: 1-line block ×4, first 2 shown]
	v_and_b32_e32 v73, 0xf0f0f0f, v73
	v_and_b32_e32 v64, 0xf0f0f0f, v81
	;; [unrolled: 1-line block ×3, first 2 shown]
	v_dot4c_i32_i8 v87, v98, v65
	v_dot4c_i32_i8 v88, v101, v65
	;; [unrolled: 1-line block ×4, first 2 shown]
	v_pk_mul_f16 v90, v86, v90
	v_dot4c_i32_i8 v87, v73, v69
	v_dot4c_i32_i8 v88, v62, v69
	;; [unrolled: 1-line block ×4, first 2 shown]
	v_pk_mul_f16 v91, v86, v91
	v_pk_mul_f16 v65, v86, v92
	v_pk_mul_f16 v62, v86, v93
	v_cvt_f32_i32_e32 v63, v87
	v_cvt_f32_i32_e32 v64, v88
	;; [unrolled: 1-line block ×4, first 2 shown]
	v_add_nc_u32_e32 v55, 4, v55
	v_fma_mix_f32 v63, v90, v63, v90 op_sel:[0,0,1] op_sel_hi:[1,0,1]
	v_fma_mix_f32 v64, v91, v64, v91 op_sel:[0,0,1] op_sel_hi:[1,0,1]
	;; [unrolled: 1-line block ×4, first 2 shown]
	s_add_i32 s1, s1, 4
	v_add_f32_e32 v5, v5, v63
	v_add_f32_e32 v20, v20, v64
	;; [unrolled: 1-line block ×4, first 2 shown]
	s_cmp_lt_u32 s1, 28
	s_cbranch_scc1 .LBB219_19
; %bb.20:                               ;   in Loop: Header=BB219_5 Depth=1
	s_barrier
	buffer_gl0_inv
	s_branch .LBB219_4
.LBB219_21:
	s_mul_i32 s0, s11, s8
	s_waitcnt vmcnt(0)
	v_cmp_gt_i32_e32 vcc_lo, s0, v4
	s_and_saveexec_b32 s0, vcc_lo
	s_cbranch_execz .LBB219_30
; %bb.22:
	v_add_nc_u32_e32 v1, s6, v0
	v_mul_lo_u32 v0, v4, s10
	s_mov_b32 s0, exec_lo
	v_cmpx_gt_u32_e64 s10, v1
	s_cbranch_execz .LBB219_24
; %bb.23:
	v_bfe_u32 v2, v5, 16, 1
	v_add_nc_u32_e32 v6, v0, v1
	v_mov_b32_e32 v7, 0
	v_cmp_o_f32_e32 vcc_lo, v5, v5
	v_mov_b32_e32 v8, 0x7fc0
	v_add3_u32 v2, v5, v2, 0x7fff
	v_lshlrev_b64 v[4:5], 1, v[6:7]
	v_cndmask_b32_sdwa v2, v8, v2, vcc_lo dst_sel:DWORD dst_unused:UNUSED_PAD src0_sel:DWORD src1_sel:WORD_1
	v_add_co_u32 v4, vcc_lo, s12, v4
	v_add_co_ci_u32_e64 v5, null, s13, v5, vcc_lo
	global_store_short v[4:5], v2, off
.LBB219_24:
	s_or_b32 exec_lo, exec_lo, s0
	v_add_nc_u32_e32 v2, 32, v1
	s_mov_b32 s0, exec_lo
	v_cmpx_gt_u32_e64 s10, v2
	s_cbranch_execz .LBB219_26
; %bb.25:
	v_add_nc_u32_e32 v4, v0, v2
	v_mov_b32_e32 v5, 0
	v_bfe_u32 v6, v20, 16, 1
	v_cmp_o_f32_e32 vcc_lo, v20, v20
	v_mov_b32_e32 v2, 0x7fc0
	v_lshlrev_b64 v[4:5], 1, v[4:5]
	v_add3_u32 v6, v20, v6, 0x7fff
	v_cndmask_b32_sdwa v2, v2, v6, vcc_lo dst_sel:DWORD dst_unused:UNUSED_PAD src0_sel:DWORD src1_sel:WORD_1
	v_add_co_u32 v4, vcc_lo, s12, v4
	v_add_co_ci_u32_e64 v5, null, s13, v5, vcc_lo
	global_store_short v[4:5], v2, off
.LBB219_26:
	s_or_b32 exec_lo, exec_lo, s0
	v_add_nc_u32_e32 v2, 64, v1
	s_mov_b32 s0, exec_lo
	v_cmpx_gt_u32_e64 s10, v2
	s_cbranch_execz .LBB219_28
; %bb.27:
	v_add_nc_u32_e32 v4, v0, v2
	v_mov_b32_e32 v5, 0
	v_bfe_u32 v6, v10, 16, 1
	v_cmp_o_f32_e32 vcc_lo, v10, v10
	v_mov_b32_e32 v2, 0x7fc0
	v_lshlrev_b64 v[4:5], 1, v[4:5]
	v_add3_u32 v6, v10, v6, 0x7fff
	v_cndmask_b32_sdwa v2, v2, v6, vcc_lo dst_sel:DWORD dst_unused:UNUSED_PAD src0_sel:DWORD src1_sel:WORD_1
	v_add_co_u32 v4, vcc_lo, s12, v4
	v_add_co_ci_u32_e64 v5, null, s13, v5, vcc_lo
	global_store_short v[4:5], v2, off
.LBB219_28:
	s_or_b32 exec_lo, exec_lo, s0
	v_add_nc_u32_e32 v1, 0x60, v1
	v_cmp_gt_u32_e32 vcc_lo, s10, v1
	s_and_b32 exec_lo, exec_lo, vcc_lo
	s_cbranch_execz .LBB219_30
; %bb.29:
	v_add_nc_u32_e32 v0, v0, v1
	v_mov_b32_e32 v1, 0
	v_bfe_u32 v2, v3, 16, 1
	v_cmp_o_f32_e32 vcc_lo, v3, v3
	v_mov_b32_e32 v4, 0x7fc0
	v_lshlrev_b64 v[0:1], 1, v[0:1]
	v_add3_u32 v2, v3, v2, 0x7fff
	v_cndmask_b32_sdwa v2, v4, v2, vcc_lo dst_sel:DWORD dst_unused:UNUSED_PAD src0_sel:DWORD src1_sel:WORD_1
	v_add_co_u32 v0, vcc_lo, s12, v0
	v_add_co_ci_u32_e64 v1, null, s13, v1, vcc_lo
	global_store_short v[0:1], v2, off
.LBB219_30:
	s_endpgm
	.section	.rodata,"a",@progbits
	.p2align	6, 0x0
	.amdhsa_kernel _ZL8moe_q4_1IN3c108BFloat16ELb0EEvPKvS3_PT_PKiS7_S7_iiiiiii
		.amdhsa_group_segment_fixed_size 22272
		.amdhsa_private_segment_fixed_size 0
		.amdhsa_kernarg_size 76
		.amdhsa_user_sgpr_count 6
		.amdhsa_user_sgpr_private_segment_buffer 1
		.amdhsa_user_sgpr_dispatch_ptr 0
		.amdhsa_user_sgpr_queue_ptr 0
		.amdhsa_user_sgpr_kernarg_segment_ptr 1
		.amdhsa_user_sgpr_dispatch_id 0
		.amdhsa_user_sgpr_flat_scratch_init 0
		.amdhsa_user_sgpr_private_segment_size 0
		.amdhsa_wavefront_size32 1
		.amdhsa_uses_dynamic_stack 0
		.amdhsa_system_sgpr_private_segment_wavefront_offset 0
		.amdhsa_system_sgpr_workgroup_id_x 1
		.amdhsa_system_sgpr_workgroup_id_y 1
		.amdhsa_system_sgpr_workgroup_id_z 0
		.amdhsa_system_sgpr_workgroup_info 0
		.amdhsa_system_vgpr_workitem_id 1
		.amdhsa_next_free_vgpr 111
		.amdhsa_next_free_sgpr 19
		.amdhsa_reserve_vcc 1
		.amdhsa_reserve_flat_scratch 0
		.amdhsa_float_round_mode_32 0
		.amdhsa_float_round_mode_16_64 0
		.amdhsa_float_denorm_mode_32 3
		.amdhsa_float_denorm_mode_16_64 3
		.amdhsa_dx10_clamp 1
		.amdhsa_ieee_mode 1
		.amdhsa_fp16_overflow 0
		.amdhsa_workgroup_processor_mode 1
		.amdhsa_memory_ordered 1
		.amdhsa_forward_progress 1
		.amdhsa_shared_vgpr_count 0
		.amdhsa_exception_fp_ieee_invalid_op 0
		.amdhsa_exception_fp_denorm_src 0
		.amdhsa_exception_fp_ieee_div_zero 0
		.amdhsa_exception_fp_ieee_overflow 0
		.amdhsa_exception_fp_ieee_underflow 0
		.amdhsa_exception_fp_ieee_inexact 0
		.amdhsa_exception_int_div_zero 0
	.end_amdhsa_kernel
	.section	.text._ZL8moe_q4_1IN3c108BFloat16ELb0EEvPKvS3_PT_PKiS7_S7_iiiiiii,"axG",@progbits,_ZL8moe_q4_1IN3c108BFloat16ELb0EEvPKvS3_PT_PKiS7_S7_iiiiiii,comdat
.Lfunc_end219:
	.size	_ZL8moe_q4_1IN3c108BFloat16ELb0EEvPKvS3_PT_PKiS7_S7_iiiiiii, .Lfunc_end219-_ZL8moe_q4_1IN3c108BFloat16ELb0EEvPKvS3_PT_PKiS7_S7_iiiiiii
                                        ; -- End function
	.set _ZL8moe_q4_1IN3c108BFloat16ELb0EEvPKvS3_PT_PKiS7_S7_iiiiiii.num_vgpr, 111
	.set _ZL8moe_q4_1IN3c108BFloat16ELb0EEvPKvS3_PT_PKiS7_S7_iiiiiii.num_agpr, 0
	.set _ZL8moe_q4_1IN3c108BFloat16ELb0EEvPKvS3_PT_PKiS7_S7_iiiiiii.numbered_sgpr, 19
	.set _ZL8moe_q4_1IN3c108BFloat16ELb0EEvPKvS3_PT_PKiS7_S7_iiiiiii.num_named_barrier, 0
	.set _ZL8moe_q4_1IN3c108BFloat16ELb0EEvPKvS3_PT_PKiS7_S7_iiiiiii.private_seg_size, 0
	.set _ZL8moe_q4_1IN3c108BFloat16ELb0EEvPKvS3_PT_PKiS7_S7_iiiiiii.uses_vcc, 1
	.set _ZL8moe_q4_1IN3c108BFloat16ELb0EEvPKvS3_PT_PKiS7_S7_iiiiiii.uses_flat_scratch, 0
	.set _ZL8moe_q4_1IN3c108BFloat16ELb0EEvPKvS3_PT_PKiS7_S7_iiiiiii.has_dyn_sized_stack, 0
	.set _ZL8moe_q4_1IN3c108BFloat16ELb0EEvPKvS3_PT_PKiS7_S7_iiiiiii.has_recursion, 0
	.set _ZL8moe_q4_1IN3c108BFloat16ELb0EEvPKvS3_PT_PKiS7_S7_iiiiiii.has_indirect_call, 0
	.section	.AMDGPU.csdata,"",@progbits
; Kernel info:
; codeLenInByte = 4380
; TotalNumSgprs: 21
; NumVgprs: 111
; ScratchSize: 0
; MemoryBound: 0
; FloatMode: 240
; IeeeMode: 1
; LDSByteSize: 22272 bytes/workgroup (compile time only)
; SGPRBlocks: 0
; VGPRBlocks: 13
; NumSGPRsForWavesPerEU: 21
; NumVGPRsForWavesPerEU: 111
; Occupancy: 9
; WaveLimiterHint : 1
; COMPUTE_PGM_RSRC2:SCRATCH_EN: 0
; COMPUTE_PGM_RSRC2:USER_SGPR: 6
; COMPUTE_PGM_RSRC2:TRAP_HANDLER: 0
; COMPUTE_PGM_RSRC2:TGID_X_EN: 1
; COMPUTE_PGM_RSRC2:TGID_Y_EN: 1
; COMPUTE_PGM_RSRC2:TGID_Z_EN: 0
; COMPUTE_PGM_RSRC2:TIDIG_COMP_CNT: 1
	.section	.text._ZL8moe_q4_1IN3c108BFloat16ELb1EEvPKvS3_PT_PKiS7_S7_iiiiiii,"axG",@progbits,_ZL8moe_q4_1IN3c108BFloat16ELb1EEvPKvS3_PT_PKiS7_S7_iiiiiii,comdat
	.globl	_ZL8moe_q4_1IN3c108BFloat16ELb1EEvPKvS3_PT_PKiS7_S7_iiiiiii ; -- Begin function _ZL8moe_q4_1IN3c108BFloat16ELb1EEvPKvS3_PT_PKiS7_S7_iiiiiii
	.p2align	8
	.type	_ZL8moe_q4_1IN3c108BFloat16ELb1EEvPKvS3_PT_PKiS7_S7_iiiiiii,@function
_ZL8moe_q4_1IN3c108BFloat16ELb1EEvPKvS3_PT_PKiS7_S7_iiiiiii: ; @_ZL8moe_q4_1IN3c108BFloat16ELb1EEvPKvS3_PT_PKiS7_S7_iiiiiii
; %bb.0:
	s_load_dwordx4 s[0:3], s[4:5], 0x18
	s_mov_b32 s8, s7
	s_mov_b32 s9, 0
	s_lshl_b64 s[10:11], s[8:9], 2
	s_waitcnt lgkmcnt(0)
	s_add_u32 s2, s2, s10
	s_addc_u32 s3, s3, s11
	s_load_dword s7, s[2:3], 0x0
	s_waitcnt lgkmcnt(0)
	s_cmpk_gt_u32 s7, 0xff
	s_cbranch_scc1 .LBB220_30
; %bb.1:
	s_load_dwordx2 s[2:3], s[4:5], 0x28
	s_waitcnt lgkmcnt(0)
	s_load_dword s3, s[2:3], 0x0
	s_lshl_b32 s2, s8, 3
	s_waitcnt lgkmcnt(0)
	s_cmp_gt_u32 s2, s3
	s_cbranch_scc1 .LBB220_30
; %bb.2:
	v_add_nc_u32_e32 v12, s2, v1
	v_mov_b32_e32 v13, 0
	s_lshl_b32 s6, s6, 7
	v_lshlrev_b64 v[2:3], 2, v[12:13]
	v_mov_b32_e32 v43, v13
	v_mov_b32_e32 v47, v13
	v_mov_b32_e32 v22, v13
	v_add_co_u32 v2, vcc_lo, s0, v2
	v_add_co_ci_u32_e64 v3, null, s1, v3, vcc_lo
	global_load_dword v21, v[2:3], off
	s_clause 0x1
	s_load_dwordx8 s[8:15], s[4:5], 0x30
	s_load_dwordx2 s[16:17], s[4:5], 0x10
	s_waitcnt lgkmcnt(0)
	s_cmp_lt_i32 s9, 32
	s_cbranch_scc1 .LBB220_21
; %bb.3:
	s_load_dwordx4 s[0:3], s[4:5], 0x0
	s_ashr_i32 s4, s9, 31
	s_ashr_i32 s5, s12, 31
	s_lshr_b32 s4, s4, 27
	s_lshr_b32 s5, s5, 27
	s_add_i32 s4, s9, s4
	s_mul_i32 s15, s7, s8
	s_ashr_i32 s7, s4, 5
	s_add_i32 s4, s12, s5
	s_mul_i32 s5, s7, s6
	s_ashr_i32 s18, s15, 31
	s_ashr_i32 s8, s4, 5
	s_mul_hi_i32 s4, s5, 20
	s_mul_i32 s5, s5, 20
	v_add_nc_u32_e32 v2, 8, v1
	v_add_nc_u32_e32 v3, 16, v1
	;; [unrolled: 1-line block ×4, first 2 shown]
	v_lshlrev_b32_e32 v20, 2, v0
	v_add_nc_u32_e32 v9, 40, v1
	s_waitcnt lgkmcnt(0)
	s_add_u32 s0, s0, s15
	s_addc_u32 s1, s1, s18
	s_add_u32 s12, s0, s5
	s_addc_u32 s15, s1, s4
	s_not_b32 s0, s6
	v_add_nc_u32_e32 v10, 48, v1
	s_add_i32 s0, s10, s0
	v_add_nc_u32_e32 v11, 56, v1
	v_min_i32_e32 v4, s0, v1
	v_min_i32_e32 v5, s0, v2
	;; [unrolled: 1-line block ×4, first 2 shown]
	v_add_nc_u32_e32 v12, 64, v1
	v_min_i32_e32 v8, s0, v8
	v_add_nc_u32_e32 v13, 0x48, v1
	s_waitcnt vmcnt(0)
	v_mad_u64_u32 v[2:3], null, 0x84, v4, v[20:21]
	v_min_i32_e32 v9, s0, v9
	v_add_nc_u32_e32 v14, 0x50, v1
	v_mul_lo_u32 v25, v4, s7
	v_mad_u64_u32 v[3:4], null, 0x84, v5, v[20:21]
	v_min_i32_e32 v10, s0, v10
	v_mul_lo_u32 v26, v5, s7
	v_mad_u64_u32 v[4:5], null, 0x84, v6, v[20:21]
	v_min_i32_e32 v11, s0, v11
	;; [unrolled: 3-line block ×5, first 2 shown]
	v_mul_lo_u32 v30, v9, s7
	v_mad_u64_u32 v[8:9], null, 0x84, v10, v[20:21]
	v_add_nc_u32_e32 v16, 0x60, v1
	v_mul_lo_u32 v31, v10, s7
	v_mad_u64_u32 v[9:10], null, 0x84, v11, v[20:21]
	v_mul_lo_u32 v32, v11, s7
	v_mad_u64_u32 v[10:11], null, 0x84, v12, v[20:21]
	;; [unrolled: 2-line block ×3, first 2 shown]
	s_abs_i32 s1, s14
	v_mul_lo_u32 v34, v13, s7
	v_mad_u64_u32 v[12:13], null, 0x84, v14, v[20:21]
	v_min_i32_e32 v13, s0, v16
	v_cvt_f32_u32_e32 v16, s1
	v_add_nc_u32_e32 v15, 0x58, v1
	v_add_nc_u32_e32 v19, 0x70, v1
	v_lshrrev_b32_e32 v38, 3, v0
	s_sub_i32 s4, 0, s1
	v_rcp_iflag_f32_e32 v18, v16
	v_min_i32_e32 v15, s0, v15
	v_add_nc_u32_e32 v17, 0x68, v1
	v_mul_lo_u32 v35, v14, s7
	v_mul_lo_u32 v37, v13, s7
	v_lshl_add_u32 v43, v1, 2, v38
	v_mul_lo_u32 v36, v15, s7
	v_mad_u64_u32 v[14:15], null, 0x84, v15, v[20:21]
	v_mad_u64_u32 v[15:16], null, 0x84, v13, v[20:21]
	v_mul_f32_e32 v18, 0x4f7ffffe, v18
	v_min_i32_e32 v13, s0, v19
	v_add_nc_u32_e32 v19, 0x78, v1
	v_min_i32_e32 v17, s0, v17
	v_add_nc_u32_e32 v47, 32, v43
	v_cvt_u32_f32_e32 v46, v18
	v_sub_nc_u32_e32 v49, 0, v21
	v_min_i32_e32 v19, s0, v19
	v_mul_lo_u32 v39, v17, s7
	v_mad_u64_u32 v[16:17], null, 0x84, v17, v[20:21]
	v_mul_lo_u32 v44, s4, v46
	v_mad_u64_u32 v[17:18], null, 0x84, v13, v[20:21]
	;; [unrolled: 2-line block ×3, first 2 shown]
	v_min_i32_e32 v19, s0, v47
	v_add_nc_u32_e32 v47, 64, v43
	v_mul_hi_u32 v48, v46, v44
	v_max_i32_e32 v49, v21, v49
	v_min_i32_e32 v45, s0, v43
	v_ashrrev_i32_e32 v50, 31, v19
	v_min_i32_e32 v47, s0, v47
	v_add_nc_u32_e32 v43, 0x60, v43
	v_and_b32_e32 v42, 7, v0
	v_mul_lo_u32 v40, v13, s7
	v_add_nc_u32_e32 v46, v46, v48
	v_lshrrev_b32_e32 v48, 30, v50
	v_ashrrev_i32_e32 v50, 31, v47
	v_ashrrev_i32_e32 v13, 31, v45
	v_min_i32_e32 v43, s0, v43
	v_mul_hi_u32 v52, v49, v46
	v_add_nc_u32_e32 v46, v19, v48
	v_lshrrev_b32_e32 v48, 30, v50
	v_lshlrev_b32_e32 v51, 2, v42
	v_lshrrev_b32_e32 v13, 30, v13
	v_ashrrev_i32_e32 v53, 31, v43
	v_mul_lo_u32 v44, v45, s7
	v_add_nc_u32_e32 v48, v47, v48
	v_mul_lo_u32 v50, v52, s1
	v_add_nc_u32_e32 v13, v45, v13
	v_lshlrev_b32_e32 v65, 5, v45
	v_mul_lo_u32 v45, v19, s7
	v_and_b32_e32 v48, -4, v48
	v_lshlrev_b32_e32 v67, 5, v19
	v_lshrrev_b32_e32 v19, 30, v53
	v_xor_b32_e32 v53, s14, v21
	v_sub_nc_u32_e32 v49, v49, v50
	v_add3_u32 v68, v48, v51, 0x4200
	v_add_nc_u32_e32 v48, 1, v52
	v_add_nc_u32_e32 v19, v43, v19
	v_ashrrev_i32_e32 v53, 31, v53
	v_subrev_nc_u32_e32 v50, s1, v49
	v_cmp_le_u32_e32 vcc_lo, s1, v49
	v_and_b32_e32 v13, -4, v13
	v_and_b32_e32 v19, -4, v19
	;; [unrolled: 1-line block ×3, first 2 shown]
	v_add_nc_u32_e32 v56, 64, v0
	v_cndmask_b32_e32 v52, v52, v48, vcc_lo
	v_cndmask_b32_e32 v49, v49, v50, vcc_lo
	v_add3_u32 v69, v19, v51, 0x4200
	v_and_b32_e32 v19, 31, v0
	v_add_nc_u32_e32 v57, 0x60, v0
	v_add_nc_u32_e32 v50, 1, v52
	v_cmp_le_u32_e32 vcc_lo, s1, v49
	v_lshl_add_u32 v49, v1, 7, 0x5280
	v_lshl_add_u32 v1, v1, 4, 0x5680
	v_and_b32_e32 v24, 12, v20
	v_add3_u32 v13, v13, v51, 0x4200
	v_cndmask_b32_e32 v50, v52, v50, vcc_lo
	v_add3_u32 v66, v46, v51, 0x4200
	v_and_b32_e32 v55, 28, v20
	v_add_nc_u32_e32 v51, v1, v20
	v_lshlrev_b32_e32 v58, 5, v0
	v_xor_b32_e32 v52, v50, v53
	v_lshl_or_b32 v50, v19, 2, v49
	v_add_nc_u32_e32 v19, 32, v0
	v_and_b32_e32 v57, 0x1fc, v57
	v_and_b32_e32 v56, 0x1fc, v56
	v_sub_nc_u32_e32 v20, v52, v53
	v_and_b32_e32 v60, 0xfc, v0
	v_and_b32_e32 v59, 0x1fc, v19
	v_mul_lo_u32 v46, v47, s7
	v_lshlrev_b32_e32 v47, 5, v47
	v_mul_lo_u32 v54, v20, s8
	v_mul_lo_u32 v48, v43, s7
	v_lshlrev_b32_e32 v43, 5, v43
	v_add_nc_u32_e32 v61, v58, v57
	v_add_nc_u32_e32 v62, v58, v56
	;; [unrolled: 1-line block ×4, first 2 shown]
	v_cmp_gt_u32_e32 vcc_lo, 4, v0
	v_lshrrev_b32_e32 v53, 3, v19
	v_cmp_gt_i32_e64 s0, s11, v20
	v_add_co_u32 v19, s1, s2, v55
	v_lshrrev_b32_e32 v23, 2, v0
	v_mov_b32_e32 v22, 0
	v_mul_u32_u24_e32 v52, 0x84, v0
	v_add_co_ci_u32_e64 v20, null, s3, 0, s1
	v_ashrrev_i32_e32 v55, 31, v54
	v_add_nc_u32_e32 v56, 0x4e00, v61
	v_add_nc_u32_e32 v57, 0x4a00, v62
	;; [unrolled: 1-line block ×4, first 2 shown]
	v_mad_u32_u24 v60, 0x84, v0, 64
	v_add_nc_u32_e32 v61, 0x4e10, v61
	v_add_nc_u32_e32 v62, 0x4a10, v62
	;; [unrolled: 1-line block ×8, first 2 shown]
	v_mov_b32_e32 v47, 0
	v_mov_b32_e32 v43, 0
	;; [unrolled: 1-line block ×3, first 2 shown]
	s_mov_b32 s10, 0
	s_and_b32 s18, vcc_lo, s0
	s_branch .LBB220_5
.LBB220_4:                              ;   in Loop: Header=BB220_5 Depth=1
	s_add_i32 s10, s10, 8
	s_cmp_ge_i32 s10, s7
	s_cbranch_scc1 .LBB220_21
.LBB220_5:                              ; =>This Loop Header: Depth=1
                                        ;     Child Loop BB220_11 Depth 2
                                        ;     Child Loop BB220_19 Depth 2
	s_mul_i32 s1, s10, 20
	s_mul_hi_u32 s5, s10, 20
	s_add_u32 s4, s12, s1
	s_addc_u32 s5, s15, s5
	v_mad_u64_u32 v[69:70], null, v23, 20, s[4:5]
	v_mad_i64_i32 v[71:72], null, v25, 20, v[69:70]
	v_mad_i64_i32 v[73:74], null, v26, 20, v[69:70]
	;; [unrolled: 1-line block ×4, first 2 shown]
	v_add_co_u32 v71, s1, v71, v24
	v_mad_i64_i32 v[79:80], null, v29, 20, v[69:70]
	v_add_co_ci_u32_e64 v72, null, 0, v72, s1
	v_add_co_u32 v73, s1, v73, v24
	v_mad_i64_i32 v[81:82], null, v30, 20, v[69:70]
	v_add_co_ci_u32_e64 v74, null, 0, v74, s1
	;; [unrolled: 3-line block ×4, first 2 shown]
	v_add_co_u32 v79, s1, v79, v24
	v_add_co_ci_u32_e64 v80, null, 0, v80, s1
	v_add_co_u32 v81, s1, v81, v24
	v_add_co_ci_u32_e64 v82, null, 0, v82, s1
	v_add_co_u32 v83, s1, v83, v24
	v_add_co_ci_u32_e64 v84, null, 0, v84, s1
	v_add_co_u32 v85, s1, v85, v24
	v_mad_i64_i32 v[87:88], null, v33, 20, v[69:70]
	v_add_co_ci_u32_e64 v86, null, 0, v86, s1
	s_clause 0x7
	global_load_dword v93, v[71:72], off offset:4
	global_load_dword v94, v[73:74], off offset:4
	;; [unrolled: 1-line block ×8, first 2 shown]
	v_mad_i64_i32 v[71:72], null, v34, 20, v[69:70]
	v_mad_i64_i32 v[75:76], null, v35, 20, v[69:70]
	;; [unrolled: 1-line block ×3, first 2 shown]
	v_add_co_u32 v73, s1, v87, v24
	v_mad_i64_i32 v[79:80], null, v37, 20, v[69:70]
	v_add_co_ci_u32_e64 v74, null, 0, v88, s1
	v_add_co_u32 v71, s1, v71, v24
	v_mad_i64_i32 v[81:82], null, v39, 20, v[69:70]
	v_add_co_ci_u32_e64 v72, null, 0, v72, s1
	;; [unrolled: 3-line block ×4, first 2 shown]
	v_add_co_u32 v79, s1, v79, v24
	v_mad_u64_u32 v[85:86], null, v42, 20, s[4:5]
	v_add_co_ci_u32_e64 v80, null, 0, v80, s1
	v_add_co_u32 v81, s1, v81, v24
	v_add_co_ci_u32_e64 v82, null, 0, v82, s1
	v_add_co_u32 v83, s1, v83, v24
	;; [unrolled: 2-line block ×3, first 2 shown]
	v_add_co_ci_u32_e64 v70, null, 0, v70, s1
	v_mad_i64_i32 v[87:88], null, v44, 20, v[85:86]
	v_mad_i64_i32 v[89:90], null, v45, 20, v[85:86]
	;; [unrolled: 1-line block ×4, first 2 shown]
	s_clause 0xb
	global_load_dword v73, v[73:74], off offset:4
	global_load_dword v71, v[71:72], off offset:4
	;; [unrolled: 1-line block ×8, first 2 shown]
	global_load_dword v70, v[87:88], off
	global_load_dword v78, v[89:90], off
	;; [unrolled: 1-line block ×4, first 2 shown]
	s_lshl_b32 s4, s10, 5
	s_waitcnt vmcnt(19)
	ds_write_b32 v2, v93
	s_waitcnt vmcnt(18)
	ds_write_b32 v3, v94
	s_waitcnt vmcnt(17)
	ds_write_b32 v4, v95
	s_waitcnt vmcnt(16)
	ds_write_b32 v5, v96
	s_waitcnt vmcnt(15)
	ds_write_b32 v6, v97
	s_waitcnt vmcnt(14)
	ds_write_b32 v7, v98
	s_waitcnt vmcnt(13)
	ds_write_b32 v8, v99
	s_waitcnt vmcnt(12)
	ds_write_b32 v9, v100
	s_waitcnt vmcnt(11)
	ds_write_b32 v10, v73
	s_waitcnt vmcnt(10)
	ds_write_b32 v11, v71
	s_waitcnt vmcnt(9)
	ds_write_b32 v12, v72
	s_waitcnt vmcnt(8)
	ds_write_b32 v14, v74
	s_waitcnt vmcnt(7)
	ds_write_b32 v15, v75
	s_waitcnt vmcnt(6)
	ds_write_b32 v16, v76
	s_waitcnt vmcnt(5)
	ds_write_b32 v17, v77
	s_waitcnt vmcnt(4)
	ds_write_b32 v18, v69
	s_waitcnt vmcnt(3)
	ds_write_b32 v65, v70
	s_waitcnt vmcnt(2)
	ds_write_b32 v66, v78
	s_waitcnt vmcnt(1)
	ds_write_b32 v67, v79
	s_waitcnt vmcnt(0)
	ds_write_b32 v68, v80
	s_cmp_lt_i32 s4, s9
	s_cbranch_scc0 .LBB220_4
; %bb.6:                                ;   in Loop: Header=BB220_5 Depth=1
	v_add_nc_u32_e32 v69, s10, v38
	v_cmp_gt_i32_e64 s1, s8, v69
	s_and_b32 s5, s0, s1
	s_and_saveexec_b32 s1, s5
	s_cbranch_execz .LBB220_8
; %bb.7:                                ;   in Loop: Header=BB220_5 Depth=1
	v_add_nc_u32_e32 v69, v54, v69
	v_mad_i64_i32 v[69:70], null, v69, 36, v[19:20]
	global_load_dword v69, v[69:70], off offset:4
	s_waitcnt vmcnt(0)
	ds_write_b32 v50, v69
.LBB220_8:                              ;   in Loop: Header=BB220_5 Depth=1
	s_or_b32 exec_lo, exec_lo, s1
	v_add_nc_u32_e32 v69, s10, v0
	v_cmp_gt_i32_e64 s1, s8, v69
	s_and_b32 s5, s18, s1
	s_and_saveexec_b32 s1, s5
	s_cbranch_execz .LBB220_10
; %bb.9:                                ;   in Loop: Header=BB220_5 Depth=1
	v_add_nc_u32_e32 v70, v54, v69
	v_mad_i64_i32 v[70:71], null, v70, 36, s[2:3]
	global_load_dword v70, v[70:71], off
	s_waitcnt vmcnt(0)
	ds_write_b32 v51, v70
.LBB220_10:                             ;   in Loop: Header=BB220_5 Depth=1
	s_or_b32 exec_lo, exec_lo, s1
	v_mov_b32_e32 v70, v49
	v_mov_b32_e32 v71, v1
	;; [unrolled: 1-line block ×7, first 2 shown]
	s_mov_b32 s1, -4
	s_waitcnt lgkmcnt(0)
	s_barrier
	buffer_gl0_inv
.LBB220_11:                             ;   Parent Loop BB220_5 Depth=1
                                        ; =>  This Inner Loop Header: Depth=2
	v_add_nc_u32_e32 v89, 0x1080, v76
	v_add_nc_u32_e32 v91, 0x1088, v76
	;; [unrolled: 1-line block ×4, first 2 shown]
	ds_read_b128 v[77:80], v70
	ds_read_b128 v[81:84], v70 offset:16
	ds_read2_b32 v[85:86], v76 offset0:2 offset1:3
	v_add_nc_u32_e32 v97, 0x3180, v76
	ds_read2_b32 v[87:88], v76 offset1:1
	ds_read_b32 v104, v71
	ds_read_b32 v105, v72
	;; [unrolled: 1-line block ×5, first 2 shown]
	v_add_nc_u32_e32 v99, 0x3188, v76
	ds_read2_b32 v[89:90], v89 offset1:1
	ds_read2_b32 v[91:92], v91 offset1:1
	ds_read2_b32 v[93:94], v93 offset1:1
	ds_read2_b32 v[95:96], v95 offset1:1
	ds_read2_b32 v[97:98], v97 offset1:1
	ds_read2_b32 v[99:100], v99 offset1:1
	v_mov_b32_e32 v101, 0
	v_mov_b32_e32 v102, 0
	;; [unrolled: 1-line block ×4, first 2 shown]
	v_add_nc_u32_e32 v76, 16, v76
	v_add_nc_u32_e32 v75, 4, v75
	;; [unrolled: 1-line block ×7, first 2 shown]
	s_add_i32 s1, s1, 4
	s_waitcnt lgkmcnt(11)
	v_and_b32_e32 v110, 0xf0f0f0f, v87
	v_lshrrev_b32_e32 v87, 4, v87
	s_waitcnt lgkmcnt(5)
	v_and_b32_e32 v114, 0xf0f0f0f, v90
	v_lshrrev_b32_e32 v90, 4, v90
	s_waitcnt lgkmcnt(4)
	v_and_b32_e32 v115, 0xf0f0f0f, v91
	v_dot4c_i32_i8 v101, v110, v77
	v_and_b32_e32 v87, 0xf0f0f0f, v87
	v_and_b32_e32 v110, 0xf0f0f0f, v89
	v_lshrrev_b32_e32 v89, 4, v89
	v_lshrrev_b32_e32 v91, 4, v91
	s_waitcnt lgkmcnt(3)
	v_and_b32_e32 v117, 0xf0f0f0f, v93
	v_lshrrev_b32_e32 v93, 4, v93
	s_waitcnt lgkmcnt(1)
	v_and_b32_e32 v121, 0xf0f0f0f, v97
	v_lshrrev_b32_e32 v97, 4, v97
	v_dot4c_i32_i8 v101, v87, v81
	v_and_b32_e32 v87, 0xf0f0f0f, v89
	v_dot4c_i32_i8 v102, v110, v77
	v_and_b32_e32 v89, 0xf0f0f0f, v90
	v_and_b32_e32 v90, 0xf0f0f0f, v91
	;; [unrolled: 1-line block ×3, first 2 shown]
	v_dot4c_i32_i8 v103, v117, v77
	v_and_b32_e32 v93, 0xf0f0f0f, v97
	v_dot4c_i32_i8 v109, v121, v77
	v_and_b32_e32 v111, 0xf0f0f0f, v88
	v_lshrrev_b32_e32 v88, 4, v88
	v_and_b32_e32 v116, 0xf0f0f0f, v92
	v_lshrrev_b32_e32 v92, 4, v92
	;; [unrolled: 2-line block ×4, first 2 shown]
	v_dot4c_i32_i8 v102, v87, v81
	v_dot4c_i32_i8 v103, v91, v81
	;; [unrolled: 1-line block ×3, first 2 shown]
	v_and_b32_e32 v88, 0xf0f0f0f, v88
	v_and_b32_e32 v77, 0xf0f0f0f, v92
	v_and_b32_e32 v92, 0xf0f0f0f, v94
	v_and_b32_e32 v81, 0xf0f0f0f, v98
	v_dot4c_i32_i8 v101, v111, v78
	v_dot4c_i32_i8 v102, v114, v78
	;; [unrolled: 1-line block ×4, first 2 shown]
	v_and_b32_e32 v112, 0xf0f0f0f, v85
	v_lshrrev_b32_e32 v85, 4, v85
	v_and_b32_e32 v119, 0xf0f0f0f, v95
	v_lshrrev_b32_e32 v95, 4, v95
	s_waitcnt lgkmcnt(0)
	v_and_b32_e32 v123, 0xf0f0f0f, v99
	v_lshrrev_b32_e32 v99, 4, v99
	v_dot4c_i32_i8 v101, v88, v82
	v_dot4c_i32_i8 v102, v89, v82
	;; [unrolled: 1-line block ×4, first 2 shown]
	v_and_b32_e32 v85, 0xf0f0f0f, v85
	v_and_b32_e32 v78, 0xf0f0f0f, v95
	;; [unrolled: 1-line block ×3, first 2 shown]
	v_dot4c_i32_i8 v101, v112, v79
	v_dot4c_i32_i8 v102, v115, v79
	;; [unrolled: 1-line block ×4, first 2 shown]
	v_and_b32_e32 v113, 0xf0f0f0f, v86
	v_lshrrev_b32_e32 v86, 4, v86
	v_and_b32_e32 v120, 0xf0f0f0f, v96
	v_lshrrev_b32_e32 v96, 4, v96
	;; [unrolled: 2-line block ×3, first 2 shown]
	v_dot4c_i32_i8 v101, v85, v83
	v_dot4c_i32_i8 v102, v90, v83
	;; [unrolled: 1-line block ×4, first 2 shown]
	v_and_b32_e32 v86, 0xf0f0f0f, v86
	v_and_b32_e32 v79, 0xf0f0f0f, v96
	;; [unrolled: 1-line block ×3, first 2 shown]
	v_dot4c_i32_i8 v101, v113, v80
	v_dot4c_i32_i8 v102, v116, v80
	;; [unrolled: 1-line block ×4, first 2 shown]
	v_pk_mul_f16 v105, v104, v105
	v_dot4c_i32_i8 v101, v86, v84
	v_dot4c_i32_i8 v102, v77, v84
	;; [unrolled: 1-line block ×4, first 2 shown]
	v_pk_mul_f16 v106, v104, v106
	v_pk_mul_f16 v80, v104, v107
	;; [unrolled: 1-line block ×3, first 2 shown]
	v_cvt_f32_i32_e32 v78, v101
	v_cvt_f32_i32_e32 v79, v102
	;; [unrolled: 1-line block ×4, first 2 shown]
	s_cmp_lt_u32 s1, 12
	v_fma_mix_f32 v78, v105, v78, v105 op_sel:[0,0,1] op_sel_hi:[1,0,1]
	v_fma_mix_f32 v79, v106, v79, v106 op_sel:[0,0,1] op_sel_hi:[1,0,1]
	;; [unrolled: 1-line block ×4, first 2 shown]
	v_add_f32_e32 v22, v22, v78
	v_add_f32_e32 v47, v47, v79
	;; [unrolled: 1-line block ×4, first 2 shown]
	s_cbranch_scc1 .LBB220_11
; %bb.12:                               ;   in Loop: Header=BB220_5 Depth=1
	s_bitset1_b32 s4, 7
	s_cmp_ge_i32 s4, s9
	s_barrier
	buffer_gl0_inv
	s_cbranch_scc1 .LBB220_4
; %bb.13:                               ;   in Loop: Header=BB220_5 Depth=1
	v_add_nc_u32_e32 v70, s10, v53
	v_cmp_gt_i32_e64 s1, s8, v70
	s_and_b32 s4, s0, s1
	s_and_saveexec_b32 s1, s4
	s_cbranch_execz .LBB220_15
; %bb.14:                               ;   in Loop: Header=BB220_5 Depth=1
	v_add_nc_u32_e32 v70, v54, v70
	v_mad_i64_i32 v[70:71], null, v70, 36, v[19:20]
	global_load_dword v70, v[70:71], off offset:4
	s_waitcnt vmcnt(0)
	ds_write_b32 v50, v70
.LBB220_15:                             ;   in Loop: Header=BB220_5 Depth=1
	s_or_b32 exec_lo, exec_lo, s1
	s_and_saveexec_b32 s4, vcc_lo
	s_cbranch_execz .LBB220_18
; %bb.16:                               ;   in Loop: Header=BB220_5 Depth=1
	v_or_b32_e32 v70, 4, v69
	v_cmp_gt_i32_e64 s1, s8, v70
	s_and_b32 s1, s0, s1
	s_and_b32 exec_lo, exec_lo, s1
	s_cbranch_execz .LBB220_18
; %bb.17:                               ;   in Loop: Header=BB220_5 Depth=1
	v_ashrrev_i32_e32 v70, 31, v69
	v_add_co_u32 v69, s1, v54, v69
	v_add_co_ci_u32_e64 v71, null, v55, v70, s1
	v_mad_u64_u32 v[69:70], null, v69, 36, s[2:3]
	v_mad_i32_i24 v70, v71, 36, v70
	global_load_dword v69, v[69:70], off offset:144
	s_waitcnt vmcnt(0)
	ds_write_b32 v51, v69
.LBB220_18:                             ;   in Loop: Header=BB220_5 Depth=1
	s_or_b32 exec_lo, exec_lo, s4
	v_mov_b32_e32 v69, v1
	v_mov_b32_e32 v70, v49
	;; [unrolled: 1-line block ×7, first 2 shown]
	s_mov_b32 s1, 12
	s_waitcnt lgkmcnt(0)
	s_barrier
	buffer_gl0_inv
.LBB220_19:                             ;   Parent Loop BB220_5 Depth=1
                                        ; =>  This Inner Loop Header: Depth=2
	ds_read_b128 v[76:79], v70
	ds_read_b128 v[80:83], v70 offset:16
	ds_read_b32 v100, v69
	ds_read2_b32 v[84:85], v75 offset1:1
	v_add_nc_u32_e32 v88, 0x1080, v75
	v_add_nc_u32_e32 v90, 0x1088, v75
	;; [unrolled: 1-line block ×6, first 2 shown]
	ds_read2_b32 v[86:87], v75 offset0:2 offset1:3
	ds_read_b32 v104, v71
	ds_read_b32 v105, v72
	;; [unrolled: 1-line block ×4, first 2 shown]
	ds_read2_b32 v[88:89], v88 offset1:1
	ds_read2_b32 v[90:91], v90 offset1:1
	;; [unrolled: 1-line block ×6, first 2 shown]
	v_mov_b32_e32 v101, 0
	v_mov_b32_e32 v102, 0
	;; [unrolled: 1-line block ×4, first 2 shown]
	v_add_nc_u32_e32 v75, 16, v75
	v_add_nc_u32_e32 v74, 4, v74
	;; [unrolled: 1-line block ×6, first 2 shown]
	s_waitcnt lgkmcnt(11)
	v_and_b32_e32 v109, 0xf0f0f0f, v84
	v_lshrrev_b32_e32 v84, 4, v84
	v_and_b32_e32 v110, 0xf0f0f0f, v85
	v_lshrrev_b32_e32 v85, 4, v85
	s_waitcnt lgkmcnt(5)
	v_and_b32_e32 v113, 0xf0f0f0f, v89
	v_dot4c_i32_i8 v101, v109, v76
	v_and_b32_e32 v84, 0xf0f0f0f, v84
	v_and_b32_e32 v109, 0xf0f0f0f, v88
	v_lshrrev_b32_e32 v88, 4, v88
	v_lshrrev_b32_e32 v89, 4, v89
	s_waitcnt lgkmcnt(4)
	v_and_b32_e32 v114, 0xf0f0f0f, v90
	v_lshrrev_b32_e32 v90, 4, v90
	s_waitcnt lgkmcnt(3)
	v_and_b32_e32 v116, 0xf0f0f0f, v92
	;; [unrolled: 3-line block ×3, first 2 shown]
	v_lshrrev_b32_e32 v96, 4, v96
	v_dot4c_i32_i8 v101, v84, v80
	v_and_b32_e32 v84, 0xf0f0f0f, v88
	v_dot4c_i32_i8 v102, v109, v76
	v_and_b32_e32 v88, 0xf0f0f0f, v89
	v_and_b32_e32 v89, 0xf0f0f0f, v90
	;; [unrolled: 1-line block ×3, first 2 shown]
	v_dot4c_i32_i8 v103, v116, v76
	v_and_b32_e32 v92, 0xf0f0f0f, v96
	v_dot4c_i32_i8 v108, v120, v76
	v_and_b32_e32 v115, 0xf0f0f0f, v91
	v_lshrrev_b32_e32 v91, 4, v91
	v_and_b32_e32 v117, 0xf0f0f0f, v93
	v_lshrrev_b32_e32 v93, 4, v93
	;; [unrolled: 2-line block ×3, first 2 shown]
	v_dot4c_i32_i8 v102, v84, v80
	v_dot4c_i32_i8 v103, v90, v80
	;; [unrolled: 1-line block ×3, first 2 shown]
	v_and_b32_e32 v85, 0xf0f0f0f, v85
	v_and_b32_e32 v76, 0xf0f0f0f, v91
	;; [unrolled: 1-line block ×4, first 2 shown]
	v_dot4c_i32_i8 v101, v110, v77
	v_dot4c_i32_i8 v102, v113, v77
	;; [unrolled: 1-line block ×4, first 2 shown]
	v_and_b32_e32 v111, 0xf0f0f0f, v86
	v_lshrrev_b32_e32 v86, 4, v86
	v_and_b32_e32 v118, 0xf0f0f0f, v94
	v_lshrrev_b32_e32 v94, 4, v94
	s_waitcnt lgkmcnt(0)
	v_and_b32_e32 v122, 0xf0f0f0f, v98
	v_lshrrev_b32_e32 v98, 4, v98
	v_dot4c_i32_i8 v101, v85, v81
	v_dot4c_i32_i8 v102, v88, v81
	;; [unrolled: 1-line block ×4, first 2 shown]
	v_and_b32_e32 v86, 0xf0f0f0f, v86
	v_and_b32_e32 v77, 0xf0f0f0f, v94
	;; [unrolled: 1-line block ×3, first 2 shown]
	v_dot4c_i32_i8 v101, v111, v78
	v_dot4c_i32_i8 v102, v114, v78
	v_dot4c_i32_i8 v103, v118, v78
	v_dot4c_i32_i8 v108, v122, v78
	v_and_b32_e32 v112, 0xf0f0f0f, v87
	v_lshrrev_b32_e32 v87, 4, v87
	v_and_b32_e32 v119, 0xf0f0f0f, v95
	v_lshrrev_b32_e32 v95, 4, v95
	;; [unrolled: 2-line block ×3, first 2 shown]
	v_dot4c_i32_i8 v101, v86, v82
	v_dot4c_i32_i8 v102, v89, v82
	;; [unrolled: 1-line block ×4, first 2 shown]
	v_and_b32_e32 v87, 0xf0f0f0f, v87
	v_and_b32_e32 v78, 0xf0f0f0f, v95
	;; [unrolled: 1-line block ×3, first 2 shown]
	v_dot4c_i32_i8 v101, v112, v79
	v_dot4c_i32_i8 v102, v115, v79
	;; [unrolled: 1-line block ×4, first 2 shown]
	v_pk_mul_f16 v104, v100, v104
	v_dot4c_i32_i8 v101, v87, v83
	v_dot4c_i32_i8 v102, v76, v83
	;; [unrolled: 1-line block ×4, first 2 shown]
	v_pk_mul_f16 v105, v100, v105
	v_pk_mul_f16 v79, v100, v106
	v_pk_mul_f16 v76, v100, v107
	v_cvt_f32_i32_e32 v77, v101
	v_cvt_f32_i32_e32 v78, v102
	;; [unrolled: 1-line block ×4, first 2 shown]
	v_add_nc_u32_e32 v69, 4, v69
	v_fma_mix_f32 v77, v104, v77, v104 op_sel:[0,0,1] op_sel_hi:[1,0,1]
	v_fma_mix_f32 v78, v105, v78, v105 op_sel:[0,0,1] op_sel_hi:[1,0,1]
	;; [unrolled: 1-line block ×4, first 2 shown]
	s_add_i32 s1, s1, 4
	v_add_f32_e32 v22, v22, v77
	v_add_f32_e32 v47, v47, v78
	;; [unrolled: 1-line block ×4, first 2 shown]
	s_cmp_lt_u32 s1, 28
	s_cbranch_scc1 .LBB220_19
; %bb.20:                               ;   in Loop: Header=BB220_5 Depth=1
	s_barrier
	buffer_gl0_inv
	s_branch .LBB220_4
.LBB220_21:
	s_mul_i32 s0, s14, s11
	s_waitcnt vmcnt(0)
	v_cmp_gt_i32_e32 vcc_lo, s0, v21
	s_and_saveexec_b32 s0, vcc_lo
	s_cbranch_execz .LBB220_30
; %bb.22:
	v_add_nc_u32_e32 v1, s6, v0
	v_mul_lo_u32 v0, v21, s13
	s_mov_b32 s0, exec_lo
	v_cmpx_gt_u32_e64 s13, v1
	s_cbranch_execz .LBB220_24
; %bb.23:
	v_add_nc_u32_e32 v2, v0, v1
	v_mov_b32_e32 v3, 0
	v_bfe_u32 v4, v22, 16, 1
	v_cmp_o_f32_e32 vcc_lo, v22, v22
	v_mov_b32_e32 v5, 0x7fc0
	v_lshlrev_b64 v[2:3], 1, v[2:3]
	v_add3_u32 v4, v22, v4, 0x7fff
	v_cndmask_b32_sdwa v4, v5, v4, vcc_lo dst_sel:DWORD dst_unused:UNUSED_PAD src0_sel:DWORD src1_sel:WORD_1
	v_add_co_u32 v2, vcc_lo, s16, v2
	v_add_co_ci_u32_e64 v3, null, s17, v3, vcc_lo
	global_store_short v[2:3], v4, off
.LBB220_24:
	s_or_b32 exec_lo, exec_lo, s0
	v_add_nc_u32_e32 v2, 32, v1
	s_mov_b32 s0, exec_lo
	v_cmpx_gt_u32_e64 s13, v2
	s_cbranch_execz .LBB220_26
; %bb.25:
	v_add_nc_u32_e32 v2, v0, v2
	v_mov_b32_e32 v3, 0
	v_bfe_u32 v4, v47, 16, 1
	v_cmp_o_f32_e32 vcc_lo, v47, v47
	v_mov_b32_e32 v5, 0x7fc0
	v_lshlrev_b64 v[2:3], 1, v[2:3]
	v_add3_u32 v4, v47, v4, 0x7fff
	v_cndmask_b32_sdwa v4, v5, v4, vcc_lo dst_sel:DWORD dst_unused:UNUSED_PAD src0_sel:DWORD src1_sel:WORD_1
	v_add_co_u32 v2, vcc_lo, s16, v2
	v_add_co_ci_u32_e64 v3, null, s17, v3, vcc_lo
	global_store_short v[2:3], v4, off
.LBB220_26:
	s_or_b32 exec_lo, exec_lo, s0
	v_add_nc_u32_e32 v2, 64, v1
	;; [unrolled: 18-line block ×3, first 2 shown]
	v_cmp_gt_u32_e32 vcc_lo, s13, v1
	s_and_b32 exec_lo, exec_lo, vcc_lo
	s_cbranch_execz .LBB220_30
; %bb.29:
	v_add_nc_u32_e32 v0, v0, v1
	v_mov_b32_e32 v1, 0
	v_bfe_u32 v2, v13, 16, 1
	v_cmp_o_f32_e32 vcc_lo, v13, v13
	v_mov_b32_e32 v3, 0x7fc0
	v_lshlrev_b64 v[0:1], 1, v[0:1]
	v_add3_u32 v2, v13, v2, 0x7fff
	v_cndmask_b32_sdwa v2, v3, v2, vcc_lo dst_sel:DWORD dst_unused:UNUSED_PAD src0_sel:DWORD src1_sel:WORD_1
	v_add_co_u32 v0, vcc_lo, s16, v0
	v_add_co_ci_u32_e64 v1, null, s17, v1, vcc_lo
	global_store_short v[0:1], v2, off
.LBB220_30:
	s_endpgm
	.section	.rodata,"a",@progbits
	.p2align	6, 0x0
	.amdhsa_kernel _ZL8moe_q4_1IN3c108BFloat16ELb1EEvPKvS3_PT_PKiS7_S7_iiiiiii
		.amdhsa_group_segment_fixed_size 22272
		.amdhsa_private_segment_fixed_size 0
		.amdhsa_kernarg_size 76
		.amdhsa_user_sgpr_count 6
		.amdhsa_user_sgpr_private_segment_buffer 1
		.amdhsa_user_sgpr_dispatch_ptr 0
		.amdhsa_user_sgpr_queue_ptr 0
		.amdhsa_user_sgpr_kernarg_segment_ptr 1
		.amdhsa_user_sgpr_dispatch_id 0
		.amdhsa_user_sgpr_flat_scratch_init 0
		.amdhsa_user_sgpr_private_segment_size 0
		.amdhsa_wavefront_size32 1
		.amdhsa_uses_dynamic_stack 0
		.amdhsa_system_sgpr_private_segment_wavefront_offset 0
		.amdhsa_system_sgpr_workgroup_id_x 1
		.amdhsa_system_sgpr_workgroup_id_y 1
		.amdhsa_system_sgpr_workgroup_id_z 0
		.amdhsa_system_sgpr_workgroup_info 0
		.amdhsa_system_vgpr_workitem_id 1
		.amdhsa_next_free_vgpr 125
		.amdhsa_next_free_sgpr 19
		.amdhsa_reserve_vcc 1
		.amdhsa_reserve_flat_scratch 0
		.amdhsa_float_round_mode_32 0
		.amdhsa_float_round_mode_16_64 0
		.amdhsa_float_denorm_mode_32 3
		.amdhsa_float_denorm_mode_16_64 3
		.amdhsa_dx10_clamp 1
		.amdhsa_ieee_mode 1
		.amdhsa_fp16_overflow 0
		.amdhsa_workgroup_processor_mode 1
		.amdhsa_memory_ordered 1
		.amdhsa_forward_progress 1
		.amdhsa_shared_vgpr_count 0
		.amdhsa_exception_fp_ieee_invalid_op 0
		.amdhsa_exception_fp_denorm_src 0
		.amdhsa_exception_fp_ieee_div_zero 0
		.amdhsa_exception_fp_ieee_overflow 0
		.amdhsa_exception_fp_ieee_underflow 0
		.amdhsa_exception_fp_ieee_inexact 0
		.amdhsa_exception_int_div_zero 0
	.end_amdhsa_kernel
	.section	.text._ZL8moe_q4_1IN3c108BFloat16ELb1EEvPKvS3_PT_PKiS7_S7_iiiiiii,"axG",@progbits,_ZL8moe_q4_1IN3c108BFloat16ELb1EEvPKvS3_PT_PKiS7_S7_iiiiiii,comdat
.Lfunc_end220:
	.size	_ZL8moe_q4_1IN3c108BFloat16ELb1EEvPKvS3_PT_PKiS7_S7_iiiiiii, .Lfunc_end220-_ZL8moe_q4_1IN3c108BFloat16ELb1EEvPKvS3_PT_PKiS7_S7_iiiiiii
                                        ; -- End function
	.set _ZL8moe_q4_1IN3c108BFloat16ELb1EEvPKvS3_PT_PKiS7_S7_iiiiiii.num_vgpr, 125
	.set _ZL8moe_q4_1IN3c108BFloat16ELb1EEvPKvS3_PT_PKiS7_S7_iiiiiii.num_agpr, 0
	.set _ZL8moe_q4_1IN3c108BFloat16ELb1EEvPKvS3_PT_PKiS7_S7_iiiiiii.numbered_sgpr, 19
	.set _ZL8moe_q4_1IN3c108BFloat16ELb1EEvPKvS3_PT_PKiS7_S7_iiiiiii.num_named_barrier, 0
	.set _ZL8moe_q4_1IN3c108BFloat16ELb1EEvPKvS3_PT_PKiS7_S7_iiiiiii.private_seg_size, 0
	.set _ZL8moe_q4_1IN3c108BFloat16ELb1EEvPKvS3_PT_PKiS7_S7_iiiiiii.uses_vcc, 1
	.set _ZL8moe_q4_1IN3c108BFloat16ELb1EEvPKvS3_PT_PKiS7_S7_iiiiiii.uses_flat_scratch, 0
	.set _ZL8moe_q4_1IN3c108BFloat16ELb1EEvPKvS3_PT_PKiS7_S7_iiiiiii.has_dyn_sized_stack, 0
	.set _ZL8moe_q4_1IN3c108BFloat16ELb1EEvPKvS3_PT_PKiS7_S7_iiiiiii.has_recursion, 0
	.set _ZL8moe_q4_1IN3c108BFloat16ELb1EEvPKvS3_PT_PKiS7_S7_iiiiiii.has_indirect_call, 0
	.section	.AMDGPU.csdata,"",@progbits
; Kernel info:
; codeLenInByte = 4688
; TotalNumSgprs: 21
; NumVgprs: 125
; ScratchSize: 0
; MemoryBound: 0
; FloatMode: 240
; IeeeMode: 1
; LDSByteSize: 22272 bytes/workgroup (compile time only)
; SGPRBlocks: 0
; VGPRBlocks: 15
; NumSGPRsForWavesPerEU: 21
; NumVGPRsForWavesPerEU: 125
; Occupancy: 8
; WaveLimiterHint : 1
; COMPUTE_PGM_RSRC2:SCRATCH_EN: 0
; COMPUTE_PGM_RSRC2:USER_SGPR: 6
; COMPUTE_PGM_RSRC2:TRAP_HANDLER: 0
; COMPUTE_PGM_RSRC2:TGID_X_EN: 1
; COMPUTE_PGM_RSRC2:TGID_Y_EN: 1
; COMPUTE_PGM_RSRC2:TGID_Z_EN: 0
; COMPUTE_PGM_RSRC2:TIDIG_COMP_CNT: 1
	.section	.text._ZL8moe_q5_0IN3c108BFloat16ELb0EEvPKvS3_PT_PKiS7_S7_iiiiiii,"axG",@progbits,_ZL8moe_q5_0IN3c108BFloat16ELb0EEvPKvS3_PT_PKiS7_S7_iiiiiii,comdat
	.globl	_ZL8moe_q5_0IN3c108BFloat16ELb0EEvPKvS3_PT_PKiS7_S7_iiiiiii ; -- Begin function _ZL8moe_q5_0IN3c108BFloat16ELb0EEvPKvS3_PT_PKiS7_S7_iiiiiii
	.p2align	8
	.type	_ZL8moe_q5_0IN3c108BFloat16ELb0EEvPKvS3_PT_PKiS7_S7_iiiiiii,@function
_ZL8moe_q5_0IN3c108BFloat16ELb0EEvPKvS3_PT_PKiS7_S7_iiiiiii: ; @_ZL8moe_q5_0IN3c108BFloat16ELb0EEvPKvS3_PT_PKiS7_S7_iiiiiii
; %bb.0:
	s_load_dwordx4 s[0:3], s[4:5], 0x18
	s_mov_b32 s8, s7
	s_mov_b32 s9, 0
	s_lshl_b64 s[10:11], s[8:9], 2
	s_waitcnt lgkmcnt(0)
	s_add_u32 s2, s2, s10
	s_addc_u32 s3, s3, s11
	s_load_dword s14, s[2:3], 0x0
	s_waitcnt lgkmcnt(0)
	s_cmpk_gt_u32 s14, 0xff
	s_cbranch_scc1 .LBB221_26
; %bb.1:
	s_load_dwordx2 s[2:3], s[4:5], 0x28
	s_waitcnt lgkmcnt(0)
	s_load_dword s3, s[2:3], 0x0
	s_lshl_b32 s2, s8, 3
	s_waitcnt lgkmcnt(0)
	s_cmp_gt_u32 s2, s3
	s_cbranch_scc1 .LBB221_26
; %bb.2:
	v_add_nc_u32_e32 v8, s2, v1
	v_mov_b32_e32 v9, 0
	s_lshl_b32 s16, s6, 7
	v_lshlrev_b64 v[2:3], 2, v[8:9]
	v_mov_b32_e32 v103, v9
	v_mov_b32_e32 v109, v9
	;; [unrolled: 1-line block ×3, first 2 shown]
	v_add_co_u32 v2, vcc_lo, s0, v2
	v_add_co_ci_u32_e64 v3, null, s1, v3, vcc_lo
	global_load_dword v10, v[2:3], off
	s_clause 0x2
	s_load_dwordx2 s[12:13], s[4:5], 0x30
	s_load_dwordx2 s[2:3], s[4:5], 0x10
	s_load_dwordx4 s[8:11], s[4:5], 0x3c
	s_waitcnt lgkmcnt(0)
	s_cmp_lt_i32 s13, 32
	s_cbranch_scc1 .LBB221_17
; %bb.3:
	s_abs_i32 s15, s11
	v_lshlrev_b32_e32 v5, 3, v0
	v_cvt_f32_u32_e32 v7, s15
	s_ashr_i32 s0, s13, 31
	s_sub_i32 s19, 0, s15
	s_lshr_b32 s0, s0, 27
	v_mad_u32_u24 v14, 0x104, v1, v5
	v_rcp_iflag_f32_e32 v5, v7
	s_add_i32 s0, s13, s0
	s_mul_i32 s12, s14, s12
	s_ashr_i32 s17, s0, 5
	s_waitcnt vmcnt(0)
	v_sub_nc_u32_e32 v6, 0, v10
	v_mul_lo_u32 v9, s17, v1
	s_lshl_b32 s14, s17, 3
	v_lshrrev_b32_e32 v12, 3, v0
	v_and_b32_e32 v2, 7, v0
	v_max_i32_e32 v6, v10, v6
	v_mul_f32_e32 v5, 0x4f7ffffe, v5
	s_ashr_i32 s1, s9, 31
	v_lshl_add_u32 v7, v1, 2, v12
	v_add_nc_u32_e32 v42, s14, v9
	v_lshlrev_b32_e32 v8, 2, v2
	v_cvt_u32_f32_e32 v5, v5
	s_lshr_b32 s1, s1, 27
	v_and_b32_e32 v31, 0x7fc, v7
	v_add_nc_u32_e32 v47, s14, v42
	v_add_nc_u32_e32 v32, 32, v7
	v_mul_lo_u32 v28, s19, v5
	v_mul_lo_u32 v103, s17, v7
	v_add3_u32 v117, v31, v8, 0x8200
	v_add_nc_u32_e32 v51, s14, v47
	v_and_b32_e32 v31, 0xffc, v32
	v_lshlrev_b32_e32 v118, 5, v32
	v_lshlrev_b32_e32 v109, 5, v7
	s_load_dwordx4 s[4:7], s[4:5], 0x0
	v_mul_hi_u32 v30, v5, v28
	v_add_nc_u32_e32 v55, s14, v51
	v_add3_u32 v120, v31, v8, 0x8200
	s_add_i32 s1, s9, s1
	v_lshlrev_b32_e32 v4, 2, v0
	s_ashr_i32 s9, s1, 5
	v_add_nc_u32_e32 v59, s14, v55
	v_add_nc_u32_e32 v34, 0x60, v0
	;; [unrolled: 1-line block ×6, first 2 shown]
	s_andn2_b32 s0, s0, 31
	v_mul_hi_u32 v5, v6, v5
	v_and_b32_e32 v32, 0xffc, v30
	v_lshlrev_b32_e32 v119, 5, v30
	v_and_b32_e32 v33, 0xffc, v7
	v_add_nc_u32_e32 v67, s14, v63
	v_add_nc_u32_e32 v108, s0, v103
	v_add3_u32 v121, v32, v8, 0x8200
	v_lshl_add_u32 v32, v1, 4, 0x9680
	v_mul_lo_u32 v30, v5, s15
	v_add3_u32 v122, v33, v8, 0x8200
	v_add_nc_u32_e32 v8, 1, v5
	v_add_nc_u32_e32 v71, s14, v67
	v_and_b32_e32 v13, 12, v4
	v_and_b32_e32 v40, 28, v4
	;; [unrolled: 1-line block ×3, first 2 shown]
	v_lshlrev_b32_e32 v39, 5, v34
	v_sub_nc_u32_e32 v6, v6, v30
	v_add_nc_u32_e32 v75, s14, v71
	v_lshl_add_u32 v30, v1, 7, 0x9280
	v_add_nc_u32_e32 v111, s0, v108
	v_lshlrev_b32_e32 v123, 5, v7
	v_subrev_nc_u32_e32 v31, s15, v6
	v_cmp_le_u32_e32 vcc_lo, s15, v6
	v_add_nc_u32_e32 v79, s14, v75
	v_and_b32_e32 v7, 31, v0
	v_lshrrev_b32_e32 v3, 2, v0
	v_add3_u32 v38, v39, v38, 0x8200
	v_cndmask_b32_e32 v5, v5, v8, vcc_lo
	v_cndmask_b32_e32 v6, v6, v31, vcc_lo
	v_xor_b32_e32 v8, s11, v10
	v_add_nc_u32_e32 v83, s14, v79
	s_mul_i32 s20, s17, s16
	v_add_nc_u32_e32 v33, 1, v5
	v_cmp_le_u32_e32 vcc_lo, s15, v6
	v_ashrrev_i32_e32 v1, 31, v8
	v_add_nc_u32_e32 v87, s14, v83
	v_add_nc_u32_e32 v8, 64, v0
	;; [unrolled: 1-line block ×3, first 2 shown]
	v_cndmask_b32_e32 v5, v5, v33, vcc_lo
	v_add_nc_u32_e32 v33, v32, v4
	v_add_nc_u32_e32 v91, s14, v87
	v_add_nc_u32_e32 v4, 32, v0
	v_lshl_or_b32 v31, v7, 2, v30
	v_xor_b32_e32 v5, v5, v1
	v_and_b32_e32 v6, 0xfc, v0
	v_add_nc_u32_e32 v95, s14, v91
	v_and_b32_e32 v36, 0x1fc, v4
	v_lshrrev_b32_e32 v39, 3, v4
	v_sub_nc_u32_e32 v1, v5, v1
	v_lshlrev_b32_e32 v5, 5, v4
	v_add_nc_u32_e32 v99, s14, v95
	v_lshlrev_b32_e32 v7, 5, v0
	v_and_b32_e32 v37, 0x1fc, v8
	v_mul_lo_u32 v43, v1, s9
	v_lshlrev_b32_e32 v8, 5, v8
	v_cmp_gt_i32_e64 s0, s8, v1
	s_mul_hi_i32 s15, s20, 22
	s_mul_i32 s14, s20, 22
	v_add3_u32 v35, v7, v6, 0x8200
	v_add3_u32 v37, v8, v37, 0x8200
	;; [unrolled: 1-line block ×3, first 2 shown]
	v_ashrrev_i32_e32 v4, 31, v43
	v_add_co_u32 v1, s1, v43, v0
	v_mad_u64_u32 v[106:107], null, v103, 22, 0
	v_add_co_ci_u32_e64 v41, null, 0, v4, s1
	v_mad_u64_u32 v[3:4], null, v3, 22, s[14:15]
	s_waitcnt lgkmcnt(0)
	v_mad_u64_u32 v[7:8], null, v1, 36, s[6:7]
	v_add_co_u32 v5, s1, s6, v40
	v_add_co_ci_u32_e64 v6, null, s7, 0, s1
	v_mad_u64_u32 v[45:46], null, v9, 22, v[3:4]
	v_mad_i32_i24 v1, v41, 36, v8
	v_add_co_u32 v7, s1, 0x90, v7
	v_mad_u64_u32 v[49:50], null, v42, 22, v[3:4]
	v_add_co_ci_u32_e64 v8, null, 0, v1, s1
	v_add_co_u32 v1, s1, v45, v13
	v_add_co_ci_u32_e64 v9, null, 0, v46, s1
	v_add_nc_u32_e32 v40, v39, v43
	v_add_co_u32 v1, s1, s4, v1
	v_add_co_ci_u32_e64 v9, null, s5, v9, s1
	v_add_nc_u32_e32 v41, v12, v43
	v_add_nc_u32_e32 v42, v0, v43
	v_add_co_u32 v43, s1, v1, 6
	v_add_co_ci_u32_e64 v44, null, 0, v9, s1
	v_add_co_u32 v1, s1, v49, v13
	v_add_co_ci_u32_e64 v9, null, 0, v50, s1
	;; [unrolled: 2-line block ×3, first 2 shown]
	v_add_co_u32 v1, s1, s4, v1
	v_mad_u64_u32 v[53:54], null, v47, 22, v[3:4]
	v_add_co_ci_u32_e64 v9, null, s5, v9, s1
	v_add_co_u32 v47, s1, v1, 6
	v_mad_u64_u32 v[57:58], null, v51, 22, v[3:4]
	v_add_co_ci_u32_e64 v48, null, 0, v9, s1
	v_add_co_u32 v1, s1, s4, v49
	v_add_co_ci_u32_e64 v9, null, s5, v50, s1
	v_add_co_u32 v52, s1, v53, v13
	v_add_co_ci_u32_e64 v56, null, 0, v54, s1
	v_add_co_u32 v49, s1, v1, 2
	v_add_co_ci_u32_e64 v50, null, 0, v9, s1
	v_add_co_u32 v1, s1, s4, v52
	v_add_co_ci_u32_e64 v9, null, s5, v56, s1
	v_mad_u64_u32 v[61:62], null, v55, 22, v[3:4]
	v_add_co_u32 v51, s1, v1, 6
	v_add_co_ci_u32_e64 v52, null, 0, v9, s1
	v_add_co_u32 v1, s1, s4, v53
	v_add_co_ci_u32_e64 v9, null, s5, v54, s1
	v_add_co_u32 v56, s1, v57, v13
	v_add_co_ci_u32_e64 v60, null, 0, v58, s1
	v_add_co_u32 v53, s1, v1, 2
	v_add_co_ci_u32_e64 v54, null, 0, v9, s1
	v_add_co_u32 v1, s1, s4, v56
	v_add_co_ci_u32_e64 v9, null, s5, v60, s1
	v_mad_u64_u32 v[65:66], null, v59, 22, v[3:4]
	v_add_co_u32 v55, s1, v1, 6
	;; [unrolled: 11-line block ×12, first 2 shown]
	v_add_co_ci_u32_e64 v96, null, 0, v9, s1
	v_add_co_u32 v1, s1, s4, v97
	v_add_co_ci_u32_e64 v9, null, s5, v98, s1
	v_add_co_u32 v100, s1, v101, v13
	;; [unrolled: 2-line block ×4, first 2 shown]
	v_add_co_ci_u32_e64 v9, null, s5, v104, s1
	v_mul_hi_u32_u24_e32 v113, 22, v2
	v_add_co_u32 v99, s1, v1, 6
	v_add_co_ci_u32_e64 v100, null, 0, v9, s1
	v_add_co_u32 v1, s1, s4, v101
	v_add_co_ci_u32_e64 v9, null, s5, v102, s1
	;; [unrolled: 2-line block ×5, first 2 shown]
	v_mul_u32_u24_e32 v114, 22, v2
	v_add_co_u32 v104, s1, v1, 6
	v_add_co_ci_u32_e64 v105, null, 0, v9, s1
	v_add_co_u32 v3, s1, s4, v3
	v_mad_u64_u32 v[1:2], null, v108, 22, 0
	v_add_co_ci_u32_e64 v4, null, s5, v4, s1
	v_add_co_u32 v9, s1, s14, v106
	v_add_co_ci_u32_e64 v103, null, s15, v107, s1
	v_add_co_u32 v106, s1, v3, 2
	;; [unrolled: 2-line block ×6, first 2 shown]
	v_add_co_ci_u32_e64 v103, null, v2, v113, s1
	v_mad_u64_u32 v[1:2], null, v111, 22, 0
	v_mad_u64_u32 v[3:4], null, v112, 22, 0
	v_add_co_u32 v111, s1, s4, v9
	v_add_co_ci_u32_e64 v112, null, s5, v103, s1
	v_add_co_u32 v1, s1, s14, v1
	v_add_co_ci_u32_e64 v2, null, s15, v2, s1
	v_add_co_u32 v3, s1, s14, v3
	v_add_co_ci_u32_e64 v4, null, s15, v4, s1
	v_add_co_u32 v1, s1, v1, v114
	v_add_co_ci_u32_e64 v2, null, v2, v113, s1
	v_add_co_u32 v3, s1, v3, v114
	v_add_co_ci_u32_e64 v4, null, v4, v113, s1
	v_add_co_u32 v113, s1, s4, v1
	v_cmp_gt_u32_e32 vcc_lo, 4, v0
	v_add_co_ci_u32_e64 v114, null, s5, v2, s1
	v_add_co_u32 v115, s1, s4, v3
	v_mov_b32_e32 v11, 0
	v_add_nc_u32_e32 v15, 0x820, v14
	v_add_nc_u32_e32 v16, 0x1040, v14
	;; [unrolled: 1-line block ×15, first 2 shown]
	v_mul_u32_u24_e32 v34, 0x104, v0
	v_add_co_ci_u32_e64 v116, null, s5, v4, s1
	v_add_nc_u32_e32 v117, v117, v109
	v_add_nc_u32_e32 v118, v120, v118
	;; [unrolled: 1-line block ×4, first 2 shown]
	v_mov_b32_e32 v109, 0
	v_mov_b32_e32 v103, 0
	;; [unrolled: 1-line block ×3, first 2 shown]
	s_ashr_i32 s18, s12, 31
	s_mov_b32 s4, 0
	s_and_b32 s5, vcc_lo, s0
	s_movk_i32 s14, 0x80
	s_branch .LBB221_6
.LBB221_4:                              ;   in Loop: Header=BB221_6 Depth=1
	s_or_b32 exec_lo, exec_lo, s15
	s_waitcnt lgkmcnt(0)
	s_barrier
	buffer_gl0_inv
	ds_read_b128 v[121:124], v30
	ds_read2_b32 v[129:130], v34 offset0:32 offset1:33
	v_add_nc_u32_e32 v1, 0x2100, v34
	ds_read_b128 v[125:128], v30 offset:16
	ds_read2_b32 v[131:132], v1 offset1:1
	ds_read_b128 v[1:4], v32
	ds_read2_b32 v[133:134], v34 offset0:34 offset1:35
	v_add_nc_u32_e32 v137, 0x2108, v34
	ds_read2_b32 v[135:136], v34 offset0:36 offset1:37
	v_mov_b32_e32 v167, 0
	v_add_nc_u32_e32 v139, 0x4180, v34
	v_mov_b32_e32 v168, 0
	ds_read2_b32 v[137:138], v137 offset1:1
	v_add_nc_u32_e32 v141, 0x2110, v34
	v_add_nc_u32_e32 v143, 0x2118, v34
	ds_read2_b32 v[139:140], v139 offset1:1
	ds_read2_b32 v[141:142], v141 offset1:1
	;; [unrolled: 1-line block ×3, first 2 shown]
	ds_read2_b32 v[145:146], v38 offset0:4 offset1:5
	ds_read2_b32 v[147:148], v38 offset0:6 offset1:7
	;; [unrolled: 1-line block ×4, first 2 shown]
	v_mov_b32_e32 v169, 0
	s_waitcnt lgkmcnt(13)
	v_dot4c_i32_i8 v167, v129, v121
	v_add_nc_u32_e32 v129, 0x4188, v34
	v_mov_b32_e32 v173, 0
	s_waitcnt lgkmcnt(11)
	v_dot4c_i32_i8 v168, v131, v121
	v_add_nc_u32_e32 v131, 0x4198, v34
	v_dot4c_i32_i8 v167, v130, v125
	ds_read2_b32 v[153:154], v129 offset1:1
	v_add_nc_u32_e32 v129, 0x6200, v34
	v_dot4c_i32_i8 v168, v132, v125
	v_add_nc_u32_e32 v130, 0x4190, v34
	s_waitcnt lgkmcnt(10)
	v_dot4c_i32_i8 v167, v133, v122
	v_add_nc_u32_e32 v159, 0x2120, v34
	v_mov_b32_e32 v174, 0
	s_waitcnt lgkmcnt(8)
	v_dot4c_i32_i8 v168, v137, v122
	s_waitcnt lgkmcnt(7)
	v_dot4c_i32_i8 v169, v139, v121
	v_dot4c_i32_i8 v167, v134, v126
	v_add_nc_u32_e32 v139, 0x6208, v34
	v_add_nc_u32_e32 v171, 0x6220, v34
	v_dot4c_i32_i8 v168, v138, v126
	ds_read2_b32 v[137:138], v129 offset1:1
	ds_read2_b32 v[155:156], v130 offset1:1
	ds_read2_b32 v[157:158], v131 offset1:1
	v_dot4c_i32_i8 v167, v135, v123
	v_dot4c_i32_i8 v169, v140, v125
	v_mov_b32_e32 v175, 0
	s_waitcnt lgkmcnt(9)
	v_dot4c_i32_i8 v168, v141, v123
	v_mov_b32_e32 v176, 0
	v_dot4c_i32_i8 v167, v136, v127
	ds_read_b128 v[129:132], v30 offset:32
	ds_read_b128 v[133:136], v30 offset:48
	ds_read2_b32 v[139:140], v139 offset1:1
	s_waitcnt lgkmcnt(6)
	v_dot4c_i32_i8 v169, v153, v122
	v_dot4c_i32_i8 v168, v142, v127
	;; [unrolled: 1-line block ×3, first 2 shown]
	ds_read2_b32 v[141:142], v35 offset0:4 offset1:5
	v_mov_b32_e32 v177, 0
	v_dot4c_i32_i8 v169, v154, v126
	v_dot4c_i32_i8 v168, v143, v124
	v_add_nc_u32_e32 v143, 0x6218, v34
	v_dot4c_i32_i8 v167, v150, v128
	s_waitcnt lgkmcnt(6)
	v_dot4c_i32_i8 v173, v137, v121
	v_add_nc_u32_e32 v121, 0x6210, v34
	s_waitcnt lgkmcnt(5)
	v_dot4c_i32_i8 v169, v155, v123
	ds_read2_b32 v[149:150], v36 offset0:4 offset1:5
	ds_read2_b32 v[153:154], v37 offset0:4 offset1:5
	v_dot4c_i32_i8 v168, v144, v128
	v_dot4c_i32_i8 v173, v138, v125
	ds_read2_b32 v[137:138], v121 offset1:1
	v_dot4c_i32_i8 v169, v156, v127
	ds_read2_b32 v[155:156], v143 offset1:1
	ds_read2_b32 v[159:160], v159 offset1:1
	ds_read2_b32 v[161:162], v34 offset0:58 offset1:59
	ds_read2_b32 v[163:164], v34 offset0:60 offset1:61
	;; [unrolled: 1-line block ×3, first 2 shown]
	s_waitcnt lgkmcnt(9)
	v_dot4c_i32_i8 v173, v139, v122
	v_dot4c_i32_i8 v174, v151, v129
	;; [unrolled: 1-line block ×3, first 2 shown]
	v_cvt_f32_i32_e32 v167, v167
	s_waitcnt lgkmcnt(8)
	v_mul_f32_e32 v141, v1, v141
	v_dot4c_i32_i8 v173, v140, v126
	ds_read2_b32 v[121:122], v34 offset0:42 offset1:43
	ds_read2_b32 v[139:140], v36 offset0:6 offset1:7
	;; [unrolled: 1-line block ×4, first 2 shown]
	v_dot4c_i32_i8 v174, v152, v133
	v_dot4c_i32_i8 v169, v158, v128
	v_cvt_f32_i32_e32 v157, v168
	v_fmac_f32_e32 v11, v141, v167
	s_waitcnt lgkmcnt(11)
	v_mul_f32_e32 v149, v1, v149
	v_add_nc_u32_e32 v141, 0x2138, v34
	s_waitcnt lgkmcnt(9)
	v_dot4c_i32_i8 v173, v137, v123
	v_mul_f32_e32 v123, v1, v153
	v_cvt_f32_i32_e32 v137, v169
	v_fmac_f32_e32 v109, v149, v157
	v_add_nc_u32_e32 v149, 0x41a0, v34
	v_dot4c_i32_i8 v173, v138, v127
	v_add_nc_u32_e32 v127, 0x2130, v34
	v_fmac_f32_e32 v103, v123, v137
	s_waitcnt lgkmcnt(3)
	v_dot4c_i32_i8 v174, v121, v130
	v_add_nc_u32_e32 v121, 0x2128, v34
	v_dot4c_i32_i8 v173, v155, v124
	ds_read2_b32 v[123:124], v34 offset0:46 offset1:47
	ds_read2_b32 v[137:138], v34 offset0:48 offset1:49
	v_add_nc_u32_e32 v153, 0x41b8, v34
	v_dot4c_i32_i8 v174, v122, v134
	ds_read2_b32 v[121:122], v121 offset1:1
	ds_read2_b32 v[151:152], v127 offset1:1
	;; [unrolled: 1-line block ×4, first 2 shown]
	v_mov_b32_e32 v149, 0
	v_add_nc_u32_e32 v141, 0x41b0, v34
	v_dot4c_i32_i8 v173, v156, v128
	s_waitcnt lgkmcnt(6)
	v_dot4c_i32_i8 v174, v125, v131
	v_add_nc_u32_e32 v125, 0x41a8, v34
	v_dot4c_i32_i8 v149, v159, v129
	ds_read2_b32 v[127:128], v125 offset1:1
	ds_read2_b32 v[155:156], v141 offset1:1
	;; [unrolled: 1-line block ×4, first 2 shown]
	v_dot4c_i32_i8 v149, v160, v133
	v_add_nc_u32_e32 v125, 0x6228, v34
	v_dot4c_i32_i8 v174, v126, v135
	v_mov_b32_e32 v153, 0
	ds_read2_b32 v[159:160], v37 offset0:6 offset1:7
	v_mul_f32_e32 v1, v1, v145
	s_waitcnt lgkmcnt(8)
	v_dot4c_i32_i8 v149, v121, v130
	ds_read2_b32 v[125:126], v125 offset1:1
	v_add_nc_u32_e32 v121, 0x6230, v34
	s_waitcnt lgkmcnt(6)
	v_dot4c_i32_i8 v153, v167, v129
	v_cvt_f32_i32_e32 v145, v173
	v_dot4c_i32_i8 v149, v122, v134
	v_mul_f32_e32 v173, v2, v142
	ds_read2_b32 v[141:142], v121 offset1:1
	v_dot4c_i32_i8 v153, v168, v133
	v_dot4c_i32_i8 v174, v123, v132
	;; [unrolled: 1-line block ×3, first 2 shown]
	v_add_nc_u32_e32 v121, 0x6238, v34
	v_add_nc_u32_e32 v122, 0x2140, v34
	s_waitcnt lgkmcnt(3)
	v_dot4c_i32_i8 v175, v171, v129
	v_dot4c_i32_i8 v153, v127, v130
	;; [unrolled: 1-line block ×4, first 2 shown]
	ds_read2_b32 v[151:152], v121 offset1:1
	ds_read2_b32 v[167:168], v122 offset1:1
	v_dot4c_i32_i8 v175, v172, v133
	ds_read_b128 v[121:124], v30 offset:64
	v_dot4c_i32_i8 v149, v157, v132
	v_dot4c_i32_i8 v153, v128, v134
	v_cvt_f32_i32_e32 v129, v174
	s_waitcnt lgkmcnt(4)
	v_dot4c_i32_i8 v175, v125, v130
	v_mul_f32_e32 v130, v2, v150
	v_dot4c_i32_i8 v149, v158, v136
	v_dot4c_i32_i8 v153, v155, v131
	v_fmac_f32_e32 v11, v173, v129
	v_dot4c_i32_i8 v175, v126, v134
	ds_read_b128 v[125:128], v30 offset:80
	v_cvt_f32_i32_e32 v133, v149
	v_dot4c_i32_i8 v153, v156, v135
	v_add_nc_u32_e32 v171, 0x41d8, v34
	s_waitcnt lgkmcnt(4)
	v_dot4c_i32_i8 v175, v141, v131
	v_add_nc_u32_e32 v131, 0x2148, v34
	v_fmac_f32_e32 v109, v130, v133
	ds_read2_b32 v[129:130], v34 offset0:50 offset1:51
	v_dot4c_i32_i8 v153, v169, v132
	v_dot4c_i32_i8 v175, v142, v135
	v_mov_b32_e32 v135, 0
	v_add_nc_u32_e32 v133, 0x2150, v34
	v_add_nc_u32_e32 v141, 0x41c0, v34
	v_dot4c_i32_i8 v153, v170, v136
	s_waitcnt lgkmcnt(4)
	v_dot4c_i32_i8 v175, v151, v132
	s_waitcnt lgkmcnt(2)
	v_dot4c_i32_i8 v135, v137, v121
	v_add_nc_u32_e32 v137, 0x2158, v34
	v_add_nc_u32_e32 v151, 0x41c8, v34
	;; [unrolled: 1-line block ×4, first 2 shown]
	s_waitcnt lgkmcnt(1)
	v_dot4c_i32_i8 v135, v138, v125
	ds_read2_b32 v[131:132], v131 offset1:1
	ds_read2_b32 v[133:134], v133 offset1:1
	;; [unrolled: 1-line block ×4, first 2 shown]
	ds_read2_b32 v[149:150], v34 offset0:52 offset1:53
	v_fmac_f32_e32 v9, v1, v145
	v_mul_f32_e32 v1, v2, v154
	v_cvt_f32_i32_e32 v145, v153
	ds_read2_b32 v[153:154], v34 offset0:54 offset1:55
	ds_read2_b32 v[155:156], v34 offset0:56 offset1:57
	ds_read2_b32 v[157:158], v151 offset1:1
	ds_read2_b32 v[169:170], v169 offset1:1
	;; [unrolled: 1-line block ×4, first 2 shown]
	s_waitcnt lgkmcnt(11)
	v_dot4c_i32_i8 v135, v129, v122
	v_dot4c_i32_i8 v175, v152, v136
	v_fmac_f32_e32 v103, v1, v145
	v_add_nc_u32_e32 v1, 0x6248, v34
	v_mul_f32_e32 v136, v2, v146
	v_dot4c_i32_i8 v176, v167, v121
	v_dot4c_i32_i8 v135, v130, v126
	v_mov_b32_e32 v167, 0
	ds_read2_b32 v[1:2], v1 offset1:1
	v_add_nc_u32_e32 v129, 0x6250, v34
	v_dot4c_i32_i8 v176, v168, v125
	v_add_nc_u32_e32 v151, 0x41f0, v34
	s_waitcnt lgkmcnt(8)
	v_dot4c_i32_i8 v177, v141, v121
	s_waitcnt lgkmcnt(7)
	v_dot4c_i32_i8 v135, v149, v123
	ds_read2_b32 v[129:130], v129 offset1:1
	v_dot4c_i32_i8 v176, v131, v122
	v_add_nc_u32_e32 v131, 0x2160, v34
	v_dot4c_i32_i8 v177, v142, v125
	s_waitcnt lgkmcnt(2)
	v_dot4c_i32_i8 v167, v173, v121
	v_dot4c_i32_i8 v135, v150, v127
	;; [unrolled: 1-line block ×3, first 2 shown]
	v_add_nc_u32_e32 v121, 0x6258, v34
	v_dot4c_i32_i8 v177, v157, v122
	v_dot4c_i32_i8 v167, v174, v125
	;; [unrolled: 1-line block ×4, first 2 shown]
	ds_read2_b32 v[141:142], v121 offset1:1
	ds_read2_b32 v[145:146], v131 offset1:1
	v_dot4c_i32_i8 v177, v158, v126
	s_waitcnt lgkmcnt(3)
	v_dot4c_i32_i8 v167, v1, v122
	v_dot4c_i32_i8 v135, v154, v128
	v_cvt_f32_i32_e32 v1, v175
	v_dot4c_i32_i8 v176, v134, v127
	v_dot4c_i32_i8 v177, v169, v123
	;; [unrolled: 1-line block ×3, first 2 shown]
	v_mul_f32_e32 v2, v3, v143
	v_cvt_f32_i32_e32 v121, v135
	v_dot4c_i32_i8 v176, v137, v124
	v_dot4c_i32_i8 v177, v170, v127
	s_waitcnt lgkmcnt(2)
	v_dot4c_i32_i8 v167, v129, v123
	v_fmac_f32_e32 v9, v136, v1
	v_add_nc_u32_e32 v1, 0x2168, v34
	v_fmac_f32_e32 v11, v2, v121
	v_add_nc_u32_e32 v121, 0x2170, v34
	v_add_nc_u32_e32 v123, 0x2178, v34
	v_dot4c_i32_i8 v167, v130, v127
	v_add_nc_u32_e32 v127, 0x41e0, v34
	v_add_nc_u32_e32 v143, 0x41e8, v34
	v_add_nc_u32_e32 v153, 0x41f8, v34
	v_add_nc_u32_e32 v157, 0x6260, v34
	v_dot4c_i32_i8 v177, v171, v124
	v_dot4c_i32_i8 v176, v138, v128
	ds_read_b128 v[129:132], v30 offset:96
	ds_read_b128 v[133:136], v30 offset:112
	ds_read2_b32 v[1:2], v1 offset1:1
	ds_read2_b32 v[121:122], v121 offset1:1
	;; [unrolled: 1-line block ×8, first 2 shown]
	v_mul_f32_e32 v123, v3, v139
	v_dot4c_i32_i8 v177, v172, v128
	v_cvt_f32_i32_e32 v127, v176
	s_waitcnt lgkmcnt(11)
	v_dot4c_i32_i8 v167, v141, v124
	v_add_nc_u32_e32 v124, 0x6268, v34
	v_mul_f32_e32 v139, v3, v159
	v_cvt_f32_i32_e32 v143, v177
	v_fmac_f32_e32 v109, v123, v127
	v_mov_b32_e32 v141, 0
	ds_read2_b32 v[123:124], v124 offset1:1
	v_dot4c_i32_i8 v167, v142, v128
	v_fmac_f32_e32 v103, v139, v143
	v_mov_b32_e32 v139, 0
	v_mov_b32_e32 v142, 0
	;; [unrolled: 1-line block ×3, first 2 shown]
	v_add_nc_u32_e32 v127, 0x6270, v34
	s_waitcnt lgkmcnt(10)
	v_dot4c_i32_i8 v141, v155, v129
	v_dot4c_i32_i8 v139, v145, v129
	s_waitcnt lgkmcnt(5)
	v_dot4c_i32_i8 v142, v137, v129
	s_waitcnt lgkmcnt(1)
	v_dot4c_i32_i8 v143, v157, v129
	ds_read2_b32 v[127:128], v127 offset1:1
	v_dot4c_i32_i8 v141, v156, v133
	v_dot4c_i32_i8 v139, v146, v133
	;; [unrolled: 1-line block ×3, first 2 shown]
	v_add_nc_u32_e32 v129, 0x6278, v34
	v_dot4c_i32_i8 v143, v158, v133
	v_dot4c_i32_i8 v141, v161, v130
	;; [unrolled: 1-line block ×4, first 2 shown]
	ds_read2_b32 v[137:138], v129 offset1:1
	s_waitcnt lgkmcnt(2)
	v_dot4c_i32_i8 v143, v123, v130
	v_dot4c_i32_i8 v141, v162, v134
	;; [unrolled: 1-line block ×4, first 2 shown]
	v_mul_f32_e32 v1, v3, v147
	v_dot4c_i32_i8 v143, v124, v134
	v_dot4c_i32_i8 v141, v163, v131
	;; [unrolled: 1-line block ×4, first 2 shown]
	v_cvt_f32_i32_e32 v2, v167
	s_waitcnt lgkmcnt(1)
	v_dot4c_i32_i8 v143, v127, v131
	v_dot4c_i32_i8 v141, v164, v135
	;; [unrolled: 1-line block ×4, first 2 shown]
	v_fmac_f32_e32 v9, v1, v2
	v_dot4c_i32_i8 v143, v128, v135
	v_dot4c_i32_i8 v141, v165, v132
	;; [unrolled: 1-line block ×4, first 2 shown]
	v_mul_f32_e32 v1, v4, v144
	s_waitcnt lgkmcnt(0)
	v_dot4c_i32_i8 v143, v137, v132
	v_dot4c_i32_i8 v141, v166, v136
	;; [unrolled: 1-line block ×4, first 2 shown]
	v_mul_f32_e32 v3, v4, v140
	v_dot4c_i32_i8 v143, v138, v136
	v_cvt_f32_i32_e32 v2, v141
	v_cvt_f32_i32_e32 v121, v139
	v_mul_f32_e32 v122, v4, v160
	v_cvt_f32_i32_e32 v123, v142
	v_mul_f32_e32 v4, v4, v148
	v_cvt_f32_i32_e32 v124, v143
	v_fmac_f32_e32 v11, v1, v2
	v_fmac_f32_e32 v109, v3, v121
	;; [unrolled: 1-line block ×4, first 2 shown]
	s_barrier
	buffer_gl0_inv
.LBB221_5:                              ;   in Loop: Header=BB221_6 Depth=1
	v_add_co_u32 v7, s1, 0x120, v7
	v_add_co_ci_u32_e64 v8, null, 0, v8, s1
	v_add_co_u32 v43, s1, 0xb0, v43
	v_add_co_ci_u32_e64 v44, null, 0, v44, s1
	;; [unrolled: 2-line block ×37, first 2 shown]
	s_add_i32 s4, s4, 8
	s_addk_i32 s14, 0x100
	s_cmp_ge_i32 s4, s17
	s_cbranch_scc1 .LBB221_17
.LBB221_6:                              ; =>This Inner Loop Header: Depth=1
	v_add_co_u32 v1, s1, v43, s12
	v_add_co_ci_u32_e64 v2, null, s18, v44, s1
	v_add_co_u32 v3, s1, v45, s12
	v_add_co_ci_u32_e64 v4, null, s18, v46, s1
	;; [unrolled: 2-line block ×3, first 2 shown]
	global_load_dword v128, v[1:2], off
	global_load_dword v130, v[3:4], off offset:2
	global_load_dword v129, v[121:122], off
	v_add_co_u32 v1, s1, v49, s12
	v_add_co_ci_u32_e64 v2, null, s18, v50, s1
	v_add_co_u32 v3, s1, v51, s12
	v_add_co_ci_u32_e64 v4, null, s18, v52, s1
	;; [unrolled: 2-line block ×5, first 2 shown]
	global_load_dword v145, v[1:2], off
	global_load_dword v146, v[3:4], off
	;; [unrolled: 1-line block ×5, first 2 shown]
	v_add_co_u32 v1, s1, v59, s12
	v_add_co_ci_u32_e64 v2, null, s18, v60, s1
	v_add_co_u32 v3, s1, v61, s12
	v_add_co_ci_u32_e64 v4, null, s18, v62, s1
	;; [unrolled: 2-line block ×4, first 2 shown]
	global_load_dword v150, v[3:4], off
	global_load_dword v151, v[1:2], off
	;; [unrolled: 1-line block ×4, first 2 shown]
	v_add_co_u32 v1, s1, v67, s12
	v_add_co_ci_u32_e64 v2, null, s18, v68, s1
	v_add_co_u32 v3, s1, v69, s12
	v_add_co_ci_u32_e64 v4, null, s18, v70, s1
	global_load_dword v125, v[1:2], off
	v_add_co_u32 v121, s1, v71, s12
	global_load_dword v126, v[3:4], off
	v_add_co_ci_u32_e64 v122, null, s18, v72, s1
	v_add_co_u32 v131, s1, v73, s12
	v_add_co_ci_u32_e64 v132, null, s18, v74, s1
	v_add_co_u32 v133, s1, v75, s12
	;; [unrolled: 2-line block ×7, first 2 shown]
	v_add_co_ci_u32_e64 v144, null, s18, v86, s1
	global_load_dword v123, v[121:122], off
	global_load_dword v124, v[131:132], off
	;; [unrolled: 1-line block ×8, first 2 shown]
	s_waitcnt vmcnt(21)
	v_lshrrev_b32_e32 v132, 4, v128
	s_waitcnt vmcnt(20)
	v_ashrrev_i32_e32 v130, v13, v130
	v_and_b32_e32 v131, 0xf0f0f0f, v128
	s_waitcnt vmcnt(19)
	v_and_b32_e32 v134, 0xf0f0f0f, v129
	v_lshrrev_b32_e32 v129, 4, v129
	v_and_b32_e32 v132, 0xf0f0f0f, v132
	v_and_b32_e32 v129, 0xf0f0f0f, v129
	s_waitcnt vmcnt(18)
	v_ashrrev_i32_e32 v133, v13, v145
	s_waitcnt vmcnt(17)
	v_and_b32_e32 v136, 0xf0f0f0f, v146
	s_waitcnt vmcnt(16)
	v_ashrrev_i32_e32 v135, v13, v147
	v_lshrrev_b32_e32 v137, 4, v146
	s_waitcnt vmcnt(14)
	v_ashrrev_i32_e32 v138, v13, v149
	v_and_b32_e32 v139, 0xf0f0f0f, v148
	v_lshrrev_b32_e32 v140, 4, v148
	v_lshlrev_b32_e32 v145, 4, v130
	v_lshlrev_b32_e32 v146, 11, v130
	;; [unrolled: 1-line block ×4, first 2 shown]
	v_lshrrev_b32_e32 v149, 12, v130
	v_lshlrev_b32_e32 v153, 11, v133
	v_lshlrev_b32_e32 v154, 18, v133
	;; [unrolled: 1-line block ×3, first 2 shown]
	v_lshrrev_b32_e32 v156, 12, v133
	v_lshrrev_b32_e32 v157, 5, v133
	v_lshlrev_b32_e32 v158, 2, v133
	s_waitcnt vmcnt(13)
	v_ashrrev_i32_e32 v141, v13, v150
	v_lshrrev_b32_e32 v150, 5, v130
	s_waitcnt vmcnt(12)
	v_and_b32_e32 v142, 0xf0f0f0f, v151
	v_lshrrev_b32_e32 v143, 4, v151
	s_waitcnt vmcnt(11)
	v_ashrrev_i32_e32 v128, v13, v152
	v_lshlrev_b32_e32 v151, 2, v130
	v_lshlrev_b32_e32 v130, 9, v130
	;; [unrolled: 1-line block ×8, first 2 shown]
	v_lshrrev_b32_e32 v163, 12, v135
	v_lshrrev_b32_e32 v164, 5, v135
	v_lshlrev_b32_e32 v165, 2, v135
	v_lshlrev_b32_e32 v135, 9, v135
	;; [unrolled: 1-line block ×6, first 2 shown]
	v_lshrrev_b32_e32 v170, 12, v138
	v_lshrrev_b32_e32 v171, 5, v138
	v_and_b32_e32 v145, 16, v145
	v_and_b32_e32 v146, 0x1000, v146
	;; [unrolled: 1-line block ×24, first 2 shown]
	v_lshlrev_b32_e32 v172, 2, v138
	v_lshlrev_b32_e32 v138, 9, v138
	v_and_b32_e32 v165, 0x100000, v165
	v_and_b32_e32 v135, 0x10000000, v135
	;; [unrolled: 1-line block ×8, first 2 shown]
	v_or3_b32 v145, v145, v131, v146
	v_or3_b32 v131, v131, v147, v148
	v_or3_b32 v146, v149, v132, v150
	v_or3_b32 v130, v132, v151, v130
	v_or3_b32 v132, v152, v134, v153
	v_or3_b32 v134, v134, v154, v155
	v_or3_b32 v147, v156, v129, v157
	v_or3_b32 v129, v129, v158, v133
	v_or3_b32 v133, v159, v136, v160
	v_or3_b32 v136, v136, v161, v162
	v_or3_b32 v148, v163, v137, v164
	v_and_b32_e32 v172, 0x100000, v172
	v_and_b32_e32 v138, 0x10000000, v138
	v_or3_b32 v135, v137, v165, v135
	v_or3_b32 v137, v166, v139, v167
	;; [unrolled: 1-line block ×4, first 2 shown]
	v_lshrrev_b32_e32 v131, 16, v131
	v_and_b32_e32 v151, 0x1f00, v145
	v_lshlrev_b16 v145, 8, v145
	v_and_b32_e32 v152, 0x1f00, v146
	v_lshlrev_b16 v146, 8, v146
	v_lshrrev_b32_e32 v134, 16, v134
	v_and_b32_e32 v154, 0x1f00, v147
	v_lshlrev_b16 v147, 8, v147
	v_lshrrev_b32_e32 v136, 16, v136
	v_and_b32_e32 v156, 0x1f00, v148
	v_lshlrev_b16 v148, 8, v148
	v_or3_b32 v138, v140, v172, v138
	v_lshrrev_b32_e32 v139, 16, v139
	v_and_b32_e32 v158, 0x1f00, v149
	v_lshlrev_b16 v149, 8, v149
	v_lshrrev_b32_e32 v130, 16, v130
	v_add_nc_u16 v151, 0xf000, v151
	v_add_nc_u16 v145, 0xf000, v145
	v_and_b32_e32 v162, 0x1f00, v131
	v_lshlrev_b16 v131, 8, v131
	v_add_nc_u16 v146, 0xf000, v146
	v_and_b32_e32 v153, 0x1f00, v132
	v_lshlrev_b16 v132, 8, v132
	v_lshrrev_b32_e32 v129, 16, v129
	v_and_b32_e32 v164, 0x1f00, v134
	v_lshlrev_b16 v134, 8, v134
	v_add_nc_u16 v147, 0xf000, v147
	v_and_b32_e32 v155, 0x1f00, v133
	v_lshlrev_b16 v133, 8, v133
	v_lshrrev_b32_e32 v135, 16, v135
	;; [unrolled: 6-line block ×3, first 2 shown]
	v_and_b32_e32 v168, 0x1f00, v139
	v_lshlrev_b16 v139, 8, v139
	v_add_nc_u16 v149, 0xf000, v149
	v_and_b32_e32 v163, 0x1f00, v130
	v_lshlrev_b16 v130, 8, v130
	v_perm_b32 v145, v145, v151, 0xc0c0105
	v_add_nc_u16 v151, 0xf000, v162
	v_add_nc_u16 v131, 0xf000, v131
	v_or_b32_sdwa v146, v152, v146 dst_sel:DWORD dst_unused:UNUSED_PAD src0_sel:DWORD src1_sel:BYTE_1
	v_add_nc_u16 v153, 0xf000, v153
	v_add_nc_u16 v132, 0xf000, v132
	v_and_b32_e32 v165, 0x1f00, v129
	v_lshlrev_b16 v129, 8, v129
	v_add_nc_u16 v152, 0xf000, v164
	v_add_nc_u16 v134, 0xf000, v134
	v_or_b32_sdwa v147, v154, v147 dst_sel:DWORD dst_unused:UNUSED_PAD src0_sel:DWORD src1_sel:BYTE_1
	v_lshlrev_b32_e32 v173, 4, v141
	v_lshlrev_b32_e32 v174, 11, v141
	;; [unrolled: 1-line block ×4, first 2 shown]
	v_lshrrev_b32_e32 v177, 12, v141
	v_lshrrev_b32_e32 v178, 5, v141
	v_add_nc_u16 v155, 0xf000, v155
	v_add_nc_u16 v133, 0xf000, v133
	v_and_b32_e32 v167, 0x1f00, v135
	v_lshlrev_b16 v135, 8, v135
	v_add_nc_u16 v154, 0xf000, v166
	v_add_nc_u16 v136, 0xf000, v136
	v_or_b32_sdwa v148, v156, v148 dst_sel:DWORD dst_unused:UNUSED_PAD src0_sel:DWORD src1_sel:BYTE_1
	v_add_nc_u16 v157, 0xf000, v157
	v_add_nc_u16 v137, 0xf000, v137
	v_and_b32_e32 v169, 0x1f00, v138
	v_lshlrev_b16 v138, 8, v138
	v_add_nc_u16 v156, 0xf000, v168
	v_add_nc_u16 v139, 0xf000, v139
	v_or_b32_sdwa v149, v158, v149 dst_sel:DWORD dst_unused:UNUSED_PAD src0_sel:DWORD src1_sel:BYTE_1
	v_add_nc_u16 v162, 0xf000, v163
	v_add_nc_u16 v130, 0xf000, v130
	v_perm_b32 v131, v131, v151, 0xc0c0105
	v_add_nc_u16 v146, 0xf000, v146
	v_perm_b32 v132, v132, v153, 0xc0c0105
	v_add_nc_u16 v153, 0xf000, v165
	v_add_nc_u16 v129, 0xf000, v129
	v_perm_b32 v134, v134, v152, 0xc0c0105
	v_add_nc_u16 v147, 0xf000, v147
	v_and_b32_e32 v143, 0xf0f0f0f, v143
	v_lshlrev_b32_e32 v179, 2, v141
	v_lshlrev_b32_e32 v141, 9, v141
	v_and_b32_e32 v173, 16, v173
	v_and_b32_e32 v174, 0x1000, v174
	;; [unrolled: 1-line block ×6, first 2 shown]
	v_perm_b32 v133, v133, v155, 0xc0c0105
	v_add_nc_u16 v155, 0xf000, v167
	v_add_nc_u16 v135, 0xf000, v135
	v_perm_b32 v136, v136, v154, 0xc0c0105
	v_add_nc_u16 v148, 0xf000, v148
	v_perm_b32 v137, v137, v157, 0xc0c0105
	v_add_nc_u16 v157, 0xf000, v169
	v_add_nc_u16 v138, 0xf000, v138
	v_perm_b32 v139, v139, v156, 0xc0c0105
	v_add_nc_u16 v149, 0xf000, v149
	v_perm_b32 v130, v130, v162, 0xc0c0105
	v_lshl_or_b32 v131, v131, 16, v145
	v_and_b32_e32 v145, 0xffff, v146
	v_perm_b32 v129, v129, v153, 0xc0c0105
	v_lshl_or_b32 v132, v134, 16, v132
	v_and_b32_e32 v134, 0xffff, v147
	v_and_b32_e32 v179, 0x100000, v179
	;; [unrolled: 1-line block ×3, first 2 shown]
	v_or3_b32 v140, v173, v142, v174
	v_or3_b32 v142, v142, v175, v176
	;; [unrolled: 1-line block ×3, first 2 shown]
	v_perm_b32 v135, v135, v155, 0xc0c0105
	v_lshl_or_b32 v133, v136, 16, v133
	v_and_b32_e32 v136, 0xffff, v148
	v_perm_b32 v138, v138, v157, 0xc0c0105
	v_lshl_or_b32 v137, v139, 16, v137
	v_and_b32_e32 v139, 0xffff, v149
	v_lshl_or_b32 v130, v130, 16, v145
	v_lshl_or_b32 v129, v129, 16, v134
	v_lshlrev_b32_e32 v180, 4, v128
	v_lshlrev_b32_e32 v181, 11, v128
	;; [unrolled: 1-line block ×4, first 2 shown]
	v_or3_b32 v141, v143, v179, v141
	v_lshrrev_b32_e32 v142, 16, v142
	v_and_b32_e32 v160, 0x1f00, v150
	v_lshlrev_b16 v150, 8, v150
	v_lshl_or_b32 v134, v135, 16, v136
	v_lshl_or_b32 v135, v138, 16, v139
	s_waitcnt vmcnt(10)
	v_and_b32_e32 v144, 0xf0f0f0f, v127
	v_lshrrev_b32_e32 v127, 4, v127
	v_lshrrev_b32_e32 v184, 12, v128
	ds_write2_b32 v14, v131, v130 offset1:1
	ds_write2_b32 v15, v132, v129 offset1:1
	;; [unrolled: 1-line block ×4, first 2 shown]
	v_lshrrev_b32_e32 v129, 5, v128
	v_lshlrev_b32_e32 v130, 2, v128
	v_lshlrev_b32_e32 v128, 9, v128
	v_and_b32_e32 v180, 16, v180
	v_and_b32_e32 v181, 0x1000, v181
	;; [unrolled: 1-line block ×5, first 2 shown]
	v_lshlrev_b16 v140, 8, v140
	v_lshrrev_b32_e32 v141, 16, v141
	v_and_b32_e32 v170, 0x1f00, v142
	v_lshlrev_b16 v142, 8, v142
	v_add_nc_u16 v150, 0xf000, v150
	v_and_b32_e32 v127, 0xf0f0f0f, v127
	v_and_b32_e32 v131, 16, v184
	;; [unrolled: 1-line block ×5, first 2 shown]
	v_or3_b32 v143, v180, v144, v181
	v_or3_b32 v144, v144, v182, v183
	v_add_nc_u16 v159, 0xf000, v159
	v_add_nc_u16 v140, 0xf000, v140
	v_and_b32_e32 v171, 0x1f00, v141
	v_lshlrev_b16 v141, 8, v141
	v_add_nc_u16 v158, 0xf000, v170
	v_add_nc_u16 v142, 0xf000, v142
	v_or_b32_sdwa v150, v160, v150 dst_sel:DWORD dst_unused:UNUSED_PAD src0_sel:DWORD src1_sel:BYTE_1
	v_or3_b32 v129, v131, v127, v129
	v_or3_b32 v130, v127, v130, v128
	v_add_co_u32 v127, s1, v89, s12
	v_lshrrev_b32_e32 v144, 16, v144
	v_perm_b32 v140, v140, v159, 0xc0c0105
	v_add_nc_u16 v159, 0xf000, v171
	v_add_nc_u16 v141, 0xf000, v141
	v_perm_b32 v142, v142, v158, 0xc0c0105
	v_add_nc_u16 v150, 0xf000, v150
	v_add_co_ci_u32_e64 v128, null, s18, v90, s1
	v_perm_b32 v141, v141, v159, 0xc0c0105
	v_lshl_or_b32 v140, v142, 16, v140
	v_and_b32_e32 v142, 0xffff, v150
	v_and_b32_e32 v133, 0x1f00, v144
	v_lshlrev_b16 v135, 8, v129
	global_load_dword v128, v[127:128], off
	v_and_b32_e32 v134, 0x1f00, v129
	v_add_co_u32 v129, s1, v87, s12
	v_lshl_or_b32 v136, v141, 16, v142
	v_add_nc_u16 v131, 0xf000, v133
	v_lshrrev_b32_e32 v133, 16, v130
	v_add_co_ci_u32_e64 v130, null, s18, v88, s1
	v_add_nc_u16 v135, 0xf000, v135
	v_and_b32_e32 v161, 0x1f00, v143
	v_lshlrev_b16 v143, 8, v143
	ds_write2_b32 v18, v140, v136 offset1:1
	v_lshlrev_b16 v136, 8, v144
	v_and_b32_e32 v137, 0x1f00, v133
	v_lshlrev_b16 v133, 8, v133
	global_load_dword v127, v[129:130], off
	v_or_b32_sdwa v129, v134, v135 dst_sel:DWORD dst_unused:UNUSED_PAD src0_sel:DWORD src1_sel:BYTE_1
	v_add_nc_u16 v161, 0xf000, v161
	v_add_nc_u16 v143, 0xf000, v143
	s_waitcnt vmcnt(10)
	v_ashrrev_i32_e32 v126, v13, v126
	v_add_nc_u16 v130, 0xf000, v136
	v_add_nc_u16 v134, 0xf000, v137
	;; [unrolled: 1-line block ×4, first 2 shown]
	v_perm_b32 v132, v143, v161, 0xc0c0105
	v_lshlrev_b32_e32 v135, 4, v126
	v_lshlrev_b32_e32 v136, 18, v126
	;; [unrolled: 1-line block ×4, first 2 shown]
	v_perm_b32 v130, v130, v131, 0xc0c0105
	v_perm_b32 v131, v133, v134, 0xc0c0105
	v_and_b32_e32 v129, 0xffff, v129
	v_and_b32_e32 v139, 0xf0f0f0f, v125
	;; [unrolled: 1-line block ×6, first 2 shown]
	v_lshrrev_b32_e32 v125, 4, v125
	v_lshl_or_b32 v132, v130, 16, v132
	v_lshl_or_b32 v131, v131, 16, v129
	v_lshrrev_b32_e32 v129, 12, v126
	v_lshrrev_b32_e32 v130, 5, v126
	v_or3_b32 v133, v139, v136, v137
	v_or3_b32 v134, v135, v139, v138
	v_and_b32_e32 v136, 0xf0f0f0f, v125
	v_and_b32_e32 v139, 16, v129
	;; [unrolled: 1-line block ×3, first 2 shown]
	v_add_co_u32 v125, s1, v93, s12
	v_lshlrev_b32_e32 v137, 2, v126
	v_lshlrev_b32_e32 v138, 9, v126
	v_add_co_ci_u32_e64 v126, null, s18, v94, s1
	v_add_co_u32 v129, s1, v91, s12
	v_add_co_ci_u32_e64 v130, null, s18, v92, s1
	v_or3_b32 v139, v139, v136, v140
	v_lshrrev_b32_e32 v133, 16, v133
	v_and_b32_e32 v135, 0x1f00, v134
	v_lshlrev_b16 v134, 8, v134
	v_and_b32_e32 v137, 0x100000, v137
	v_and_b32_e32 v138, 0x10000000, v138
	global_load_dword v126, v[125:126], off
	global_load_dword v125, v[129:130], off
	v_lshlrev_b16 v130, 8, v139
	v_add_nc_u16 v129, 0xf000, v134
	v_and_b32_e32 v134, 0x1f00, v133
	v_lshlrev_b16 v133, 8, v133
	v_or3_b32 v136, v136, v137, v138
	v_and_b32_e32 v137, 0x1f00, v139
	v_add_nc_u16 v130, 0xf000, v130
	v_add_nc_u16 v135, 0xf000, v135
	;; [unrolled: 1-line block ×4, first 2 shown]
	v_lshrrev_b32_e32 v136, 16, v136
	v_or_b32_sdwa v130, v137, v130 dst_sel:DWORD dst_unused:UNUSED_PAD src0_sel:DWORD src1_sel:BYTE_1
	v_perm_b32 v129, v129, v135, 0xc0c0105
	s_waitcnt vmcnt(10)
	v_ashrrev_i32_e32 v124, v13, v124
	v_perm_b32 v133, v133, v134, 0xc0c0105
	v_and_b32_e32 v138, 0x1f00, v136
	v_lshlrev_b16 v136, 8, v136
	v_add_nc_u16 v130, 0xf000, v130
	ds_write2_b32 v19, v132, v131 offset1:1
	v_lshl_or_b32 v131, v133, 16, v129
	v_lshlrev_b32_e32 v129, 18, v124
	v_add_nc_u16 v134, 0xf000, v138
	v_add_nc_u16 v135, 0xf000, v136
	v_and_b32_e32 v133, 0xffff, v130
	v_lshlrev_b32_e32 v130, 25, v124
	v_and_b32_e32 v137, 0x100000, v129
	v_add_co_u32 v129, s1, v97, s12
	v_perm_b32 v132, v135, v134, 0xc0c0105
	v_and_b32_e32 v134, 0xf0f0f0f, v123
	v_lshlrev_b32_e32 v135, 4, v124
	v_lshlrev_b32_e32 v136, 11, v124
	v_and_b32_e32 v138, 0x10000000, v130
	v_add_co_ci_u32_e64 v130, null, s18, v98, s1
	v_lshl_or_b32 v132, v132, 16, v133
	v_and_b32_e32 v133, 16, v135
	v_and_b32_e32 v135, 0x1000, v136
	v_or3_b32 v136, v134, v137, v138
	global_load_dword v137, v[129:130], off
	v_add_co_u32 v129, s1, v95, s12
	v_add_co_ci_u32_e64 v130, null, s18, v96, s1
	ds_write2_b32 v20, v131, v132 offset1:1
	v_or3_b32 v131, v133, v134, v135
	v_lshrrev_b32_e32 v132, 16, v136
	global_load_dword v129, v[129:130], off
	v_lshrrev_b32_e32 v123, 4, v123
	v_lshlrev_b32_e32 v130, 2, v124
	v_lshlrev_b32_e32 v133, 9, v124
	v_and_b32_e32 v135, 0x1f00, v132
	v_lshlrev_b16 v132, 8, v132
	v_and_b32_e32 v123, 0xf0f0f0f, v123
	v_and_b32_e32 v130, 0x100000, v130
	;; [unrolled: 1-line block ×4, first 2 shown]
	v_lshlrev_b16 v131, 8, v131
	v_add_nc_u16 v132, 0xf000, v132
	s_waitcnt vmcnt(11)
	v_and_b32_e32 v136, 0xf0f0f0f, v121
	v_or3_b32 v130, v123, v130, v133
	v_add_nc_u16 v133, 0xf000, v135
	v_lshrrev_b32_e32 v135, 12, v124
	v_lshrrev_b32_e32 v124, 5, v124
	v_add_nc_u16 v134, 0xf000, v134
	v_add_nc_u16 v131, 0xf000, v131
	v_lshrrev_b32_e32 v130, 16, v130
	v_perm_b32 v132, v132, v133, 0xc0c0105
	v_and_b32_e32 v133, 16, v135
	v_and_b32_e32 v124, 0x1000, v124
	v_perm_b32 v131, v131, v134, 0xc0c0105
	s_waitcnt vmcnt(10)
	v_ashrrev_i32_e32 v135, v13, v122
	v_and_b32_e32 v134, 0x1f00, v130
	v_lshrrev_b32_e32 v121, 4, v121
	v_or3_b32 v122, v133, v123, v124
	v_lshl_or_b32 v131, v132, 16, v131
	v_lshlrev_b32_e32 v123, 4, v135
	v_lshlrev_b32_e32 v132, 11, v135
	v_add_nc_u16 v124, 0xf000, v134
	v_and_b32_e32 v133, 0x1f00, v122
	v_lshlrev_b16 v134, 8, v122
	v_add_co_u32 v122, s1, v101, s12
	v_and_b32_e32 v138, 16, v123
	v_and_b32_e32 v132, 0x1000, v132
	v_lshlrev_b32_e32 v139, 18, v135
	v_lshlrev_b32_e32 v140, 25, v135
	v_add_co_ci_u32_e64 v123, null, s18, v102, s1
	v_or3_b32 v132, v138, v136, v132
	v_and_b32_e32 v138, 0x100000, v139
	v_and_b32_e32 v139, 0x10000000, v140
	global_load_dword v140, v[122:123], off
	v_add_nc_u16 v134, 0xf000, v134
	v_add_co_u32 v122, s1, v99, s12
	v_add_co_ci_u32_e64 v123, null, s18, v100, s1
	v_or_b32_sdwa v133, v133, v134 dst_sel:DWORD dst_unused:UNUSED_PAD src0_sel:DWORD src1_sel:BYTE_1
	v_or3_b32 v134, v136, v138, v139
	v_lshrrev_b32_e32 v138, 12, v135
	global_load_dword v136, v[122:123], off
	v_and_b32_e32 v121, 0xf0f0f0f, v121
	v_add_nc_u16 v122, 0xf000, v133
	v_lshrrev_b32_e32 v123, 16, v134
	v_lshlrev_b32_e32 v133, 2, v135
	v_lshlrev_b32_e32 v134, 9, v135
	v_lshrrev_b32_e32 v135, 5, v135
	v_and_b32_e32 v138, 16, v138
	v_and_b32_e32 v139, 0x1f00, v123
	v_and_b32_e32 v133, 0x100000, v133
	v_and_b32_e32 v134, 0x10000000, v134
	v_and_b32_e32 v135, 0x1000, v135
	v_lshlrev_b16 v123, 8, v123
	v_lshlrev_b16 v130, 8, v130
	s_waitcnt vmcnt(10)
	v_ashrrev_i32_e32 v4, v13, v4
	v_or3_b32 v133, v121, v133, v134
	v_or3_b32 v121, v138, v121, v135
	v_add_nc_u16 v134, 0xf000, v139
	v_add_nc_u16 v123, 0xf000, v123
	v_and_b32_e32 v135, 0xffff, v122
	v_add_nc_u16 v130, 0xf000, v130
	v_lshlrev_b16 v122, 8, v121
	v_lshrrev_b32_e32 v133, 16, v133
	v_perm_b32 v123, v123, v134, 0xc0c0105
	v_and_b32_e32 v134, 0x1f00, v121
	v_add_co_u32 v121, s1, v106, s12
	v_add_nc_u16 v138, 0xf000, v122
	v_add_co_ci_u32_e64 v122, null, s18, v107, s1
	v_perm_b32 v124, v130, v124, 0xc0c0105
	v_and_b32_e32 v130, 0x1f00, v132
	v_or_b32_sdwa v134, v134, v138 dst_sel:DWORD dst_unused:UNUSED_PAD src0_sel:DWORD src1_sel:BYTE_1
	global_load_dword v138, v[121:122], off
	v_add_co_u32 v121, s1, v104, s12
	v_lshlrev_b16 v132, 8, v132
	v_add_co_ci_u32_e64 v122, null, s18, v105, s1
	v_add_nc_u16 v130, 0xf000, v130
	v_lshlrev_b32_e32 v139, 4, v4
	v_add_nc_u16 v132, 0xf000, v132
	global_load_dword v143, v[121:122], off
	v_lshlrev_b32_e32 v141, 11, v4
	v_add_nc_u16 v134, 0xf000, v134
	v_lshlrev_b32_e32 v142, 18, v4
	v_perm_b32 v130, v132, v130, 0xc0c0105
	v_and_b32_e32 v132, 0x1f00, v133
	v_lshlrev_b16 v133, 8, v133
	v_lshlrev_b32_e32 v121, 25, v4
	v_and_b32_e32 v122, 0xf0f0f0f, v3
	v_and_b32_e32 v139, 16, v139
	v_add_nc_u16 v132, 0xf000, v132
	v_add_nc_u16 v133, 0xf000, v133
	v_and_b32_e32 v141, 0x1000, v141
	v_and_b32_e32 v142, 0x100000, v142
	;; [unrolled: 1-line block ×3, first 2 shown]
	v_lshl_or_b32 v124, v124, 16, v135
	v_perm_b32 v132, v133, v132, 0xc0c0105
	v_and_b32_e32 v133, 0xffff, v134
	v_or3_b32 v134, v139, v122, v141
	v_or3_b32 v121, v122, v142, v121
	v_lshl_or_b32 v122, v123, 16, v130
	v_lshrrev_b32_e32 v3, 4, v3
	v_lshl_or_b32 v123, v132, 16, v133
	v_lshlrev_b16 v132, 8, v134
	ds_write2_b32 v21, v131, v124 offset1:1
	ds_write2_b32 v22, v122, v123 offset1:1
	v_lshrrev_b32_e32 v123, 12, v4
	v_add_nc_u16 v131, 0xf000, v132
	v_lshrrev_b32_e32 v124, 5, v4
	v_lshlrev_b32_e32 v132, 2, v4
	v_lshlrev_b32_e32 v4, 9, v4
	v_lshrrev_b32_e32 v121, 16, v121
	v_and_b32_e32 v133, 0xf0f0f0f, v3
	v_add_co_u32 v3, s1, v108, s12
	v_and_b32_e32 v130, 0x1f00, v134
	v_and_b32_e32 v123, 16, v123
	;; [unrolled: 1-line block ×5, first 2 shown]
	v_add_co_ci_u32_e64 v4, null, s18, v110, s1
	v_and_b32_e32 v122, 0x1f00, v121
	v_lshlrev_b16 v121, 8, v121
	v_or3_b32 v141, v123, v133, v124
	v_or3_b32 v132, v133, v132, v134
	global_load_ushort v133, v[3:4], off
	v_add_co_u32 v3, s1, v111, s12
	v_add_nc_u16 v139, 0xf000, v121
	v_add_co_ci_u32_e64 v4, null, s18, v112, s1
	v_add_co_u32 v121, s1, v113, s12
	v_add_nc_u16 v135, 0xf000, v122
	v_add_co_ci_u32_e64 v122, null, s18, v114, s1
	v_add_co_u32 v123, s1, v115, s12
	v_add_co_ci_u32_e64 v124, null, s18, v116, s1
	global_load_ushort v3, v[3:4], off
	global_load_ushort v4, v[121:122], off
	;; [unrolled: 1-line block ×3, first 2 shown]
	v_add_nc_u16 v130, 0xf000, v130
	s_waitcnt vmcnt(14)
	v_ashrrev_i32_e32 v2, v13, v2
	v_lshlrev_b16 v123, 8, v141
	v_perm_b32 v124, v139, v135, 0xc0c0105
	v_lshrrev_b32_e32 v132, 16, v132
	v_perm_b32 v122, v131, v130, 0xc0c0105
	v_lshlrev_b32_e32 v131, 4, v2
	v_lshlrev_b32_e32 v135, 11, v2
	v_and_b32_e32 v134, 0x1f00, v141
	v_add_nc_u16 v123, 0xf000, v123
	v_and_b32_e32 v139, 0xf0f0f0f, v1
	v_and_b32_e32 v131, 16, v131
	v_lshlrev_b32_e32 v141, 18, v2
	v_lshlrev_b32_e32 v142, 25, v2
	v_and_b32_e32 v135, 0x1000, v135
	v_and_b32_e32 v130, 0x1f00, v132
	v_lshlrev_b16 v132, 8, v132
	v_or_b32_sdwa v123, v134, v123 dst_sel:DWORD dst_unused:UNUSED_PAD src0_sel:DWORD src1_sel:BYTE_1
	v_and_b32_e32 v134, 0x100000, v141
	v_and_b32_e32 v141, 0x10000000, v142
	v_or3_b32 v131, v131, v139, v135
	v_add_nc_u16 v130, 0xf000, v130
	v_add_nc_u16 v132, 0xf000, v132
	v_lshl_or_b32 v122, v124, 16, v122
	v_or3_b32 v134, v139, v134, v141
	v_and_b32_e32 v135, 0x1f00, v131
	v_lshrrev_b32_e32 v1, 4, v1
	v_perm_b32 v124, v132, v130, 0xc0c0105
	v_lshlrev_b32_e32 v139, 2, v2
	v_lshrrev_b32_e32 v130, 16, v134
	v_add_nc_u16 v132, 0xf000, v135
	v_lshrrev_b32_e32 v134, 12, v2
	v_lshrrev_b32_e32 v135, 5, v2
	v_lshlrev_b32_e32 v2, 9, v2
	v_add_nc_u16 v123, 0xf000, v123
	v_and_b32_e32 v1, 0xf0f0f0f, v1
	v_and_b32_e32 v134, 16, v134
	;; [unrolled: 1-line block ×6, first 2 shown]
	v_lshlrev_b16 v131, 8, v131
	v_and_b32_e32 v141, 0x1f00, v130
	v_lshlrev_b16 v130, 8, v130
	v_or3_b32 v134, v134, v1, v135
	v_or3_b32 v1, v1, v139, v2
	v_add_nc_u16 v131, 0xf000, v131
	v_add_nc_u16 v2, 0xf000, v141
	;; [unrolled: 1-line block ×3, first 2 shown]
	v_lshl_or_b32 v123, v124, 16, v123
	v_lshlrev_b16 v124, 8, v134
	v_lshrrev_b32_e32 v1, 16, v1
	v_perm_b32 v131, v131, v132, 0xc0c0105
	v_perm_b32 v2, v130, v2, 0xc0c0105
	v_and_b32_e32 v130, 0x1f00, v134
	v_add_nc_u16 v124, 0xf000, v124
	v_and_b32_e32 v132, 0x1f00, v1
	s_waitcnt vmcnt(13)
	v_ashrrev_i32_e32 v128, v13, v128
	v_lshlrev_b16 v1, 8, v1
	v_lshl_or_b32 v2, v2, 16, v131
	v_or_b32_sdwa v124, v130, v124 dst_sel:DWORD dst_unused:UNUSED_PAD src0_sel:DWORD src1_sel:BYTE_1
	v_add_nc_u16 v130, 0xf000, v132
	v_lshlrev_b32_e32 v131, 4, v128
	v_lshlrev_b32_e32 v132, 11, v128
	v_add_nc_u16 v1, 0xf000, v1
	s_waitcnt vmcnt(12)
	v_and_b32_e32 v134, 0xf0f0f0f, v127
	v_lshlrev_b32_e32 v135, 25, v128
	v_and_b32_e32 v131, 16, v131
	v_and_b32_e32 v132, 0x1000, v132
	v_perm_b32 v1, v1, v130, 0xc0c0105
	v_lshlrev_b32_e32 v130, 18, v128
	v_lshrrev_b32_e32 v127, 4, v127
	v_lshlrev_b32_e32 v139, 9, v128
	v_or3_b32 v131, v131, v134, v132
	v_and_b32_e32 v132, 0x10000000, v135
	v_lshlrev_b32_e32 v135, 2, v128
	v_and_b32_e32 v130, 0x100000, v130
	v_lshrrev_b32_e32 v141, 12, v128
	v_lshrrev_b32_e32 v128, 5, v128
	v_and_b32_e32 v127, 0xf0f0f0f, v127
	v_and_b32_e32 v135, 0x100000, v135
	;; [unrolled: 1-line block ×3, first 2 shown]
	v_or3_b32 v130, v134, v130, v132
	v_and_b32_e32 v132, 16, v141
	v_and_b32_e32 v128, 0x1000, v128
	;; [unrolled: 1-line block ×3, first 2 shown]
	v_or3_b32 v135, v127, v135, v139
	v_lshrrev_b32_e32 v130, 16, v130
	v_lshlrev_b16 v131, 8, v131
	v_or3_b32 v127, v132, v127, v128
	v_add_nc_u16 v128, 0xf000, v134
	v_lshrrev_b32_e32 v132, 16, v135
	v_and_b32_e32 v134, 0x1f00, v130
	v_lshlrev_b16 v130, 8, v130
	v_lshlrev_b16 v135, 8, v127
	v_and_b32_e32 v127, 0x1f00, v127
	v_and_b32_e32 v139, 0x1f00, v132
	v_lshlrev_b16 v132, 8, v132
	v_add_nc_u16 v131, 0xf000, v131
	v_add_nc_u16 v135, 0xf000, v135
	;; [unrolled: 1-line block ×6, first 2 shown]
	v_or_b32_sdwa v127, v127, v135 dst_sel:DWORD dst_unused:UNUSED_PAD src0_sel:DWORD src1_sel:BYTE_1
	v_add_nc_u16 v124, 0xf000, v124
	v_perm_b32 v128, v131, v128, 0xc0c0105
	v_perm_b32 v130, v130, v134, 0xc0c0105
	;; [unrolled: 1-line block ×3, first 2 shown]
	v_add_nc_u16 v127, 0xf000, v127
	s_waitcnt vmcnt(11)
	v_ashrrev_i32_e32 v126, v13, v126
	v_and_b32_e32 v124, 0xffff, v124
	s_waitcnt vmcnt(10)
	v_and_b32_e32 v135, 0xf0f0f0f, v125
	v_lshl_or_b32 v128, v130, 16, v128
	v_and_b32_e32 v127, 0xffff, v127
	v_lshlrev_b32_e32 v132, 4, v126
	v_lshlrev_b32_e32 v134, 11, v126
	;; [unrolled: 1-line block ×4, first 2 shown]
	v_lshl_or_b32 v1, v1, 16, v124
	v_and_b32_e32 v132, 16, v132
	v_and_b32_e32 v134, 0x1000, v134
	;; [unrolled: 1-line block ×4, first 2 shown]
	v_lshl_or_b32 v127, v131, 16, v127
	ds_write2_b32 v23, v122, v123 offset1:1
	v_or3_b32 v124, v132, v135, v134
	ds_write2_b32 v24, v2, v1 offset1:1
	ds_write2_b32 v25, v128, v127 offset1:1
	v_or3_b32 v130, v135, v139, v141
	v_lshrrev_b32_e32 v2, 4, v125
	v_and_b32_e32 v122, 0x1f00, v124
	v_lshlrev_b16 v123, 8, v124
	v_lshlrev_b32_e32 v124, 2, v126
	v_lshlrev_b32_e32 v125, 9, v126
	v_lshrrev_b32_e32 v127, 12, v126
	v_lshrrev_b32_e32 v126, 5, v126
	;; [unrolled: 1-line block ×3, first 2 shown]
	v_and_b32_e32 v2, 0xf0f0f0f, v2
	v_and_b32_e32 v124, 0x100000, v124
	v_and_b32_e32 v125, 0x10000000, v125
	v_and_b32_e32 v127, 16, v127
	v_and_b32_e32 v126, 0x1000, v126
	v_add_nc_u16 v122, 0xf000, v122
	v_and_b32_e32 v128, 0x1f00, v1
	v_or3_b32 v124, v2, v124, v125
	v_add_nc_u16 v123, 0xf000, v123
	v_or3_b32 v2, v127, v2, v126
	v_lshlrev_b16 v1, 8, v1
	v_add_nc_u16 v125, 0xf000, v128
	v_lshrrev_b32_e32 v124, 16, v124
	s_waitcnt vmcnt(9)
	v_ashrrev_i32_e32 v126, v13, v137
	v_perm_b32 v122, v123, v122, 0xc0c0105
	v_lshlrev_b16 v123, 8, v2
	v_add_nc_u16 v1, 0xf000, v1
	v_and_b32_e32 v2, 0x1f00, v2
	v_lshlrev_b32_e32 v127, 4, v126
	v_lshlrev_b32_e32 v128, 11, v126
	v_add_nc_u16 v123, 0xf000, v123
	s_waitcnt vmcnt(8)
	v_and_b32_e32 v130, 0xf0f0f0f, v129
	v_lshlrev_b32_e32 v131, 18, v126
	v_and_b32_e32 v127, 16, v127
	v_lshlrev_b32_e32 v132, 25, v126
	v_and_b32_e32 v128, 0x1000, v128
	v_perm_b32 v1, v1, v125, 0xc0c0105
	v_and_b32_e32 v125, 0x1f00, v124
	v_lshlrev_b16 v124, 8, v124
	v_or_b32_sdwa v2, v2, v123 dst_sel:DWORD dst_unused:UNUSED_PAD src0_sel:DWORD src1_sel:BYTE_1
	v_and_b32_e32 v123, 0x100000, v131
	v_and_b32_e32 v131, 0x10000000, v132
	v_or3_b32 v127, v127, v130, v128
	v_add_nc_u16 v125, 0xf000, v125
	v_add_nc_u16 v124, 0xf000, v124
	v_lshl_or_b32 v1, v1, 16, v122
	v_or3_b32 v123, v130, v123, v131
	v_and_b32_e32 v128, 0x1f00, v127
	v_lshlrev_b32_e32 v130, 2, v126
	v_perm_b32 v122, v124, v125, 0xc0c0105
	v_lshlrev_b16 v125, 8, v127
	v_lshrrev_b32_e32 v123, 16, v123
	v_add_nc_u16 v124, 0xf000, v128
	v_lshrrev_b32_e32 v127, 4, v129
	v_lshrrev_b32_e32 v128, 12, v126
	;; [unrolled: 1-line block ×3, first 2 shown]
	v_lshlrev_b32_e32 v126, 9, v126
	v_add_nc_u16 v2, 0xf000, v2
	v_and_b32_e32 v127, 0xf0f0f0f, v127
	v_and_b32_e32 v128, 16, v128
	;; [unrolled: 1-line block ×6, first 2 shown]
	v_lshlrev_b16 v123, 8, v123
	v_and_b32_e32 v2, 0xffff, v2
	v_add_nc_u16 v125, 0xf000, v125
	v_or3_b32 v128, v128, v127, v129
	v_or3_b32 v126, v127, v130, v126
	v_add_nc_u16 v127, 0xf000, v131
	v_add_nc_u16 v123, 0xf000, v123
	v_lshl_or_b32 v2, v122, 16, v2
	v_lshlrev_b16 v122, 8, v128
	v_lshrrev_b32_e32 v126, 16, v126
	v_perm_b32 v124, v125, v124, 0xc0c0105
	v_perm_b32 v123, v123, v127, 0xc0c0105
	v_and_b32_e32 v125, 0x1f00, v128
	v_add_nc_u16 v122, 0xf000, v122
	v_and_b32_e32 v127, 0x1f00, v126
	s_waitcnt vmcnt(7)
	v_ashrrev_i32_e32 v128, v13, v140
	v_lshl_or_b32 v123, v123, 16, v124
	v_lshlrev_b16 v124, 8, v126
	v_or_b32_sdwa v122, v125, v122 dst_sel:DWORD dst_unused:UNUSED_PAD src0_sel:DWORD src1_sel:BYTE_1
	v_add_nc_u16 v125, 0xf000, v127
	v_lshlrev_b32_e32 v126, 4, v128
	v_lshlrev_b32_e32 v127, 11, v128
	v_add_nc_u16 v124, 0xf000, v124
	s_waitcnt vmcnt(6)
	v_and_b32_e32 v129, 0xf0f0f0f, v136
	v_lshlrev_b32_e32 v130, 25, v128
	v_and_b32_e32 v126, 16, v126
	v_and_b32_e32 v127, 0x1000, v127
	v_perm_b32 v124, v124, v125, 0xc0c0105
	v_lshlrev_b32_e32 v125, 18, v128
	v_and_b32_e32 v130, 0x10000000, v130
	v_lshlrev_b32_e32 v131, 2, v128
	v_or3_b32 v126, v126, v129, v127
	v_lshrrev_b32_e32 v127, 4, v136
	v_and_b32_e32 v125, 0x100000, v125
	v_lshlrev_b32_e32 v132, 9, v128
	v_lshrrev_b32_e32 v134, 12, v128
	v_lshrrev_b32_e32 v128, 5, v128
	v_and_b32_e32 v127, 0xf0f0f0f, v127
	v_and_b32_e32 v131, 0x100000, v131
	;; [unrolled: 1-line block ×3, first 2 shown]
	v_or3_b32 v125, v129, v125, v130
	v_and_b32_e32 v129, 16, v134
	v_and_b32_e32 v128, 0x1000, v128
	v_and_b32_e32 v130, 0x1f00, v126
	v_or3_b32 v131, v127, v131, v132
	v_lshrrev_b32_e32 v125, 16, v125
	v_lshlrev_b16 v126, 8, v126
	v_or3_b32 v127, v129, v127, v128
	v_add_nc_u16 v128, 0xf000, v130
	v_lshrrev_b32_e32 v129, 16, v131
	v_and_b32_e32 v130, 0x1f00, v125
	v_lshlrev_b16 v125, 8, v125
	v_lshlrev_b16 v131, 8, v127
	v_and_b32_e32 v127, 0x1f00, v127
	v_and_b32_e32 v132, 0x1f00, v129
	v_lshlrev_b16 v129, 8, v129
	v_add_nc_u16 v126, 0xf000, v126
	v_add_nc_u16 v131, 0xf000, v131
	;; [unrolled: 1-line block ×6, first 2 shown]
	v_or_b32_sdwa v127, v127, v131 dst_sel:DWORD dst_unused:UNUSED_PAD src0_sel:DWORD src1_sel:BYTE_1
	s_waitcnt vmcnt(5)
	v_ashrrev_i32_e32 v131, v13, v138
	v_perm_b32 v126, v126, v128, 0xc0c0105
	v_perm_b32 v125, v125, v130, 0xc0c0105
	v_perm_b32 v128, v129, v132, 0xc0c0105
	s_waitcnt vmcnt(4)
	v_lshrrev_b32_e32 v136, 4, v143
	v_lshlrev_b32_e32 v129, 4, v131
	v_lshlrev_b32_e32 v130, 11, v131
	;; [unrolled: 1-line block ×4, first 2 shown]
	v_lshrrev_b32_e32 v137, 12, v131
	v_lshrrev_b32_e32 v138, 5, v131
	v_and_b32_e32 v132, 0xf0f0f0f, v143
	v_and_b32_e32 v129, 16, v129
	;; [unrolled: 1-line block ×6, first 2 shown]
	v_lshlrev_b32_e32 v139, 2, v131
	v_lshlrev_b32_e32 v131, 9, v131
	v_and_b32_e32 v137, 16, v137
	v_and_b32_e32 v138, 0x1000, v138
	v_or3_b32 v129, v129, v132, v130
	v_and_b32_e32 v130, 0x100000, v139
	v_and_b32_e32 v131, 0x10000000, v131
	v_or3_b32 v132, v132, v134, v135
	v_or3_b32 v134, v137, v136, v138
	v_and_b32_e32 v135, 0x1f00, v129
	v_lshlrev_b16 v129, 8, v129
	v_or3_b32 v130, v136, v130, v131
	v_lshrrev_b32_e32 v131, 16, v132
	v_lshlrev_b16 v132, 8, v134
	v_and_b32_e32 v134, 0x1f00, v134
	v_add_nc_u16 v122, 0xf000, v122
	v_lshrrev_b32_e32 v130, 16, v130
	v_and_b32_e32 v136, 0x1f00, v131
	v_add_nc_u16 v132, 0xf000, v132
	v_lshlrev_b16 v131, 8, v131
	v_add_nc_u16 v127, 0xf000, v127
	v_and_b32_e32 v137, 0x1f00, v130
	v_lshlrev_b16 v130, 8, v130
	v_or_b32_sdwa v132, v134, v132 dst_sel:DWORD dst_unused:UNUSED_PAD src0_sel:DWORD src1_sel:BYTE_1
	v_add_nc_u16 v135, 0xf000, v135
	v_add_nc_u16 v129, 0xf000, v129
	;; [unrolled: 1-line block ×7, first 2 shown]
	v_and_b32_e32 v122, 0xffff, v122
	v_and_b32_e32 v127, 0xffff, v127
	v_perm_b32 v129, v129, v135, 0xc0c0105
	v_perm_b32 v131, v131, v134, 0xc0c0105
	;; [unrolled: 1-line block ×3, first 2 shown]
	v_and_b32_e32 v132, 0xffff, v132
	v_lshl_or_b32 v122, v124, 16, v122
	ds_write2_b32 v26, v1, v2 offset1:1
	s_waitcnt vmcnt(3)
	v_cvt_f32_f16_e32 v1, v133
	v_lshl_or_b32 v124, v125, 16, v126
	v_lshl_or_b32 v125, v128, 16, v127
	;; [unrolled: 1-line block ×4, first 2 shown]
	ds_write2_b32 v27, v123, v122 offset1:1
	ds_write2_b32 v28, v124, v125 offset1:1
	ds_write2_b32 v29, v126, v127 offset1:1
	s_waitcnt vmcnt(2)
	v_cvt_f32_f16_e32 v2, v3
	ds_write_b32 v117, v1
	s_waitcnt vmcnt(1)
	v_cvt_f32_f16_e32 v1, v4
	s_waitcnt vmcnt(0)
	v_cvt_f32_f16_e32 v3, v121
	s_add_i32 s1, s14, 0xffffff80
	ds_write_b32 v118, v2
	s_cmp_lt_i32 s1, s13
	ds_write_b32 v119, v1
	ds_write_b32 v120, v3
	s_cbranch_scc0 .LBB221_5
; %bb.7:                                ;   in Loop: Header=BB221_6 Depth=1
	v_add_nc_u32_e32 v1, s4, v12
	v_cmp_gt_i32_e64 s1, s9, v1
	s_and_b32 s15, s0, s1
	s_and_saveexec_b32 s1, s15
	s_cbranch_execz .LBB221_9
; %bb.8:                                ;   in Loop: Header=BB221_6 Depth=1
	v_add_nc_u32_e32 v1, s4, v41
	v_mad_i64_i32 v[1:2], null, v1, 36, v[5:6]
	global_load_dword v1, v[1:2], off offset:4
	s_waitcnt vmcnt(0)
	ds_write_b32 v31, v1
.LBB221_9:                              ;   in Loop: Header=BB221_6 Depth=1
	s_or_b32 exec_lo, exec_lo, s1
	v_add_nc_u32_e32 v121, s4, v0
	v_cmp_gt_i32_e64 s1, s9, v121
	s_and_b32 s15, s5, s1
	s_and_saveexec_b32 s1, s15
	s_cbranch_execz .LBB221_11
; %bb.10:                               ;   in Loop: Header=BB221_6 Depth=1
	v_add_nc_u32_e32 v1, s4, v42
	v_mad_i64_i32 v[1:2], null, v1, 36, s[6:7]
	global_load_dword v1, v[1:2], off
	s_waitcnt vmcnt(0)
	v_cvt_f32_f16_e32 v1, v1
	ds_write_b32 v33, v1
.LBB221_11:                             ;   in Loop: Header=BB221_6 Depth=1
	s_or_b32 exec_lo, exec_lo, s1
	s_waitcnt lgkmcnt(0)
	s_barrier
	buffer_gl0_inv
	ds_read_b128 v[122:125], v30
	ds_read2_b32 v[130:131], v34 offset1:1
	v_add_nc_u32_e32 v1, 0x2080, v34
	ds_read_b128 v[126:129], v30 offset:16
	ds_read2_b32 v[132:133], v1 offset1:1
	ds_read_b128 v[1:4], v32
	ds_read2_b32 v[134:135], v34 offset0:2 offset1:3
	v_add_nc_u32_e32 v138, 0x2088, v34
	ds_read2_b32 v[136:137], v34 offset0:4 offset1:5
	v_mov_b32_e32 v168, 0
	v_add_nc_u32_e32 v140, 0x4100, v34
	v_mov_b32_e32 v169, 0
	ds_read2_b32 v[138:139], v138 offset1:1
	v_add_nc_u32_e32 v142, 0x2090, v34
	v_add_nc_u32_e32 v144, 0x2098, v34
	ds_read2_b32 v[140:141], v140 offset1:1
	ds_read2_b32 v[142:143], v142 offset1:1
	;; [unrolled: 1-line block ×4, first 2 shown]
	ds_read2_b32 v[148:149], v38 offset0:2 offset1:3
	ds_read2_b32 v[150:151], v34 offset0:6 offset1:7
	;; [unrolled: 1-line block ×3, first 2 shown]
	v_mov_b32_e32 v170, 0
	s_waitcnt lgkmcnt(13)
	v_dot4c_i32_i8 v168, v130, v122
	v_add_nc_u32_e32 v130, 0x4108, v34
	v_mov_b32_e32 v174, 0
	s_waitcnt lgkmcnt(11)
	v_dot4c_i32_i8 v169, v132, v122
	v_add_nc_u32_e32 v132, 0x4118, v34
	v_dot4c_i32_i8 v168, v131, v126
	ds_read2_b32 v[154:155], v130 offset1:1
	v_add_nc_u32_e32 v130, 0x6180, v34
	v_dot4c_i32_i8 v169, v133, v126
	v_add_nc_u32_e32 v131, 0x4110, v34
	s_waitcnt lgkmcnt(10)
	v_dot4c_i32_i8 v168, v134, v123
	v_add_nc_u32_e32 v160, 0x20a0, v34
	v_mov_b32_e32 v175, 0
	s_waitcnt lgkmcnt(8)
	v_dot4c_i32_i8 v169, v138, v123
	s_waitcnt lgkmcnt(7)
	v_dot4c_i32_i8 v170, v140, v122
	v_dot4c_i32_i8 v168, v135, v127
	v_add_nc_u32_e32 v140, 0x6188, v34
	v_add_nc_u32_e32 v172, 0x61a0, v34
	v_dot4c_i32_i8 v169, v139, v127
	ds_read2_b32 v[138:139], v130 offset1:1
	ds_read2_b32 v[156:157], v131 offset1:1
	ds_read2_b32 v[158:159], v132 offset1:1
	v_dot4c_i32_i8 v168, v136, v124
	v_dot4c_i32_i8 v170, v141, v126
	v_mov_b32_e32 v176, 0
	s_waitcnt lgkmcnt(9)
	v_dot4c_i32_i8 v169, v142, v124
	v_mov_b32_e32 v177, 0
	v_dot4c_i32_i8 v168, v137, v128
	ds_read_b128 v[130:133], v30 offset:32
	ds_read_b128 v[134:137], v30 offset:48
	ds_read2_b32 v[140:141], v140 offset1:1
	s_waitcnt lgkmcnt(6)
	v_dot4c_i32_i8 v170, v154, v123
	v_dot4c_i32_i8 v169, v143, v128
	;; [unrolled: 1-line block ×3, first 2 shown]
	ds_read2_b32 v[142:143], v35 offset1:1
	v_mov_b32_e32 v178, 0
	v_dot4c_i32_i8 v170, v155, v127
	v_dot4c_i32_i8 v169, v144, v125
	v_add_nc_u32_e32 v144, 0x6198, v34
	v_dot4c_i32_i8 v168, v151, v129
	s_waitcnt lgkmcnt(6)
	v_dot4c_i32_i8 v174, v138, v122
	v_add_nc_u32_e32 v122, 0x6190, v34
	s_waitcnt lgkmcnt(5)
	v_dot4c_i32_i8 v170, v156, v124
	ds_read2_b32 v[150:151], v36 offset1:1
	ds_read2_b32 v[154:155], v37 offset1:1
	v_dot4c_i32_i8 v169, v145, v129
	v_dot4c_i32_i8 v174, v139, v126
	ds_read2_b32 v[138:139], v122 offset1:1
	v_dot4c_i32_i8 v170, v157, v128
	ds_read2_b32 v[156:157], v144 offset1:1
	ds_read2_b32 v[160:161], v160 offset1:1
	ds_read2_b32 v[162:163], v34 offset0:26 offset1:27
	ds_read2_b32 v[164:165], v34 offset0:28 offset1:29
	;; [unrolled: 1-line block ×3, first 2 shown]
	s_waitcnt lgkmcnt(9)
	v_dot4c_i32_i8 v174, v140, v123
	v_dot4c_i32_i8 v175, v152, v130
	;; [unrolled: 1-line block ×3, first 2 shown]
	v_cvt_f32_i32_e32 v168, v168
	s_waitcnt lgkmcnt(8)
	v_mul_f32_e32 v142, v1, v142
	v_dot4c_i32_i8 v174, v141, v127
	ds_read2_b32 v[122:123], v34 offset0:10 offset1:11
	ds_read2_b32 v[140:141], v36 offset0:2 offset1:3
	;; [unrolled: 1-line block ×4, first 2 shown]
	v_dot4c_i32_i8 v175, v153, v134
	v_dot4c_i32_i8 v170, v159, v129
	v_cvt_f32_i32_e32 v158, v169
	v_fmac_f32_e32 v11, v142, v168
	s_waitcnt lgkmcnt(11)
	v_mul_f32_e32 v150, v1, v150
	v_add_nc_u32_e32 v142, 0x20b8, v34
	s_cmp_ge_i32 s14, s13
	s_waitcnt lgkmcnt(9)
	v_dot4c_i32_i8 v174, v138, v124
	v_mul_f32_e32 v124, v1, v154
	v_cvt_f32_i32_e32 v138, v170
	v_fmac_f32_e32 v109, v150, v158
	v_add_nc_u32_e32 v150, 0x4120, v34
	v_dot4c_i32_i8 v174, v139, v128
	v_add_nc_u32_e32 v128, 0x20b0, v34
	v_fmac_f32_e32 v103, v124, v138
	s_waitcnt lgkmcnt(3)
	v_dot4c_i32_i8 v175, v122, v131
	v_add_nc_u32_e32 v122, 0x20a8, v34
	v_dot4c_i32_i8 v174, v156, v125
	ds_read2_b32 v[124:125], v34 offset0:14 offset1:15
	ds_read2_b32 v[138:139], v34 offset0:16 offset1:17
	v_add_nc_u32_e32 v154, 0x4138, v34
	v_dot4c_i32_i8 v175, v123, v135
	ds_read2_b32 v[122:123], v122 offset1:1
	ds_read2_b32 v[152:153], v128 offset1:1
	;; [unrolled: 1-line block ×4, first 2 shown]
	v_mov_b32_e32 v150, 0
	v_add_nc_u32_e32 v142, 0x4130, v34
	v_dot4c_i32_i8 v174, v157, v129
	s_waitcnt lgkmcnt(6)
	v_dot4c_i32_i8 v175, v126, v132
	v_add_nc_u32_e32 v126, 0x4128, v34
	v_dot4c_i32_i8 v150, v160, v130
	ds_read2_b32 v[128:129], v126 offset1:1
	ds_read2_b32 v[156:157], v142 offset1:1
	;; [unrolled: 1-line block ×4, first 2 shown]
	v_dot4c_i32_i8 v150, v161, v134
	v_add_nc_u32_e32 v126, 0x61a8, v34
	v_dot4c_i32_i8 v175, v127, v136
	v_mov_b32_e32 v154, 0
	ds_read2_b32 v[160:161], v37 offset0:2 offset1:3
	v_mul_f32_e32 v1, v1, v146
	s_waitcnt lgkmcnt(8)
	v_dot4c_i32_i8 v150, v122, v131
	ds_read2_b32 v[126:127], v126 offset1:1
	v_add_nc_u32_e32 v122, 0x61b0, v34
	s_waitcnt lgkmcnt(6)
	v_dot4c_i32_i8 v154, v168, v130
	v_cvt_f32_i32_e32 v146, v174
	v_dot4c_i32_i8 v150, v123, v135
	v_mul_f32_e32 v174, v2, v143
	ds_read2_b32 v[142:143], v122 offset1:1
	v_dot4c_i32_i8 v154, v169, v134
	v_dot4c_i32_i8 v175, v124, v133
	;; [unrolled: 1-line block ×3, first 2 shown]
	v_add_nc_u32_e32 v122, 0x61b8, v34
	v_add_nc_u32_e32 v123, 0x20c0, v34
	s_waitcnt lgkmcnt(3)
	v_dot4c_i32_i8 v176, v172, v130
	v_dot4c_i32_i8 v154, v128, v131
	;; [unrolled: 1-line block ×4, first 2 shown]
	ds_read2_b32 v[152:153], v122 offset1:1
	ds_read2_b32 v[168:169], v123 offset1:1
	v_dot4c_i32_i8 v176, v173, v134
	ds_read_b128 v[122:125], v30 offset:64
	v_dot4c_i32_i8 v150, v158, v133
	v_dot4c_i32_i8 v154, v129, v135
	v_cvt_f32_i32_e32 v130, v175
	s_waitcnt lgkmcnt(4)
	v_dot4c_i32_i8 v176, v126, v131
	v_mul_f32_e32 v131, v2, v151
	v_dot4c_i32_i8 v150, v159, v137
	v_dot4c_i32_i8 v154, v156, v132
	v_fmac_f32_e32 v11, v174, v130
	v_dot4c_i32_i8 v176, v127, v135
	ds_read_b128 v[126:129], v30 offset:80
	v_cvt_f32_i32_e32 v134, v150
	v_dot4c_i32_i8 v154, v157, v136
	v_add_nc_u32_e32 v172, 0x4158, v34
	s_waitcnt lgkmcnt(4)
	v_dot4c_i32_i8 v176, v142, v132
	v_add_nc_u32_e32 v132, 0x20c8, v34
	v_fmac_f32_e32 v109, v131, v134
	ds_read2_b32 v[130:131], v34 offset0:18 offset1:19
	v_dot4c_i32_i8 v154, v170, v133
	v_dot4c_i32_i8 v176, v143, v136
	v_mov_b32_e32 v136, 0
	v_add_nc_u32_e32 v134, 0x20d0, v34
	v_add_nc_u32_e32 v142, 0x4140, v34
	v_dot4c_i32_i8 v154, v171, v137
	s_waitcnt lgkmcnt(4)
	v_dot4c_i32_i8 v176, v152, v133
	s_waitcnt lgkmcnt(2)
	v_dot4c_i32_i8 v136, v138, v122
	v_add_nc_u32_e32 v138, 0x20d8, v34
	v_add_nc_u32_e32 v152, 0x4148, v34
	;; [unrolled: 1-line block ×4, first 2 shown]
	s_waitcnt lgkmcnt(1)
	v_dot4c_i32_i8 v136, v139, v126
	ds_read2_b32 v[132:133], v132 offset1:1
	ds_read2_b32 v[134:135], v134 offset1:1
	;; [unrolled: 1-line block ×4, first 2 shown]
	ds_read2_b32 v[150:151], v34 offset0:20 offset1:21
	v_fmac_f32_e32 v9, v1, v146
	v_mul_f32_e32 v1, v2, v155
	v_cvt_f32_i32_e32 v146, v154
	ds_read2_b32 v[154:155], v34 offset0:22 offset1:23
	ds_read2_b32 v[156:157], v34 offset0:24 offset1:25
	ds_read2_b32 v[158:159], v152 offset1:1
	ds_read2_b32 v[170:171], v170 offset1:1
	;; [unrolled: 1-line block ×4, first 2 shown]
	s_waitcnt lgkmcnt(11)
	v_dot4c_i32_i8 v136, v130, v123
	v_dot4c_i32_i8 v176, v153, v137
	v_fmac_f32_e32 v103, v1, v146
	v_add_nc_u32_e32 v1, 0x61c8, v34
	v_mul_f32_e32 v137, v2, v147
	v_dot4c_i32_i8 v177, v168, v122
	v_dot4c_i32_i8 v136, v131, v127
	v_mov_b32_e32 v168, 0
	ds_read2_b32 v[1:2], v1 offset1:1
	v_add_nc_u32_e32 v130, 0x61d0, v34
	v_dot4c_i32_i8 v177, v169, v126
	v_add_nc_u32_e32 v152, 0x4170, v34
	s_waitcnt lgkmcnt(8)
	v_dot4c_i32_i8 v178, v142, v122
	s_waitcnt lgkmcnt(7)
	v_dot4c_i32_i8 v136, v150, v124
	ds_read2_b32 v[130:131], v130 offset1:1
	v_dot4c_i32_i8 v177, v132, v123
	v_add_nc_u32_e32 v132, 0x20e0, v34
	v_dot4c_i32_i8 v178, v143, v126
	s_waitcnt lgkmcnt(2)
	v_dot4c_i32_i8 v168, v174, v122
	v_dot4c_i32_i8 v136, v151, v128
	;; [unrolled: 1-line block ×3, first 2 shown]
	v_add_nc_u32_e32 v122, 0x61d8, v34
	v_dot4c_i32_i8 v178, v158, v123
	v_dot4c_i32_i8 v168, v175, v126
	;; [unrolled: 1-line block ×4, first 2 shown]
	ds_read2_b32 v[142:143], v122 offset1:1
	ds_read2_b32 v[146:147], v132 offset1:1
	v_dot4c_i32_i8 v178, v159, v127
	s_waitcnt lgkmcnt(3)
	v_dot4c_i32_i8 v168, v1, v123
	v_dot4c_i32_i8 v136, v155, v129
	v_cvt_f32_i32_e32 v1, v176
	v_dot4c_i32_i8 v177, v135, v128
	v_dot4c_i32_i8 v178, v170, v124
	;; [unrolled: 1-line block ×3, first 2 shown]
	v_mul_f32_e32 v2, v3, v144
	v_cvt_f32_i32_e32 v122, v136
	v_dot4c_i32_i8 v177, v138, v125
	v_dot4c_i32_i8 v178, v171, v128
	s_waitcnt lgkmcnt(2)
	v_dot4c_i32_i8 v168, v130, v124
	v_fmac_f32_e32 v9, v137, v1
	v_add_nc_u32_e32 v1, 0x20e8, v34
	v_fmac_f32_e32 v11, v2, v122
	v_add_nc_u32_e32 v122, 0x20f0, v34
	v_add_nc_u32_e32 v124, 0x20f8, v34
	v_dot4c_i32_i8 v168, v131, v128
	v_add_nc_u32_e32 v128, 0x4160, v34
	v_add_nc_u32_e32 v144, 0x4168, v34
	v_add_nc_u32_e32 v154, 0x4178, v34
	v_add_nc_u32_e32 v158, 0x61e0, v34
	v_dot4c_i32_i8 v178, v172, v125
	v_dot4c_i32_i8 v177, v139, v129
	ds_read_b128 v[130:133], v30 offset:96
	ds_read_b128 v[134:137], v30 offset:112
	ds_read2_b32 v[1:2], v1 offset1:1
	ds_read2_b32 v[122:123], v122 offset1:1
	;; [unrolled: 1-line block ×8, first 2 shown]
	v_mul_f32_e32 v124, v3, v140
	v_dot4c_i32_i8 v178, v173, v129
	v_cvt_f32_i32_e32 v128, v177
	s_waitcnt lgkmcnt(11)
	v_dot4c_i32_i8 v168, v142, v125
	v_add_nc_u32_e32 v125, 0x61e8, v34
	v_mul_f32_e32 v140, v3, v160
	v_cvt_f32_i32_e32 v144, v178
	v_fmac_f32_e32 v109, v124, v128
	v_mov_b32_e32 v142, 0
	ds_read2_b32 v[124:125], v125 offset1:1
	v_dot4c_i32_i8 v168, v143, v129
	v_fmac_f32_e32 v103, v140, v144
	v_mov_b32_e32 v140, 0
	v_mov_b32_e32 v143, 0
	;; [unrolled: 1-line block ×3, first 2 shown]
	v_add_nc_u32_e32 v128, 0x61f0, v34
	s_waitcnt lgkmcnt(10)
	v_dot4c_i32_i8 v142, v156, v130
	v_dot4c_i32_i8 v140, v146, v130
	s_waitcnt lgkmcnt(5)
	v_dot4c_i32_i8 v143, v138, v130
	s_waitcnt lgkmcnt(1)
	v_dot4c_i32_i8 v144, v158, v130
	ds_read2_b32 v[128:129], v128 offset1:1
	v_dot4c_i32_i8 v142, v157, v134
	v_dot4c_i32_i8 v140, v147, v134
	;; [unrolled: 1-line block ×3, first 2 shown]
	v_add_nc_u32_e32 v130, 0x61f8, v34
	v_dot4c_i32_i8 v144, v159, v134
	v_dot4c_i32_i8 v142, v162, v131
	;; [unrolled: 1-line block ×4, first 2 shown]
	ds_read2_b32 v[138:139], v130 offset1:1
	s_waitcnt lgkmcnt(2)
	v_dot4c_i32_i8 v144, v124, v131
	v_dot4c_i32_i8 v142, v163, v135
	;; [unrolled: 1-line block ×4, first 2 shown]
	v_mul_f32_e32 v1, v3, v148
	v_dot4c_i32_i8 v144, v125, v135
	v_dot4c_i32_i8 v142, v164, v132
	;; [unrolled: 1-line block ×4, first 2 shown]
	v_cvt_f32_i32_e32 v2, v168
	s_waitcnt lgkmcnt(1)
	v_dot4c_i32_i8 v144, v128, v132
	v_dot4c_i32_i8 v142, v165, v136
	;; [unrolled: 1-line block ×4, first 2 shown]
	v_fmac_f32_e32 v9, v1, v2
	v_dot4c_i32_i8 v144, v129, v136
	v_dot4c_i32_i8 v142, v166, v133
	;; [unrolled: 1-line block ×4, first 2 shown]
	v_mul_f32_e32 v1, v4, v145
	s_waitcnt lgkmcnt(0)
	v_dot4c_i32_i8 v144, v138, v133
	v_dot4c_i32_i8 v142, v167, v137
	;; [unrolled: 1-line block ×4, first 2 shown]
	v_mul_f32_e32 v3, v4, v141
	v_dot4c_i32_i8 v144, v139, v137
	v_cvt_f32_i32_e32 v2, v142
	v_cvt_f32_i32_e32 v122, v140
	v_mul_f32_e32 v123, v4, v161
	v_cvt_f32_i32_e32 v124, v143
	v_mul_f32_e32 v4, v4, v149
	v_cvt_f32_i32_e32 v125, v144
	v_fmac_f32_e32 v11, v1, v2
	v_fmac_f32_e32 v109, v3, v122
	v_fmac_f32_e32 v103, v123, v124
	v_fmac_f32_e32 v9, v4, v125
	s_barrier
	buffer_gl0_inv
	s_cbranch_scc1 .LBB221_5
; %bb.12:                               ;   in Loop: Header=BB221_6 Depth=1
	v_add_nc_u32_e32 v1, s4, v39
	v_cmp_gt_i32_e64 s1, s9, v1
	s_and_b32 s15, s0, s1
	s_and_saveexec_b32 s1, s15
	s_cbranch_execz .LBB221_14
; %bb.13:                               ;   in Loop: Header=BB221_6 Depth=1
	v_add_nc_u32_e32 v1, s4, v40
	v_mad_i64_i32 v[1:2], null, v1, 36, v[5:6]
	global_load_dword v1, v[1:2], off offset:4
	s_waitcnt vmcnt(0)
	ds_write_b32 v31, v1
.LBB221_14:                             ;   in Loop: Header=BB221_6 Depth=1
	s_or_b32 exec_lo, exec_lo, s1
	s_and_saveexec_b32 s15, vcc_lo
	s_cbranch_execz .LBB221_4
; %bb.15:                               ;   in Loop: Header=BB221_6 Depth=1
	v_add_nc_u32_e32 v1, 4, v121
	v_cmp_gt_i32_e64 s1, s9, v1
	s_and_b32 s1, s0, s1
	s_and_b32 exec_lo, exec_lo, s1
	s_cbranch_execz .LBB221_4
; %bb.16:                               ;   in Loop: Header=BB221_6 Depth=1
	global_load_dword v1, v[7:8], off
	s_waitcnt vmcnt(0)
	v_cvt_f32_f16_e32 v1, v1
	ds_write_b32 v33, v1
	s_branch .LBB221_4
.LBB221_17:
	s_mul_i32 s0, s11, s8
	s_waitcnt vmcnt(0)
	v_cmp_gt_i32_e32 vcc_lo, s0, v10
	s_and_saveexec_b32 s0, vcc_lo
	s_cbranch_execz .LBB221_26
; %bb.18:
	v_add_nc_u32_e32 v1, s16, v0
	v_mul_lo_u32 v0, v10, s10
	s_mov_b32 s0, exec_lo
	v_cmpx_gt_u32_e64 s10, v1
	s_cbranch_execz .LBB221_20
; %bb.19:
	v_add_nc_u32_e32 v2, v0, v1
	v_mov_b32_e32 v3, 0
	v_bfe_u32 v4, v11, 16, 1
	v_cmp_o_f32_e32 vcc_lo, v11, v11
	v_mov_b32_e32 v5, 0x7fc0
	v_lshlrev_b64 v[2:3], 1, v[2:3]
	v_add3_u32 v4, v11, v4, 0x7fff
	v_cndmask_b32_sdwa v4, v5, v4, vcc_lo dst_sel:DWORD dst_unused:UNUSED_PAD src0_sel:DWORD src1_sel:WORD_1
	v_add_co_u32 v2, vcc_lo, s2, v2
	v_add_co_ci_u32_e64 v3, null, s3, v3, vcc_lo
	global_store_short v[2:3], v4, off
.LBB221_20:
	s_or_b32 exec_lo, exec_lo, s0
	v_add_nc_u32_e32 v2, 32, v1
	s_mov_b32 s0, exec_lo
	v_cmpx_gt_u32_e64 s10, v2
	s_cbranch_execz .LBB221_22
; %bb.21:
	v_add_nc_u32_e32 v2, v0, v2
	v_mov_b32_e32 v3, 0
	v_bfe_u32 v4, v109, 16, 1
	v_cmp_o_f32_e32 vcc_lo, v109, v109
	v_mov_b32_e32 v5, 0x7fc0
	v_lshlrev_b64 v[2:3], 1, v[2:3]
	v_add3_u32 v4, v109, v4, 0x7fff
	v_cndmask_b32_sdwa v4, v5, v4, vcc_lo dst_sel:DWORD dst_unused:UNUSED_PAD src0_sel:DWORD src1_sel:WORD_1
	v_add_co_u32 v2, vcc_lo, s2, v2
	v_add_co_ci_u32_e64 v3, null, s3, v3, vcc_lo
	global_store_short v[2:3], v4, off
.LBB221_22:
	s_or_b32 exec_lo, exec_lo, s0
	v_add_nc_u32_e32 v2, 64, v1
	;; [unrolled: 18-line block ×3, first 2 shown]
	v_cmp_gt_u32_e32 vcc_lo, s10, v1
	s_and_b32 exec_lo, exec_lo, vcc_lo
	s_cbranch_execz .LBB221_26
; %bb.25:
	v_add_nc_u32_e32 v0, v0, v1
	v_mov_b32_e32 v1, 0
	v_bfe_u32 v2, v9, 16, 1
	v_cmp_o_f32_e32 vcc_lo, v9, v9
	v_mov_b32_e32 v3, 0x7fc0
	v_lshlrev_b64 v[0:1], 1, v[0:1]
	v_add3_u32 v2, v9, v2, 0x7fff
	v_cndmask_b32_sdwa v2, v3, v2, vcc_lo dst_sel:DWORD dst_unused:UNUSED_PAD src0_sel:DWORD src1_sel:WORD_1
	v_add_co_u32 v0, vcc_lo, s2, v0
	v_add_co_ci_u32_e64 v1, null, s3, v1, vcc_lo
	global_store_short v[0:1], v2, off
.LBB221_26:
	s_endpgm
	.section	.rodata,"a",@progbits
	.p2align	6, 0x0
	.amdhsa_kernel _ZL8moe_q5_0IN3c108BFloat16ELb0EEvPKvS3_PT_PKiS7_S7_iiiiiii
		.amdhsa_group_segment_fixed_size 38656
		.amdhsa_private_segment_fixed_size 0
		.amdhsa_kernarg_size 76
		.amdhsa_user_sgpr_count 6
		.amdhsa_user_sgpr_private_segment_buffer 1
		.amdhsa_user_sgpr_dispatch_ptr 0
		.amdhsa_user_sgpr_queue_ptr 0
		.amdhsa_user_sgpr_kernarg_segment_ptr 1
		.amdhsa_user_sgpr_dispatch_id 0
		.amdhsa_user_sgpr_flat_scratch_init 0
		.amdhsa_user_sgpr_private_segment_size 0
		.amdhsa_wavefront_size32 1
		.amdhsa_uses_dynamic_stack 0
		.amdhsa_system_sgpr_private_segment_wavefront_offset 0
		.amdhsa_system_sgpr_workgroup_id_x 1
		.amdhsa_system_sgpr_workgroup_id_y 1
		.amdhsa_system_sgpr_workgroup_id_z 0
		.amdhsa_system_sgpr_workgroup_info 0
		.amdhsa_system_vgpr_workitem_id 1
		.amdhsa_next_free_vgpr 185
		.amdhsa_next_free_sgpr 21
		.amdhsa_reserve_vcc 1
		.amdhsa_reserve_flat_scratch 0
		.amdhsa_float_round_mode_32 0
		.amdhsa_float_round_mode_16_64 0
		.amdhsa_float_denorm_mode_32 3
		.amdhsa_float_denorm_mode_16_64 3
		.amdhsa_dx10_clamp 1
		.amdhsa_ieee_mode 1
		.amdhsa_fp16_overflow 0
		.amdhsa_workgroup_processor_mode 1
		.amdhsa_memory_ordered 1
		.amdhsa_forward_progress 1
		.amdhsa_shared_vgpr_count 0
		.amdhsa_exception_fp_ieee_invalid_op 0
		.amdhsa_exception_fp_denorm_src 0
		.amdhsa_exception_fp_ieee_div_zero 0
		.amdhsa_exception_fp_ieee_overflow 0
		.amdhsa_exception_fp_ieee_underflow 0
		.amdhsa_exception_fp_ieee_inexact 0
		.amdhsa_exception_int_div_zero 0
	.end_amdhsa_kernel
	.section	.text._ZL8moe_q5_0IN3c108BFloat16ELb0EEvPKvS3_PT_PKiS7_S7_iiiiiii,"axG",@progbits,_ZL8moe_q5_0IN3c108BFloat16ELb0EEvPKvS3_PT_PKiS7_S7_iiiiiii,comdat
.Lfunc_end221:
	.size	_ZL8moe_q5_0IN3c108BFloat16ELb0EEvPKvS3_PT_PKiS7_S7_iiiiiii, .Lfunc_end221-_ZL8moe_q5_0IN3c108BFloat16ELb0EEvPKvS3_PT_PKiS7_S7_iiiiiii
                                        ; -- End function
	.set _ZL8moe_q5_0IN3c108BFloat16ELb0EEvPKvS3_PT_PKiS7_S7_iiiiiii.num_vgpr, 185
	.set _ZL8moe_q5_0IN3c108BFloat16ELb0EEvPKvS3_PT_PKiS7_S7_iiiiiii.num_agpr, 0
	.set _ZL8moe_q5_0IN3c108BFloat16ELb0EEvPKvS3_PT_PKiS7_S7_iiiiiii.numbered_sgpr, 21
	.set _ZL8moe_q5_0IN3c108BFloat16ELb0EEvPKvS3_PT_PKiS7_S7_iiiiiii.num_named_barrier, 0
	.set _ZL8moe_q5_0IN3c108BFloat16ELb0EEvPKvS3_PT_PKiS7_S7_iiiiiii.private_seg_size, 0
	.set _ZL8moe_q5_0IN3c108BFloat16ELb0EEvPKvS3_PT_PKiS7_S7_iiiiiii.uses_vcc, 1
	.set _ZL8moe_q5_0IN3c108BFloat16ELb0EEvPKvS3_PT_PKiS7_S7_iiiiiii.uses_flat_scratch, 0
	.set _ZL8moe_q5_0IN3c108BFloat16ELb0EEvPKvS3_PT_PKiS7_S7_iiiiiii.has_dyn_sized_stack, 0
	.set _ZL8moe_q5_0IN3c108BFloat16ELb0EEvPKvS3_PT_PKiS7_S7_iiiiiii.has_recursion, 0
	.set _ZL8moe_q5_0IN3c108BFloat16ELb0EEvPKvS3_PT_PKiS7_S7_iiiiiii.has_indirect_call, 0
	.section	.AMDGPU.csdata,"",@progbits
; Kernel info:
; codeLenInByte = 15364
; TotalNumSgprs: 23
; NumVgprs: 185
; ScratchSize: 0
; MemoryBound: 0
; FloatMode: 240
; IeeeMode: 1
; LDSByteSize: 38656 bytes/workgroup (compile time only)
; SGPRBlocks: 0
; VGPRBlocks: 23
; NumSGPRsForWavesPerEU: 23
; NumVGPRsForWavesPerEU: 185
; Occupancy: 5
; WaveLimiterHint : 1
; COMPUTE_PGM_RSRC2:SCRATCH_EN: 0
; COMPUTE_PGM_RSRC2:USER_SGPR: 6
; COMPUTE_PGM_RSRC2:TRAP_HANDLER: 0
; COMPUTE_PGM_RSRC2:TGID_X_EN: 1
; COMPUTE_PGM_RSRC2:TGID_Y_EN: 1
; COMPUTE_PGM_RSRC2:TGID_Z_EN: 0
; COMPUTE_PGM_RSRC2:TIDIG_COMP_CNT: 1
	.section	.text._ZL8moe_q5_0IN3c108BFloat16ELb1EEvPKvS3_PT_PKiS7_S7_iiiiiii,"axG",@progbits,_ZL8moe_q5_0IN3c108BFloat16ELb1EEvPKvS3_PT_PKiS7_S7_iiiiiii,comdat
	.globl	_ZL8moe_q5_0IN3c108BFloat16ELb1EEvPKvS3_PT_PKiS7_S7_iiiiiii ; -- Begin function _ZL8moe_q5_0IN3c108BFloat16ELb1EEvPKvS3_PT_PKiS7_S7_iiiiiii
	.p2align	8
	.type	_ZL8moe_q5_0IN3c108BFloat16ELb1EEvPKvS3_PT_PKiS7_S7_iiiiiii,@function
_ZL8moe_q5_0IN3c108BFloat16ELb1EEvPKvS3_PT_PKiS7_S7_iiiiiii: ; @_ZL8moe_q5_0IN3c108BFloat16ELb1EEvPKvS3_PT_PKiS7_S7_iiiiiii
; %bb.0:
	s_load_dwordx4 s[0:3], s[4:5], 0x18
	s_mov_b32 s8, s7
	s_mov_b32 s9, 0
	s_lshl_b64 s[10:11], s[8:9], 2
	s_waitcnt lgkmcnt(0)
	s_add_u32 s2, s2, s10
	s_addc_u32 s3, s3, s11
	s_load_dword s16, s[2:3], 0x0
	s_waitcnt lgkmcnt(0)
	s_cmpk_gt_u32 s16, 0xff
	s_cbranch_scc1 .LBB222_26
; %bb.1:
	s_load_dwordx2 s[2:3], s[4:5], 0x28
	s_waitcnt lgkmcnt(0)
	s_load_dword s3, s[2:3], 0x0
	s_lshl_b32 s2, s8, 3
	s_waitcnt lgkmcnt(0)
	s_cmp_gt_u32 s2, s3
	s_cbranch_scc1 .LBB222_26
; %bb.2:
	v_add_nc_u32_e32 v24, s2, v1
	v_mov_b32_e32 v25, 0
	v_lshlrev_b64 v[2:3], 2, v[24:25]
	v_mov_b32_e32 v103, v25
	v_mov_b32_e32 v109, v25
	v_mov_b32_e32 v27, v25
	v_add_co_u32 v2, vcc_lo, s0, v2
	v_add_co_ci_u32_e64 v3, null, s1, v3, vcc_lo
	global_load_dword v26, v[2:3], off
	s_clause 0x1
	s_load_dwordx8 s[8:15], s[4:5], 0x30
	s_load_dwordx2 s[2:3], s[4:5], 0x10
	s_waitcnt lgkmcnt(0)
	s_lshl_b32 s15, s6, 7
	s_cmp_lt_i32 s9, 32
	s_cbranch_scc1 .LBB222_17
; %bb.3:
	s_ashr_i32 s0, s9, 31
	s_ashr_i32 s1, s12, 31
	s_lshr_b32 s0, s0, 27
	s_lshr_b32 s1, s1, 27
	s_add_i32 s0, s9, s0
	v_add_nc_u32_e32 v6, 8, v1
	s_ashr_i32 s18, s0, 5
	s_add_i32 s0, s12, s1
	v_add_nc_u32_e32 v7, 16, v1
	s_ashr_i32 s12, s0, 5
	s_not_b32 s0, s15
	v_lshlrev_b32_e32 v3, 2, v0
	s_add_i32 s0, s10, s0
	v_lshlrev_b32_e32 v2, 3, v0
	v_min_i32_e32 v5, s0, v1
	v_min_i32_e32 v8, s0, v6
	;; [unrolled: 1-line block ×3, first 2 shown]
	v_add_nc_u32_e32 v9, 24, v1
	v_add_nc_u32_e32 v11, 32, v1
	v_mul_lo_u32 v23, v5, s18
	v_mad_u64_u32 v[5:6], null, 0x104, v5, v[2:3]
	v_mad_u64_u32 v[6:7], null, 0x104, v8, v[2:3]
	v_mul_lo_u32 v25, v8, s18
	v_mul_lo_u32 v47, v10, s18
	v_mad_u64_u32 v[7:8], null, 0x104, v10, v[2:3]
	v_add_nc_u32_e32 v10, 40, v1
	v_min_i32_e32 v9, s0, v9
	v_min_i32_e32 v11, s0, v11
	v_add_nc_u32_e32 v12, 48, v1
	v_add_nc_u32_e32 v14, 56, v1
	v_min_i32_e32 v13, s0, v10
	v_mul_lo_u32 v51, v9, s18
	v_mad_u64_u32 v[8:9], null, 0x104, v9, v[2:3]
	v_mad_u64_u32 v[9:10], null, 0x104, v11, v[2:3]
	v_mul_lo_u32 v55, v11, s18
	v_mul_lo_u32 v59, v13, s18
	v_mad_u64_u32 v[10:11], null, 0x104, v13, v[2:3]
	v_add_nc_u32_e32 v13, 64, v1
	v_min_i32_e32 v12, s0, v12
	v_min_i32_e32 v14, s0, v14
	v_add_nc_u32_e32 v15, 0x48, v1
	v_add_nc_u32_e32 v17, 0x50, v1
	v_min_i32_e32 v16, s0, v13
	v_mul_lo_u32 v63, v12, s18
	v_mad_u64_u32 v[11:12], null, 0x104, v12, v[2:3]
	v_mad_u64_u32 v[12:13], null, 0x104, v14, v[2:3]
	v_mul_lo_u32 v67, v14, s18
	v_mul_lo_u32 v71, v16, s18
	v_mad_u64_u32 v[13:14], null, 0x104, v16, v[2:3]
	v_add_nc_u32_e32 v16, 0x58, v1
	v_min_i32_e32 v15, s0, v15
	v_min_i32_e32 v17, s0, v17
	v_add_nc_u32_e32 v20, 0x68, v1
	s_abs_i32 s1, s14
	v_min_i32_e32 v19, s0, v16
	v_mul_lo_u32 v75, v15, s18
	v_mad_u64_u32 v[14:15], null, 0x104, v15, v[2:3]
	v_mad_u64_u32 v[15:16], null, 0x104, v17, v[2:3]
	v_mul_lo_u32 v79, v17, s18
	v_mul_lo_u32 v83, v19, s18
	v_mad_u64_u32 v[16:17], null, 0x104, v19, v[2:3]
	v_min_i32_e32 v19, s0, v20
	v_cvt_f32_u32_e32 v20, s1
	v_lshrrev_b32_e32 v29, 3, v0
	v_add_nc_u32_e32 v18, 0x60, v1
	v_add_nc_u32_e32 v21, 0x70, v1
	;; [unrolled: 1-line block ×3, first 2 shown]
	v_rcp_iflag_f32_e32 v20, v20
	v_lshl_add_u32 v22, v1, 2, v29
	v_min_i32_e32 v18, s0, v18
	v_min_i32_e32 v21, s0, v21
	;; [unrolled: 1-line block ×3, first 2 shown]
	v_mul_lo_u32 v91, v19, s18
	v_min_i32_e32 v24, s0, v22
	v_mul_lo_u32 v87, v18, s18
	v_mad_u64_u32 v[17:18], null, 0x104, v18, v[2:3]
	v_mul_f32_e32 v32, 0x4f7ffffe, v20
	v_ashrrev_i32_e32 v31, 31, v24
	v_mad_u64_u32 v[18:19], null, 0x104, v19, v[2:3]
	s_sub_i32 s10, 0, s1
	v_cvt_u32_f32_e32 v32, v32
	v_mad_u64_u32 v[19:20], null, 0x104, v21, v[2:3]
	v_lshrrev_b32_e32 v31, 30, v31
	v_mul_lo_u32 v95, v21, s18
	v_mul_lo_u32 v99, v30, s18
	v_mad_u64_u32 v[20:21], null, 0x104, v30, v[2:3]
	v_mul_lo_u32 v30, s10, v32
	v_add_nc_u32_e32 v2, v24, v31
	v_add_nc_u32_e32 v21, 32, v22
	;; [unrolled: 1-line block ×4, first 2 shown]
	s_waitcnt vmcnt(0)
	v_sub_nc_u32_e32 v34, 0, v26
	v_and_b32_e32 v103, 7, v0
	v_min_i32_e32 v21, s0, v21
	v_mul_hi_u32 v30, v32, v30
	v_min_i32_e32 v31, s0, v31
	v_min_i32_e32 v22, s0, v22
	v_max_i32_e32 v34, v26, v34
	v_ashrrev_i32_e32 v33, 31, v21
	v_and_b32_e32 v2, -4, v2
	v_ashrrev_i32_e32 v36, 31, v31
	v_lshlrev_b32_e32 v35, 2, v103
	v_add_nc_u32_e32 v30, v32, v30
	v_lshrrev_b32_e32 v33, 30, v33
	v_mul_lo_u32 v104, v24, s18
	v_lshrrev_b32_e32 v32, 30, v36
	v_ashrrev_i32_e32 v36, 31, v22
	v_mul_hi_u32 v30, v34, v30
	v_add3_u32 v109, v2, v35, 0x8200
	v_add_nc_u32_e32 v2, v21, v33
	v_add_nc_u32_e32 v32, v31, v32
	v_lshrrev_b32_e32 v33, 30, v36
	v_lshlrev_b32_e32 v117, 5, v24
	v_mul_lo_u32 v106, v21, s18
	v_and_b32_e32 v2, -4, v2
	v_and_b32_e32 v24, -4, v32
	v_add_nc_u32_e32 v32, v22, v33
	v_mul_lo_u32 v33, v30, s1
	v_lshlrev_b32_e32 v119, 5, v21
	v_add3_u32 v118, v2, v35, 0x8200
	v_add3_u32 v120, v24, v35, 0x8200
	v_and_b32_e32 v2, -4, v32
	v_lshl_add_u32 v32, v1, 4, 0x9680
	s_load_dwordx4 s[4:7], s[4:5], 0x0
	v_and_b32_e32 v28, 12, v3
	v_sub_nc_u32_e32 v21, v34, v33
	v_add3_u32 v122, v2, v35, 0x8200
	v_add_nc_u32_e32 v2, 1, v30
	v_xor_b32_e32 v33, s14, v26
	v_and_b32_e32 v40, 28, v3
	v_subrev_nc_u32_e32 v24, s1, v21
	v_cmp_le_u32_e32 vcc_lo, s1, v21
	v_add_nc_u32_e32 v34, 0x60, v0
	v_lshrrev_b32_e32 v4, 2, v0
	s_mul_i32 s8, s16, s8
	s_mul_i32 s16, s18, s15
	v_cndmask_b32_e32 v2, v30, v2, vcc_lo
	v_cndmask_b32_e32 v21, v21, v24, vcc_lo
	v_lshl_add_u32 v30, v1, 7, 0x9280
	v_ashrrev_i32_e32 v1, 31, v33
	v_add_nc_u32_e32 v33, v32, v3
	v_add_nc_u32_e32 v24, 1, v2
	v_cmp_le_u32_e32 vcc_lo, s1, v21
	v_add_nc_u32_e32 v3, 32, v0
	v_and_b32_e32 v38, 0x1fc, v34
	v_lshlrev_b32_e32 v39, 5, v34
	s_mul_hi_i32 s17, s16, 22
	v_cndmask_b32_e32 v2, v2, v24, vcc_lo
	v_add_nc_u32_e32 v24, 64, v0
	v_and_b32_e32 v36, 0x1fc, v3
	v_add3_u32 v38, v39, v38, 0x8200
	v_lshrrev_b32_e32 v39, 3, v3
	v_xor_b32_e32 v2, v2, v1
	v_and_b32_e32 v37, 0x1fc, v24
	v_lshlrev_b32_e32 v24, 5, v24
	s_mul_i32 s16, s16, 22
	v_mul_lo_u32 v112, v22, s18
	v_sub_nc_u32_e32 v1, v2, v1
	v_lshlrev_b32_e32 v2, 5, v3
	v_add3_u32 v37, v24, v37, 0x8200
	v_lshlrev_b32_e32 v123, 5, v22
	v_and_b32_e32 v22, 31, v0
	v_mul_lo_u32 v42, v1, s12
	v_add3_u32 v36, v2, v36, 0x8200
	v_cmp_gt_i32_e64 s0, s11, v1
	v_mul_lo_u32 v111, v31, s18
	v_lshlrev_b32_e32 v121, 5, v31
	v_lshl_or_b32 v31, v22, 2, v30
	v_and_b32_e32 v21, 0xfc, v0
	v_lshlrev_b32_e32 v22, 5, v0
	v_ashrrev_i32_e32 v2, 31, v42
	v_add_co_u32 v3, s1, v42, v0
	v_mul_hi_u32_u24_e32 v113, 22, v103
	v_add3_u32 v35, v22, v21, 0x8200
	v_add_co_ci_u32_e64 v24, null, 0, v2, s1
	v_mad_u64_u32 v[1:2], null, v4, 22, s[16:17]
	s_waitcnt lgkmcnt(0)
	v_mad_u64_u32 v[3:4], null, v3, 36, s[6:7]
	v_add_co_u32 v21, s1, s6, v40
	v_add_co_ci_u32_e64 v22, null, s7, 0, s1
	v_mad_i64_i32 v[45:46], null, v23, 22, v[1:2]
	v_mad_i32_i24 v4, v24, 36, v4
	v_add_co_u32 v23, s1, 0x90, v3
	v_mad_i64_i32 v[53:54], null, v47, 22, v[1:2]
	v_add_co_ci_u32_e64 v24, null, 0, v4, s1
	v_add_co_u32 v43, s1, v45, v28
	v_add_co_ci_u32_e64 v44, null, 0, v46, s1
	v_mad_i64_i32 v[3:4], null, v25, 22, v[1:2]
	v_add_co_u32 v25, s1, s4, v43
	v_add_co_ci_u32_e64 v44, null, s5, v44, s1
	v_mad_i64_i32 v[61:62], null, v55, 22, v[1:2]
	v_add_co_u32 v43, s1, v25, 6
	v_add_co_ci_u32_e64 v44, null, 0, v44, s1
	v_add_co_u32 v25, s1, v3, v28
	v_add_co_ci_u32_e64 v48, null, 0, v4, s1
	;; [unrolled: 2-line block ×4, first 2 shown]
	v_mad_i64_i32 v[69:70], null, v63, 22, v[1:2]
	v_add_co_u32 v47, s1, v25, 6
	v_add_co_ci_u32_e64 v48, null, 0, v48, s1
	v_add_co_u32 v3, s1, s4, v3
	v_add_co_ci_u32_e64 v4, null, s5, v4, s1
	;; [unrolled: 2-line block ×4, first 2 shown]
	v_add_co_u32 v25, s1, s4, v25
	v_mad_i64_i32 v[3:4], null, v51, 22, v[1:2]
	v_add_co_ci_u32_e64 v52, null, s5, v52, s1
	v_add_co_u32 v51, s1, v25, 6
	v_mad_i64_i32 v[77:78], null, v71, 22, v[1:2]
	v_add_co_ci_u32_e64 v52, null, 0, v52, s1
	v_add_co_u32 v25, s1, s4, v53
	v_add_co_ci_u32_e64 v54, null, s5, v54, s1
	v_add_co_u32 v56, s1, v3, v28
	v_add_co_ci_u32_e64 v57, null, 0, v4, s1
	v_add_co_u32 v53, s1, v25, 2
	v_add_co_ci_u32_e64 v54, null, 0, v54, s1
	v_add_co_u32 v25, s1, s4, v56
	v_add_co_ci_u32_e64 v56, null, s5, v57, s1
	v_mad_i64_i32 v[85:86], null, v79, 22, v[1:2]
	v_add_co_u32 v55, s1, v25, 6
	v_add_co_ci_u32_e64 v56, null, 0, v56, s1
	v_add_co_u32 v3, s1, s4, v3
	v_add_co_ci_u32_e64 v4, null, s5, v4, s1
	;; [unrolled: 2-line block ×4, first 2 shown]
	v_add_co_u32 v25, s1, s4, v25
	v_mad_i64_i32 v[3:4], null, v59, 22, v[1:2]
	v_add_co_ci_u32_e64 v60, null, s5, v60, s1
	v_add_co_u32 v59, s1, v25, 6
	v_mad_i64_i32 v[93:94], null, v87, 22, v[1:2]
	v_add_co_ci_u32_e64 v60, null, 0, v60, s1
	v_add_co_u32 v25, s1, s4, v61
	v_add_co_ci_u32_e64 v62, null, s5, v62, s1
	v_add_co_u32 v64, s1, v3, v28
	;; [unrolled: 2-line block ×4, first 2 shown]
	v_add_co_ci_u32_e64 v64, null, s5, v65, s1
	v_mad_i64_i32 v[101:102], null, v95, 22, v[1:2]
	v_add_co_u32 v63, s1, v25, 6
	v_add_co_ci_u32_e64 v64, null, 0, v64, s1
	v_add_co_u32 v3, s1, s4, v3
	v_add_co_ci_u32_e64 v4, null, s5, v4, s1
	;; [unrolled: 2-line block ×4, first 2 shown]
	v_add_co_u32 v25, s1, s4, v25
	v_mad_i64_i32 v[3:4], null, v67, 22, v[1:2]
	v_add_co_ci_u32_e64 v68, null, s5, v68, s1
	v_add_co_u32 v67, s1, v25, 6
	v_mul_u32_u24_e32 v103, 22, v103
	v_add_co_ci_u32_e64 v68, null, 0, v68, s1
	v_add_co_u32 v25, s1, s4, v69
	v_add_co_ci_u32_e64 v70, null, s5, v70, s1
	v_add_co_u32 v72, s1, v3, v28
	;; [unrolled: 2-line block ×4, first 2 shown]
	v_add_co_ci_u32_e64 v72, null, s5, v73, s1
	v_cmp_gt_u32_e32 vcc_lo, 4, v0
	v_add_co_u32 v71, s1, v25, 6
	v_add_co_ci_u32_e64 v72, null, 0, v72, s1
	v_add_co_u32 v3, s1, s4, v3
	v_add_co_ci_u32_e64 v4, null, s5, v4, s1
	;; [unrolled: 2-line block ×4, first 2 shown]
	v_add_co_u32 v25, s1, s4, v25
	v_mad_i64_i32 v[3:4], null, v75, 22, v[1:2]
	v_add_co_ci_u32_e64 v76, null, s5, v76, s1
	v_add_co_u32 v75, s1, v25, 6
	v_mov_b32_e32 v27, 0
	v_add_co_ci_u32_e64 v76, null, 0, v76, s1
	v_add_co_u32 v25, s1, s4, v77
	v_add_co_ci_u32_e64 v78, null, s5, v78, s1
	v_add_co_u32 v80, s1, v3, v28
	;; [unrolled: 2-line block ×4, first 2 shown]
	v_add_co_ci_u32_e64 v80, null, s5, v81, s1
	v_mul_u32_u24_e32 v34, 0x104, v0
	v_add_co_u32 v79, s1, v25, 6
	v_add_co_ci_u32_e64 v80, null, 0, v80, s1
	v_add_co_u32 v3, s1, s4, v3
	v_add_co_ci_u32_e64 v4, null, s5, v4, s1
	;; [unrolled: 2-line block ×4, first 2 shown]
	v_add_co_u32 v25, s1, s4, v25
	v_mad_i64_i32 v[3:4], null, v83, 22, v[1:2]
	v_add_co_ci_u32_e64 v84, null, s5, v84, s1
	v_add_co_u32 v83, s1, v25, 6
	v_add_nc_u32_e32 v40, v39, v42
	v_add_co_ci_u32_e64 v84, null, 0, v84, s1
	v_add_co_u32 v25, s1, s4, v85
	v_add_co_ci_u32_e64 v86, null, s5, v86, s1
	v_add_co_u32 v88, s1, v3, v28
	;; [unrolled: 2-line block ×4, first 2 shown]
	v_add_co_ci_u32_e64 v88, null, s5, v89, s1
	v_add_nc_u32_e32 v41, v29, v42
	v_add_co_u32 v87, s1, v25, 6
	v_add_co_ci_u32_e64 v88, null, 0, v88, s1
	v_add_co_u32 v3, s1, s4, v3
	v_add_co_ci_u32_e64 v4, null, s5, v4, s1
	;; [unrolled: 2-line block ×4, first 2 shown]
	v_add_co_u32 v25, s1, s4, v25
	v_mad_i64_i32 v[3:4], null, v91, 22, v[1:2]
	v_add_co_ci_u32_e64 v92, null, s5, v92, s1
	v_add_co_u32 v91, s1, v25, 6
	v_mad_i64_i32 v[1:2], null, v99, 22, v[1:2]
	v_add_co_ci_u32_e64 v92, null, 0, v92, s1
	v_add_co_u32 v25, s1, s4, v93
	v_add_co_ci_u32_e64 v94, null, s5, v94, s1
	v_add_co_u32 v96, s1, v3, v28
	;; [unrolled: 2-line block ×4, first 2 shown]
	v_add_co_ci_u32_e64 v96, null, s5, v97, s1
	v_add_nc_u32_e32 v42, v0, v42
	v_add_co_u32 v95, s1, v25, 6
	v_add_co_ci_u32_e64 v96, null, 0, v96, s1
	v_add_co_u32 v3, s1, s4, v3
	v_add_co_ci_u32_e64 v4, null, s5, v4, s1
	v_add_co_u32 v25, s1, v101, v28
	v_add_co_ci_u32_e64 v100, null, 0, v102, s1
	v_add_co_u32 v97, s1, v3, 2
	v_add_co_ci_u32_e64 v98, null, 0, v4, s1
	v_add_co_u32 v3, s1, s4, v25
	v_add_co_ci_u32_e64 v4, null, s5, v100, s1
	v_add_nc_u32_e32 v117, v109, v117
	v_add_co_u32 v99, s1, v3, 6
	v_add_co_ci_u32_e64 v100, null, 0, v4, s1
	v_add_co_u32 v3, s1, s4, v101
	v_add_co_ci_u32_e64 v4, null, s5, v102, s1
	;; [unrolled: 2-line block ×5, first 2 shown]
	v_mad_i64_i32 v[3:4], null, v104, 22, 0
	v_add_co_u32 v104, s1, v25, 6
	v_add_co_ci_u32_e64 v105, null, 0, v105, s1
	v_add_co_u32 v25, s1, s4, v1
	v_add_co_ci_u32_e64 v107, null, s5, v2, s1
	v_mad_i64_i32 v[1:2], null, v106, 22, 0
	v_add_co_u32 v3, s1, s16, v3
	v_add_co_ci_u32_e64 v4, null, s17, v4, s1
	v_add_co_u32 v106, s1, v25, 2
	v_add_co_ci_u32_e64 v107, null, 0, v107, s1
	;; [unrolled: 2-line block ×6, first 2 shown]
	v_mad_i64_i32 v[1:2], null, v111, 22, 0
	v_mad_i64_i32 v[3:4], null, v112, 22, 0
	v_add_co_u32 v111, s1, s4, v25
	v_add_co_ci_u32_e64 v112, null, s5, v114, s1
	v_add_co_u32 v1, s1, s16, v1
	v_add_co_ci_u32_e64 v2, null, s17, v2, s1
	v_add_co_u32 v3, s1, s16, v3
	v_add_co_ci_u32_e64 v4, null, s17, v4, s1
	v_add_co_u32 v1, s1, v1, v103
	v_add_co_ci_u32_e64 v2, null, v2, v113, s1
	v_add_co_u32 v3, s1, v3, v103
	v_add_co_ci_u32_e64 v4, null, v4, v113, s1
	v_add_co_u32 v113, s1, s4, v1
	v_add_co_ci_u32_e64 v114, null, s5, v2, s1
	v_add_co_u32 v115, s1, s4, v3
	v_add_co_ci_u32_e64 v116, null, s5, v4, s1
	v_add_nc_u32_e32 v118, v118, v119
	v_add_nc_u32_e32 v119, v120, v121
	v_add_nc_u32_e32 v120, v122, v123
	v_mov_b32_e32 v109, 0
	v_mov_b32_e32 v103, 0
	;; [unrolled: 1-line block ×3, first 2 shown]
	s_ashr_i32 s19, s8, 31
	s_mov_b32 s4, 0
	s_and_b32 s5, vcc_lo, s0
	s_movk_i32 s10, 0x80
	s_branch .LBB222_6
.LBB222_4:                              ;   in Loop: Header=BB222_6 Depth=1
	s_or_b32 exec_lo, exec_lo, s16
	s_waitcnt lgkmcnt(0)
	s_barrier
	buffer_gl0_inv
	ds_read_b128 v[121:124], v30
	ds_read2_b32 v[129:130], v34 offset0:32 offset1:33
	v_add_nc_u32_e32 v1, 0x2100, v34
	ds_read_b128 v[125:128], v30 offset:16
	ds_read2_b32 v[131:132], v1 offset1:1
	ds_read_b128 v[1:4], v32
	ds_read2_b32 v[133:134], v34 offset0:34 offset1:35
	v_add_nc_u32_e32 v137, 0x2108, v34
	ds_read2_b32 v[135:136], v34 offset0:36 offset1:37
	v_mov_b32_e32 v167, 0
	v_add_nc_u32_e32 v139, 0x4180, v34
	v_mov_b32_e32 v168, 0
	ds_read2_b32 v[137:138], v137 offset1:1
	v_add_nc_u32_e32 v141, 0x2110, v34
	v_add_nc_u32_e32 v143, 0x2118, v34
	ds_read2_b32 v[139:140], v139 offset1:1
	ds_read2_b32 v[141:142], v141 offset1:1
	;; [unrolled: 1-line block ×3, first 2 shown]
	ds_read2_b32 v[145:146], v38 offset0:4 offset1:5
	ds_read2_b32 v[147:148], v38 offset0:6 offset1:7
	;; [unrolled: 1-line block ×4, first 2 shown]
	v_mov_b32_e32 v169, 0
	s_waitcnt lgkmcnt(13)
	v_dot4c_i32_i8 v167, v129, v121
	v_add_nc_u32_e32 v129, 0x4188, v34
	v_mov_b32_e32 v173, 0
	s_waitcnt lgkmcnt(11)
	v_dot4c_i32_i8 v168, v131, v121
	v_add_nc_u32_e32 v131, 0x4198, v34
	v_dot4c_i32_i8 v167, v130, v125
	ds_read2_b32 v[153:154], v129 offset1:1
	v_add_nc_u32_e32 v129, 0x6200, v34
	v_dot4c_i32_i8 v168, v132, v125
	v_add_nc_u32_e32 v130, 0x4190, v34
	s_waitcnt lgkmcnt(10)
	v_dot4c_i32_i8 v167, v133, v122
	v_add_nc_u32_e32 v159, 0x2120, v34
	v_mov_b32_e32 v174, 0
	s_waitcnt lgkmcnt(8)
	v_dot4c_i32_i8 v168, v137, v122
	s_waitcnt lgkmcnt(7)
	v_dot4c_i32_i8 v169, v139, v121
	v_dot4c_i32_i8 v167, v134, v126
	v_add_nc_u32_e32 v139, 0x6208, v34
	v_add_nc_u32_e32 v171, 0x6220, v34
	v_dot4c_i32_i8 v168, v138, v126
	ds_read2_b32 v[137:138], v129 offset1:1
	ds_read2_b32 v[155:156], v130 offset1:1
	;; [unrolled: 1-line block ×3, first 2 shown]
	v_dot4c_i32_i8 v167, v135, v123
	v_dot4c_i32_i8 v169, v140, v125
	v_mov_b32_e32 v175, 0
	s_waitcnt lgkmcnt(9)
	v_dot4c_i32_i8 v168, v141, v123
	v_mov_b32_e32 v176, 0
	v_dot4c_i32_i8 v167, v136, v127
	ds_read_b128 v[129:132], v30 offset:32
	ds_read_b128 v[133:136], v30 offset:48
	ds_read2_b32 v[139:140], v139 offset1:1
	s_waitcnt lgkmcnt(6)
	v_dot4c_i32_i8 v169, v153, v122
	v_dot4c_i32_i8 v168, v142, v127
	;; [unrolled: 1-line block ×3, first 2 shown]
	ds_read2_b32 v[141:142], v35 offset0:4 offset1:5
	v_mov_b32_e32 v177, 0
	v_dot4c_i32_i8 v169, v154, v126
	v_dot4c_i32_i8 v168, v143, v124
	v_add_nc_u32_e32 v143, 0x6218, v34
	v_dot4c_i32_i8 v167, v150, v128
	s_waitcnt lgkmcnt(6)
	v_dot4c_i32_i8 v173, v137, v121
	v_add_nc_u32_e32 v121, 0x6210, v34
	s_waitcnt lgkmcnt(5)
	v_dot4c_i32_i8 v169, v155, v123
	ds_read2_b32 v[149:150], v36 offset0:4 offset1:5
	ds_read2_b32 v[153:154], v37 offset0:4 offset1:5
	v_dot4c_i32_i8 v168, v144, v128
	v_dot4c_i32_i8 v173, v138, v125
	ds_read2_b32 v[137:138], v121 offset1:1
	v_dot4c_i32_i8 v169, v156, v127
	ds_read2_b32 v[155:156], v143 offset1:1
	ds_read2_b32 v[159:160], v159 offset1:1
	ds_read2_b32 v[161:162], v34 offset0:58 offset1:59
	ds_read2_b32 v[163:164], v34 offset0:60 offset1:61
	;; [unrolled: 1-line block ×3, first 2 shown]
	s_waitcnt lgkmcnt(9)
	v_dot4c_i32_i8 v173, v139, v122
	v_dot4c_i32_i8 v174, v151, v129
	;; [unrolled: 1-line block ×3, first 2 shown]
	v_cvt_f32_i32_e32 v167, v167
	s_waitcnt lgkmcnt(8)
	v_mul_f32_e32 v141, v1, v141
	v_dot4c_i32_i8 v173, v140, v126
	ds_read2_b32 v[121:122], v34 offset0:42 offset1:43
	ds_read2_b32 v[139:140], v36 offset0:6 offset1:7
	ds_read2_b32 v[143:144], v35 offset0:6 offset1:7
	ds_read2_b32 v[125:126], v34 offset0:44 offset1:45
	v_dot4c_i32_i8 v174, v152, v133
	v_dot4c_i32_i8 v169, v158, v128
	v_cvt_f32_i32_e32 v157, v168
	v_fmac_f32_e32 v27, v141, v167
	s_waitcnt lgkmcnt(11)
	v_mul_f32_e32 v149, v1, v149
	v_add_nc_u32_e32 v141, 0x2138, v34
	s_waitcnt lgkmcnt(9)
	v_dot4c_i32_i8 v173, v137, v123
	v_mul_f32_e32 v123, v1, v153
	v_cvt_f32_i32_e32 v137, v169
	v_fmac_f32_e32 v109, v149, v157
	v_add_nc_u32_e32 v149, 0x41a0, v34
	v_dot4c_i32_i8 v173, v138, v127
	v_add_nc_u32_e32 v127, 0x2130, v34
	v_fmac_f32_e32 v103, v123, v137
	s_waitcnt lgkmcnt(3)
	v_dot4c_i32_i8 v174, v121, v130
	v_add_nc_u32_e32 v121, 0x2128, v34
	v_dot4c_i32_i8 v173, v155, v124
	ds_read2_b32 v[123:124], v34 offset0:46 offset1:47
	ds_read2_b32 v[137:138], v34 offset0:48 offset1:49
	v_add_nc_u32_e32 v153, 0x41b8, v34
	v_dot4c_i32_i8 v174, v122, v134
	ds_read2_b32 v[121:122], v121 offset1:1
	ds_read2_b32 v[151:152], v127 offset1:1
	;; [unrolled: 1-line block ×4, first 2 shown]
	v_mov_b32_e32 v149, 0
	v_add_nc_u32_e32 v141, 0x41b0, v34
	v_dot4c_i32_i8 v173, v156, v128
	s_waitcnt lgkmcnt(6)
	v_dot4c_i32_i8 v174, v125, v131
	v_add_nc_u32_e32 v125, 0x41a8, v34
	v_dot4c_i32_i8 v149, v159, v129
	ds_read2_b32 v[127:128], v125 offset1:1
	ds_read2_b32 v[155:156], v141 offset1:1
	;; [unrolled: 1-line block ×4, first 2 shown]
	v_dot4c_i32_i8 v149, v160, v133
	v_add_nc_u32_e32 v125, 0x6228, v34
	v_dot4c_i32_i8 v174, v126, v135
	v_mov_b32_e32 v153, 0
	ds_read2_b32 v[159:160], v37 offset0:6 offset1:7
	v_mul_f32_e32 v1, v1, v145
	s_waitcnt lgkmcnt(8)
	v_dot4c_i32_i8 v149, v121, v130
	ds_read2_b32 v[125:126], v125 offset1:1
	v_add_nc_u32_e32 v121, 0x6230, v34
	s_waitcnt lgkmcnt(6)
	v_dot4c_i32_i8 v153, v167, v129
	v_cvt_f32_i32_e32 v145, v173
	v_dot4c_i32_i8 v149, v122, v134
	v_mul_f32_e32 v173, v2, v142
	ds_read2_b32 v[141:142], v121 offset1:1
	v_dot4c_i32_i8 v153, v168, v133
	v_dot4c_i32_i8 v174, v123, v132
	;; [unrolled: 1-line block ×3, first 2 shown]
	v_add_nc_u32_e32 v121, 0x6238, v34
	v_add_nc_u32_e32 v122, 0x2140, v34
	s_waitcnt lgkmcnt(3)
	v_dot4c_i32_i8 v175, v171, v129
	v_dot4c_i32_i8 v153, v127, v130
	;; [unrolled: 1-line block ×4, first 2 shown]
	ds_read2_b32 v[151:152], v121 offset1:1
	ds_read2_b32 v[167:168], v122 offset1:1
	v_dot4c_i32_i8 v175, v172, v133
	ds_read_b128 v[121:124], v30 offset:64
	v_dot4c_i32_i8 v149, v157, v132
	v_dot4c_i32_i8 v153, v128, v134
	v_cvt_f32_i32_e32 v129, v174
	s_waitcnt lgkmcnt(4)
	v_dot4c_i32_i8 v175, v125, v130
	v_mul_f32_e32 v130, v2, v150
	v_dot4c_i32_i8 v149, v158, v136
	v_dot4c_i32_i8 v153, v155, v131
	v_fmac_f32_e32 v27, v173, v129
	v_dot4c_i32_i8 v175, v126, v134
	ds_read_b128 v[125:128], v30 offset:80
	v_cvt_f32_i32_e32 v133, v149
	v_dot4c_i32_i8 v153, v156, v135
	v_add_nc_u32_e32 v171, 0x41d8, v34
	s_waitcnt lgkmcnt(4)
	v_dot4c_i32_i8 v175, v141, v131
	v_add_nc_u32_e32 v131, 0x2148, v34
	v_fmac_f32_e32 v109, v130, v133
	ds_read2_b32 v[129:130], v34 offset0:50 offset1:51
	v_dot4c_i32_i8 v153, v169, v132
	v_dot4c_i32_i8 v175, v142, v135
	v_mov_b32_e32 v135, 0
	v_add_nc_u32_e32 v133, 0x2150, v34
	v_add_nc_u32_e32 v141, 0x41c0, v34
	v_dot4c_i32_i8 v153, v170, v136
	s_waitcnt lgkmcnt(4)
	v_dot4c_i32_i8 v175, v151, v132
	s_waitcnt lgkmcnt(2)
	v_dot4c_i32_i8 v135, v137, v121
	v_add_nc_u32_e32 v137, 0x2158, v34
	v_add_nc_u32_e32 v151, 0x41c8, v34
	;; [unrolled: 1-line block ×4, first 2 shown]
	s_waitcnt lgkmcnt(1)
	v_dot4c_i32_i8 v135, v138, v125
	ds_read2_b32 v[131:132], v131 offset1:1
	ds_read2_b32 v[133:134], v133 offset1:1
	;; [unrolled: 1-line block ×4, first 2 shown]
	ds_read2_b32 v[149:150], v34 offset0:52 offset1:53
	v_fmac_f32_e32 v25, v1, v145
	v_mul_f32_e32 v1, v2, v154
	v_cvt_f32_i32_e32 v145, v153
	ds_read2_b32 v[153:154], v34 offset0:54 offset1:55
	ds_read2_b32 v[155:156], v34 offset0:56 offset1:57
	ds_read2_b32 v[157:158], v151 offset1:1
	ds_read2_b32 v[169:170], v169 offset1:1
	;; [unrolled: 1-line block ×4, first 2 shown]
	s_waitcnt lgkmcnt(11)
	v_dot4c_i32_i8 v135, v129, v122
	v_dot4c_i32_i8 v175, v152, v136
	v_fmac_f32_e32 v103, v1, v145
	v_add_nc_u32_e32 v1, 0x6248, v34
	v_mul_f32_e32 v136, v2, v146
	v_dot4c_i32_i8 v176, v167, v121
	v_dot4c_i32_i8 v135, v130, v126
	v_mov_b32_e32 v167, 0
	ds_read2_b32 v[1:2], v1 offset1:1
	v_add_nc_u32_e32 v129, 0x6250, v34
	v_dot4c_i32_i8 v176, v168, v125
	v_add_nc_u32_e32 v151, 0x41f0, v34
	s_waitcnt lgkmcnt(8)
	v_dot4c_i32_i8 v177, v141, v121
	s_waitcnt lgkmcnt(7)
	v_dot4c_i32_i8 v135, v149, v123
	ds_read2_b32 v[129:130], v129 offset1:1
	v_dot4c_i32_i8 v176, v131, v122
	v_add_nc_u32_e32 v131, 0x2160, v34
	v_dot4c_i32_i8 v177, v142, v125
	s_waitcnt lgkmcnt(2)
	v_dot4c_i32_i8 v167, v173, v121
	v_dot4c_i32_i8 v135, v150, v127
	;; [unrolled: 1-line block ×3, first 2 shown]
	v_add_nc_u32_e32 v121, 0x6258, v34
	v_dot4c_i32_i8 v177, v157, v122
	v_dot4c_i32_i8 v167, v174, v125
	;; [unrolled: 1-line block ×4, first 2 shown]
	ds_read2_b32 v[141:142], v121 offset1:1
	ds_read2_b32 v[145:146], v131 offset1:1
	v_dot4c_i32_i8 v177, v158, v126
	s_waitcnt lgkmcnt(3)
	v_dot4c_i32_i8 v167, v1, v122
	v_dot4c_i32_i8 v135, v154, v128
	v_cvt_f32_i32_e32 v1, v175
	v_dot4c_i32_i8 v176, v134, v127
	v_dot4c_i32_i8 v177, v169, v123
	;; [unrolled: 1-line block ×3, first 2 shown]
	v_mul_f32_e32 v2, v3, v143
	v_cvt_f32_i32_e32 v121, v135
	v_dot4c_i32_i8 v176, v137, v124
	v_dot4c_i32_i8 v177, v170, v127
	s_waitcnt lgkmcnt(2)
	v_dot4c_i32_i8 v167, v129, v123
	v_fmac_f32_e32 v25, v136, v1
	v_add_nc_u32_e32 v1, 0x2168, v34
	v_fmac_f32_e32 v27, v2, v121
	v_add_nc_u32_e32 v121, 0x2170, v34
	v_add_nc_u32_e32 v123, 0x2178, v34
	v_dot4c_i32_i8 v167, v130, v127
	v_add_nc_u32_e32 v127, 0x41e0, v34
	v_add_nc_u32_e32 v143, 0x41e8, v34
	;; [unrolled: 1-line block ×4, first 2 shown]
	v_dot4c_i32_i8 v177, v171, v124
	v_dot4c_i32_i8 v176, v138, v128
	ds_read_b128 v[129:132], v30 offset:96
	ds_read_b128 v[133:136], v30 offset:112
	ds_read2_b32 v[1:2], v1 offset1:1
	ds_read2_b32 v[121:122], v121 offset1:1
	ds_read2_b32 v[125:126], v123 offset1:1
	ds_read2_b32 v[137:138], v127 offset1:1
	ds_read2_b32 v[149:150], v143 offset1:1
	ds_read2_b32 v[151:152], v151 offset1:1
	ds_read2_b32 v[153:154], v153 offset1:1
	ds_read2_b32 v[157:158], v157 offset1:1
	v_mul_f32_e32 v123, v3, v139
	v_dot4c_i32_i8 v177, v172, v128
	v_cvt_f32_i32_e32 v127, v176
	s_waitcnt lgkmcnt(11)
	v_dot4c_i32_i8 v167, v141, v124
	v_add_nc_u32_e32 v124, 0x6268, v34
	v_mul_f32_e32 v139, v3, v159
	v_cvt_f32_i32_e32 v143, v177
	v_fmac_f32_e32 v109, v123, v127
	v_mov_b32_e32 v141, 0
	ds_read2_b32 v[123:124], v124 offset1:1
	v_dot4c_i32_i8 v167, v142, v128
	v_fmac_f32_e32 v103, v139, v143
	v_mov_b32_e32 v139, 0
	v_mov_b32_e32 v142, 0
	;; [unrolled: 1-line block ×3, first 2 shown]
	v_add_nc_u32_e32 v127, 0x6270, v34
	s_waitcnt lgkmcnt(10)
	v_dot4c_i32_i8 v141, v155, v129
	v_dot4c_i32_i8 v139, v145, v129
	s_waitcnt lgkmcnt(5)
	v_dot4c_i32_i8 v142, v137, v129
	s_waitcnt lgkmcnt(1)
	v_dot4c_i32_i8 v143, v157, v129
	ds_read2_b32 v[127:128], v127 offset1:1
	v_dot4c_i32_i8 v141, v156, v133
	v_dot4c_i32_i8 v139, v146, v133
	;; [unrolled: 1-line block ×3, first 2 shown]
	v_add_nc_u32_e32 v129, 0x6278, v34
	v_dot4c_i32_i8 v143, v158, v133
	v_dot4c_i32_i8 v141, v161, v130
	;; [unrolled: 1-line block ×4, first 2 shown]
	ds_read2_b32 v[137:138], v129 offset1:1
	s_waitcnt lgkmcnt(2)
	v_dot4c_i32_i8 v143, v123, v130
	v_dot4c_i32_i8 v141, v162, v134
	;; [unrolled: 1-line block ×4, first 2 shown]
	v_mul_f32_e32 v1, v3, v147
	v_dot4c_i32_i8 v143, v124, v134
	v_dot4c_i32_i8 v141, v163, v131
	;; [unrolled: 1-line block ×4, first 2 shown]
	v_cvt_f32_i32_e32 v2, v167
	s_waitcnt lgkmcnt(1)
	v_dot4c_i32_i8 v143, v127, v131
	v_dot4c_i32_i8 v141, v164, v135
	;; [unrolled: 1-line block ×4, first 2 shown]
	v_fmac_f32_e32 v25, v1, v2
	v_dot4c_i32_i8 v143, v128, v135
	v_dot4c_i32_i8 v141, v165, v132
	v_dot4c_i32_i8 v139, v125, v132
	v_dot4c_i32_i8 v142, v153, v132
	v_mul_f32_e32 v1, v4, v144
	s_waitcnt lgkmcnt(0)
	v_dot4c_i32_i8 v143, v137, v132
	v_dot4c_i32_i8 v141, v166, v136
	;; [unrolled: 1-line block ×4, first 2 shown]
	v_mul_f32_e32 v3, v4, v140
	v_dot4c_i32_i8 v143, v138, v136
	v_cvt_f32_i32_e32 v2, v141
	v_cvt_f32_i32_e32 v121, v139
	v_mul_f32_e32 v122, v4, v160
	v_cvt_f32_i32_e32 v123, v142
	v_mul_f32_e32 v4, v4, v148
	v_cvt_f32_i32_e32 v124, v143
	v_fmac_f32_e32 v27, v1, v2
	v_fmac_f32_e32 v109, v3, v121
	;; [unrolled: 1-line block ×4, first 2 shown]
	s_barrier
	buffer_gl0_inv
.LBB222_5:                              ;   in Loop: Header=BB222_6 Depth=1
	v_add_co_u32 v23, s1, 0x120, v23
	v_add_co_ci_u32_e64 v24, null, 0, v24, s1
	v_add_co_u32 v43, s1, 0xb0, v43
	v_add_co_ci_u32_e64 v44, null, 0, v44, s1
	;; [unrolled: 2-line block ×37, first 2 shown]
	s_add_i32 s4, s4, 8
	s_addk_i32 s10, 0x100
	s_cmp_ge_i32 s4, s18
	s_cbranch_scc1 .LBB222_17
.LBB222_6:                              ; =>This Inner Loop Header: Depth=1
	v_add_co_u32 v1, s1, v43, s8
	v_add_co_ci_u32_e64 v2, null, s19, v44, s1
	v_add_co_u32 v3, s1, v45, s8
	v_add_co_ci_u32_e64 v4, null, s19, v46, s1
	;; [unrolled: 2-line block ×3, first 2 shown]
	global_load_dword v127, v[1:2], off
	global_load_dword v130, v[3:4], off offset:2
	global_load_dword v129, v[121:122], off
	v_add_co_u32 v1, s1, v49, s8
	v_add_co_ci_u32_e64 v2, null, s19, v50, s1
	v_add_co_u32 v3, s1, v51, s8
	v_add_co_ci_u32_e64 v4, null, s19, v52, s1
	;; [unrolled: 2-line block ×5, first 2 shown]
	global_load_dword v145, v[1:2], off
	global_load_dword v146, v[3:4], off
	;; [unrolled: 1-line block ×5, first 2 shown]
	v_add_co_u32 v1, s1, v59, s8
	v_add_co_ci_u32_e64 v2, null, s19, v60, s1
	v_add_co_u32 v3, s1, v61, s8
	v_add_co_ci_u32_e64 v4, null, s19, v62, s1
	;; [unrolled: 2-line block ×4, first 2 shown]
	global_load_dword v150, v[3:4], off
	global_load_dword v151, v[1:2], off
	global_load_dword v152, v[121:122], off
	global_load_dword v128, v[123:124], off
	v_add_co_u32 v1, s1, v67, s8
	v_add_co_ci_u32_e64 v2, null, s19, v68, s1
	v_add_co_u32 v3, s1, v69, s8
	v_add_co_ci_u32_e64 v4, null, s19, v70, s1
	global_load_dword v125, v[1:2], off
	v_add_co_u32 v121, s1, v71, s8
	global_load_dword v126, v[3:4], off
	v_add_co_ci_u32_e64 v122, null, s19, v72, s1
	v_add_co_u32 v131, s1, v73, s8
	v_add_co_ci_u32_e64 v132, null, s19, v74, s1
	v_add_co_u32 v133, s1, v75, s8
	;; [unrolled: 2-line block ×7, first 2 shown]
	v_add_co_ci_u32_e64 v144, null, s19, v86, s1
	global_load_dword v123, v[121:122], off
	global_load_dword v124, v[131:132], off
	;; [unrolled: 1-line block ×8, first 2 shown]
	s_waitcnt vmcnt(21)
	v_lshrrev_b32_e32 v132, 4, v127
	s_waitcnt vmcnt(20)
	v_ashrrev_i32_e32 v130, v28, v130
	v_and_b32_e32 v131, 0xf0f0f0f, v127
	s_waitcnt vmcnt(19)
	v_and_b32_e32 v134, 0xf0f0f0f, v129
	v_lshrrev_b32_e32 v129, 4, v129
	v_and_b32_e32 v132, 0xf0f0f0f, v132
	v_and_b32_e32 v129, 0xf0f0f0f, v129
	s_waitcnt vmcnt(18)
	v_ashrrev_i32_e32 v133, v28, v145
	s_waitcnt vmcnt(17)
	v_and_b32_e32 v136, 0xf0f0f0f, v146
	s_waitcnt vmcnt(16)
	v_ashrrev_i32_e32 v135, v28, v147
	v_lshrrev_b32_e32 v137, 4, v146
	s_waitcnt vmcnt(14)
	v_ashrrev_i32_e32 v138, v28, v149
	v_and_b32_e32 v139, 0xf0f0f0f, v148
	v_lshrrev_b32_e32 v140, 4, v148
	v_lshlrev_b32_e32 v145, 4, v130
	v_lshlrev_b32_e32 v146, 11, v130
	;; [unrolled: 1-line block ×4, first 2 shown]
	v_lshrrev_b32_e32 v149, 12, v130
	v_lshlrev_b32_e32 v153, 11, v133
	v_lshlrev_b32_e32 v154, 18, v133
	;; [unrolled: 1-line block ×3, first 2 shown]
	v_lshrrev_b32_e32 v156, 12, v133
	v_lshrrev_b32_e32 v157, 5, v133
	v_lshlrev_b32_e32 v158, 2, v133
	s_waitcnt vmcnt(13)
	v_ashrrev_i32_e32 v141, v28, v150
	v_lshrrev_b32_e32 v150, 5, v130
	s_waitcnt vmcnt(12)
	v_and_b32_e32 v142, 0xf0f0f0f, v151
	v_lshrrev_b32_e32 v143, 4, v151
	s_waitcnt vmcnt(11)
	v_ashrrev_i32_e32 v127, v28, v152
	v_lshlrev_b32_e32 v151, 2, v130
	v_lshlrev_b32_e32 v130, 9, v130
	;; [unrolled: 1-line block ×8, first 2 shown]
	v_lshrrev_b32_e32 v163, 12, v135
	v_lshrrev_b32_e32 v164, 5, v135
	v_lshlrev_b32_e32 v165, 2, v135
	v_lshlrev_b32_e32 v135, 9, v135
	;; [unrolled: 1-line block ×6, first 2 shown]
	v_lshrrev_b32_e32 v170, 12, v138
	v_lshrrev_b32_e32 v171, 5, v138
	v_and_b32_e32 v145, 16, v145
	v_and_b32_e32 v146, 0x1000, v146
	;; [unrolled: 1-line block ×24, first 2 shown]
	v_lshlrev_b32_e32 v172, 2, v138
	v_lshlrev_b32_e32 v138, 9, v138
	v_and_b32_e32 v165, 0x100000, v165
	v_and_b32_e32 v135, 0x10000000, v135
	;; [unrolled: 1-line block ×8, first 2 shown]
	v_or3_b32 v145, v145, v131, v146
	v_or3_b32 v131, v131, v147, v148
	;; [unrolled: 1-line block ×11, first 2 shown]
	v_and_b32_e32 v172, 0x100000, v172
	v_and_b32_e32 v138, 0x10000000, v138
	v_or3_b32 v135, v137, v165, v135
	v_or3_b32 v137, v166, v139, v167
	;; [unrolled: 1-line block ×4, first 2 shown]
	v_lshrrev_b32_e32 v131, 16, v131
	v_and_b32_e32 v151, 0x1f00, v145
	v_lshlrev_b16 v145, 8, v145
	v_and_b32_e32 v152, 0x1f00, v146
	v_lshlrev_b16 v146, 8, v146
	v_lshrrev_b32_e32 v134, 16, v134
	v_and_b32_e32 v153, 0x1f00, v132
	v_lshlrev_b16 v132, 8, v132
	v_and_b32_e32 v154, 0x1f00, v147
	v_lshlrev_b16 v147, 8, v147
	;; [unrolled: 5-line block ×3, first 2 shown]
	v_or3_b32 v138, v140, v172, v138
	v_lshrrev_b32_e32 v139, 16, v139
	v_and_b32_e32 v157, 0x1f00, v137
	v_lshlrev_b16 v137, 8, v137
	v_and_b32_e32 v158, 0x1f00, v149
	v_lshlrev_b16 v149, 8, v149
	v_lshrrev_b32_e32 v130, 16, v130
	v_add_nc_u16 v151, 0xf000, v151
	v_add_nc_u16 v145, 0xf000, v145
	v_add_nc_u16 v146, 0xf000, v146
	v_and_b32_e32 v162, 0x1f00, v131
	v_lshlrev_b16 v131, 8, v131
	v_lshrrev_b32_e32 v129, 16, v129
	v_add_nc_u16 v153, 0xf000, v153
	v_add_nc_u16 v132, 0xf000, v132
	v_add_nc_u16 v147, 0xf000, v147
	;; [unrolled: 6-line block ×4, first 2 shown]
	v_and_b32_e32 v168, 0x1f00, v139
	v_lshlrev_b16 v139, 8, v139
	v_and_b32_e32 v163, 0x1f00, v130
	v_lshlrev_b16 v130, 8, v130
	v_perm_b32 v145, v145, v151, 0xc0c0105
	v_or_b32_sdwa v146, v152, v146 dst_sel:DWORD dst_unused:UNUSED_PAD src0_sel:DWORD src1_sel:BYTE_1
	v_add_nc_u16 v151, 0xf000, v162
	v_add_nc_u16 v131, 0xf000, v131
	v_and_b32_e32 v165, 0x1f00, v129
	v_lshlrev_b16 v129, 8, v129
	v_perm_b32 v132, v132, v153, 0xc0c0105
	v_or_b32_sdwa v147, v154, v147 dst_sel:DWORD dst_unused:UNUSED_PAD src0_sel:DWORD src1_sel:BYTE_1
	v_add_nc_u16 v153, 0xf000, v164
	v_add_nc_u16 v134, 0xf000, v134
	v_lshlrev_b32_e32 v173, 4, v141
	v_lshlrev_b32_e32 v174, 11, v141
	;; [unrolled: 1-line block ×4, first 2 shown]
	v_lshrrev_b32_e32 v177, 12, v141
	v_lshrrev_b32_e32 v178, 5, v141
	v_and_b32_e32 v167, 0x1f00, v135
	v_lshlrev_b16 v135, 8, v135
	v_perm_b32 v133, v133, v155, 0xc0c0105
	v_or_b32_sdwa v148, v156, v148 dst_sel:DWORD dst_unused:UNUSED_PAD src0_sel:DWORD src1_sel:BYTE_1
	v_add_nc_u16 v155, 0xf000, v166
	v_add_nc_u16 v136, 0xf000, v136
	v_and_b32_e32 v169, 0x1f00, v138
	v_lshlrev_b16 v138, 8, v138
	v_perm_b32 v137, v137, v157, 0xc0c0105
	v_or_b32_sdwa v149, v158, v149 dst_sel:DWORD dst_unused:UNUSED_PAD src0_sel:DWORD src1_sel:BYTE_1
	v_add_nc_u16 v157, 0xf000, v168
	v_add_nc_u16 v139, 0xf000, v139
	;; [unrolled: 1-line block ×4, first 2 shown]
	v_perm_b32 v131, v131, v151, 0xc0c0105
	v_add_nc_u16 v146, 0xf000, v146
	v_add_nc_u16 v154, 0xf000, v165
	;; [unrolled: 1-line block ×3, first 2 shown]
	v_perm_b32 v134, v134, v153, 0xc0c0105
	v_add_nc_u16 v147, 0xf000, v147
	v_and_b32_e32 v143, 0xf0f0f0f, v143
	v_lshlrev_b32_e32 v179, 2, v141
	v_lshlrev_b32_e32 v141, 9, v141
	v_and_b32_e32 v173, 16, v173
	v_and_b32_e32 v174, 0x1000, v174
	;; [unrolled: 1-line block ×6, first 2 shown]
	v_add_nc_u16 v156, 0xf000, v167
	v_add_nc_u16 v135, 0xf000, v135
	v_perm_b32 v136, v136, v155, 0xc0c0105
	v_add_nc_u16 v148, 0xf000, v148
	v_add_nc_u16 v158, 0xf000, v169
	;; [unrolled: 1-line block ×3, first 2 shown]
	v_perm_b32 v139, v139, v157, 0xc0c0105
	v_add_nc_u16 v149, 0xf000, v149
	v_perm_b32 v130, v130, v152, 0xc0c0105
	v_lshl_or_b32 v131, v131, 16, v145
	v_and_b32_e32 v145, 0xffff, v146
	v_perm_b32 v129, v129, v154, 0xc0c0105
	v_lshl_or_b32 v132, v134, 16, v132
	v_and_b32_e32 v134, 0xffff, v147
	v_and_b32_e32 v179, 0x100000, v179
	;; [unrolled: 1-line block ×3, first 2 shown]
	v_or3_b32 v140, v173, v142, v174
	v_or3_b32 v142, v142, v175, v176
	v_or3_b32 v150, v177, v143, v178
	v_perm_b32 v135, v135, v156, 0xc0c0105
	v_lshl_or_b32 v133, v136, 16, v133
	v_and_b32_e32 v136, 0xffff, v148
	v_perm_b32 v138, v138, v158, 0xc0c0105
	v_lshl_or_b32 v137, v139, 16, v137
	v_and_b32_e32 v139, 0xffff, v149
	v_lshl_or_b32 v130, v130, 16, v145
	v_lshl_or_b32 v129, v129, 16, v134
	v_lshlrev_b32_e32 v180, 4, v127
	v_lshlrev_b32_e32 v181, 11, v127
	;; [unrolled: 1-line block ×4, first 2 shown]
	v_or3_b32 v141, v143, v179, v141
	v_lshrrev_b32_e32 v142, 16, v142
	v_and_b32_e32 v159, 0x1f00, v140
	v_lshlrev_b16 v140, 8, v140
	v_and_b32_e32 v160, 0x1f00, v150
	v_lshlrev_b16 v150, 8, v150
	v_lshl_or_b32 v134, v135, 16, v136
	v_lshl_or_b32 v135, v138, 16, v139
	s_waitcnt vmcnt(10)
	v_and_b32_e32 v144, 0xf0f0f0f, v128
	v_lshrrev_b32_e32 v128, 4, v128
	v_lshrrev_b32_e32 v184, 12, v127
	ds_write2_b32 v5, v131, v130 offset1:1
	ds_write2_b32 v6, v132, v129 offset1:1
	;; [unrolled: 1-line block ×4, first 2 shown]
	v_lshrrev_b32_e32 v129, 5, v127
	v_lshlrev_b32_e32 v130, 2, v127
	v_lshlrev_b32_e32 v127, 9, v127
	v_and_b32_e32 v180, 16, v180
	v_and_b32_e32 v181, 0x1000, v181
	;; [unrolled: 1-line block ×4, first 2 shown]
	v_lshrrev_b32_e32 v141, 16, v141
	v_add_nc_u16 v159, 0xf000, v159
	v_add_nc_u16 v140, 0xf000, v140
	;; [unrolled: 1-line block ×3, first 2 shown]
	v_and_b32_e32 v170, 0x1f00, v142
	v_lshlrev_b16 v142, 8, v142
	v_and_b32_e32 v128, 0xf0f0f0f, v128
	v_and_b32_e32 v130, 0x100000, v130
	v_and_b32_e32 v127, 0x10000000, v127
	v_or3_b32 v143, v180, v144, v181
	v_or3_b32 v144, v144, v182, v183
	v_and_b32_e32 v171, 0x1f00, v141
	v_lshlrev_b16 v141, 8, v141
	v_perm_b32 v140, v140, v159, 0xc0c0105
	v_or_b32_sdwa v150, v160, v150 dst_sel:DWORD dst_unused:UNUSED_PAD src0_sel:DWORD src1_sel:BYTE_1
	v_add_nc_u16 v159, 0xf000, v170
	v_add_nc_u16 v142, 0xf000, v142
	v_and_b32_e32 v131, 16, v184
	v_and_b32_e32 v129, 0x1000, v129
	v_or3_b32 v130, v128, v130, v127
	v_add_co_u32 v127, s1, v89, s8
	v_lshrrev_b32_e32 v144, 16, v144
	v_add_nc_u16 v160, 0xf000, v171
	v_add_nc_u16 v141, 0xf000, v141
	v_perm_b32 v142, v142, v159, 0xc0c0105
	v_add_nc_u16 v150, 0xf000, v150
	v_or3_b32 v129, v131, v128, v129
	v_add_co_ci_u32_e64 v128, null, s19, v90, s1
	v_perm_b32 v141, v141, v160, 0xc0c0105
	v_lshl_or_b32 v140, v142, 16, v140
	v_and_b32_e32 v142, 0xffff, v150
	v_and_b32_e32 v133, 0x1f00, v144
	v_lshlrev_b16 v135, 8, v129
	global_load_dword v128, v[127:128], off
	v_and_b32_e32 v134, 0x1f00, v129
	v_add_co_u32 v129, s1, v87, s8
	v_lshl_or_b32 v136, v141, 16, v142
	v_add_nc_u16 v131, 0xf000, v133
	v_lshrrev_b32_e32 v133, 16, v130
	v_add_co_ci_u32_e64 v130, null, s19, v88, s1
	v_add_nc_u16 v135, 0xf000, v135
	v_and_b32_e32 v161, 0x1f00, v143
	v_lshlrev_b16 v143, 8, v143
	ds_write2_b32 v9, v140, v136 offset1:1
	v_lshlrev_b16 v136, 8, v144
	v_and_b32_e32 v137, 0x1f00, v133
	v_lshlrev_b16 v133, 8, v133
	global_load_dword v127, v[129:130], off
	v_or_b32_sdwa v129, v134, v135 dst_sel:DWORD dst_unused:UNUSED_PAD src0_sel:DWORD src1_sel:BYTE_1
	v_add_nc_u16 v161, 0xf000, v161
	v_add_nc_u16 v143, 0xf000, v143
	s_waitcnt vmcnt(10)
	v_ashrrev_i32_e32 v126, v28, v126
	v_add_nc_u16 v130, 0xf000, v136
	v_add_nc_u16 v134, 0xf000, v137
	;; [unrolled: 1-line block ×4, first 2 shown]
	v_perm_b32 v132, v143, v161, 0xc0c0105
	v_lshlrev_b32_e32 v135, 4, v126
	v_lshlrev_b32_e32 v136, 18, v126
	;; [unrolled: 1-line block ×4, first 2 shown]
	v_perm_b32 v130, v130, v131, 0xc0c0105
	v_perm_b32 v131, v133, v134, 0xc0c0105
	v_and_b32_e32 v129, 0xffff, v129
	v_and_b32_e32 v139, 0xf0f0f0f, v125
	;; [unrolled: 1-line block ×6, first 2 shown]
	v_lshrrev_b32_e32 v125, 4, v125
	v_lshl_or_b32 v132, v130, 16, v132
	v_lshl_or_b32 v131, v131, 16, v129
	v_lshrrev_b32_e32 v129, 12, v126
	v_lshrrev_b32_e32 v130, 5, v126
	v_or3_b32 v133, v139, v136, v137
	v_or3_b32 v134, v135, v139, v138
	v_and_b32_e32 v136, 0xf0f0f0f, v125
	v_and_b32_e32 v139, 16, v129
	;; [unrolled: 1-line block ×3, first 2 shown]
	v_add_co_u32 v125, s1, v93, s8
	v_lshlrev_b32_e32 v137, 2, v126
	v_lshlrev_b32_e32 v138, 9, v126
	v_add_co_ci_u32_e64 v126, null, s19, v94, s1
	v_add_co_u32 v129, s1, v91, s8
	v_add_co_ci_u32_e64 v130, null, s19, v92, s1
	v_or3_b32 v139, v139, v136, v140
	v_lshrrev_b32_e32 v133, 16, v133
	v_and_b32_e32 v135, 0x1f00, v134
	v_lshlrev_b16 v134, 8, v134
	v_and_b32_e32 v137, 0x100000, v137
	v_and_b32_e32 v138, 0x10000000, v138
	global_load_dword v126, v[125:126], off
	global_load_dword v125, v[129:130], off
	v_lshlrev_b16 v130, 8, v139
	v_add_nc_u16 v129, 0xf000, v134
	v_and_b32_e32 v134, 0x1f00, v133
	v_lshlrev_b16 v133, 8, v133
	v_or3_b32 v136, v136, v137, v138
	v_and_b32_e32 v137, 0x1f00, v139
	v_add_nc_u16 v130, 0xf000, v130
	v_add_nc_u16 v135, 0xf000, v135
	v_add_nc_u16 v134, 0xf000, v134
	v_add_nc_u16 v133, 0xf000, v133
	v_lshrrev_b32_e32 v136, 16, v136
	v_or_b32_sdwa v130, v137, v130 dst_sel:DWORD dst_unused:UNUSED_PAD src0_sel:DWORD src1_sel:BYTE_1
	v_perm_b32 v129, v129, v135, 0xc0c0105
	s_waitcnt vmcnt(10)
	v_ashrrev_i32_e32 v124, v28, v124
	v_perm_b32 v133, v133, v134, 0xc0c0105
	v_and_b32_e32 v138, 0x1f00, v136
	v_lshlrev_b16 v136, 8, v136
	v_add_nc_u16 v130, 0xf000, v130
	ds_write2_b32 v10, v132, v131 offset1:1
	v_lshl_or_b32 v131, v133, 16, v129
	v_lshlrev_b32_e32 v129, 18, v124
	v_add_nc_u16 v134, 0xf000, v138
	v_add_nc_u16 v135, 0xf000, v136
	v_and_b32_e32 v133, 0xffff, v130
	v_lshlrev_b32_e32 v130, 25, v124
	v_and_b32_e32 v137, 0x100000, v129
	v_add_co_u32 v129, s1, v97, s8
	v_perm_b32 v132, v135, v134, 0xc0c0105
	v_and_b32_e32 v134, 0xf0f0f0f, v123
	v_lshlrev_b32_e32 v135, 4, v124
	v_lshlrev_b32_e32 v136, 11, v124
	v_and_b32_e32 v138, 0x10000000, v130
	v_add_co_ci_u32_e64 v130, null, s19, v98, s1
	v_lshl_or_b32 v132, v132, 16, v133
	v_and_b32_e32 v133, 16, v135
	v_and_b32_e32 v135, 0x1000, v136
	v_or3_b32 v136, v134, v137, v138
	global_load_dword v137, v[129:130], off
	v_add_co_u32 v129, s1, v95, s8
	v_add_co_ci_u32_e64 v130, null, s19, v96, s1
	ds_write2_b32 v11, v131, v132 offset1:1
	v_or3_b32 v131, v133, v134, v135
	v_lshrrev_b32_e32 v132, 16, v136
	global_load_dword v129, v[129:130], off
	v_lshrrev_b32_e32 v123, 4, v123
	v_lshlrev_b32_e32 v130, 2, v124
	v_lshlrev_b32_e32 v133, 9, v124
	v_and_b32_e32 v135, 0x1f00, v132
	v_lshlrev_b16 v132, 8, v132
	v_and_b32_e32 v123, 0xf0f0f0f, v123
	v_and_b32_e32 v130, 0x100000, v130
	;; [unrolled: 1-line block ×4, first 2 shown]
	v_lshlrev_b16 v131, 8, v131
	v_add_nc_u16 v132, 0xf000, v132
	s_waitcnt vmcnt(11)
	v_and_b32_e32 v136, 0xf0f0f0f, v121
	v_or3_b32 v130, v123, v130, v133
	v_add_nc_u16 v133, 0xf000, v135
	v_lshrrev_b32_e32 v135, 12, v124
	v_lshrrev_b32_e32 v124, 5, v124
	v_add_nc_u16 v134, 0xf000, v134
	v_add_nc_u16 v131, 0xf000, v131
	v_lshrrev_b32_e32 v130, 16, v130
	v_perm_b32 v132, v132, v133, 0xc0c0105
	v_and_b32_e32 v133, 16, v135
	v_and_b32_e32 v124, 0x1000, v124
	v_perm_b32 v131, v131, v134, 0xc0c0105
	s_waitcnt vmcnt(10)
	v_ashrrev_i32_e32 v135, v28, v122
	v_and_b32_e32 v134, 0x1f00, v130
	v_lshrrev_b32_e32 v121, 4, v121
	v_or3_b32 v122, v133, v123, v124
	v_lshl_or_b32 v131, v132, 16, v131
	v_lshlrev_b32_e32 v123, 4, v135
	v_lshlrev_b32_e32 v132, 11, v135
	v_add_nc_u16 v124, 0xf000, v134
	v_and_b32_e32 v133, 0x1f00, v122
	v_lshlrev_b16 v134, 8, v122
	v_add_co_u32 v122, s1, v101, s8
	v_and_b32_e32 v138, 16, v123
	v_and_b32_e32 v132, 0x1000, v132
	v_lshlrev_b32_e32 v139, 18, v135
	v_lshlrev_b32_e32 v140, 25, v135
	v_add_co_ci_u32_e64 v123, null, s19, v102, s1
	v_or3_b32 v132, v138, v136, v132
	v_and_b32_e32 v138, 0x100000, v139
	v_and_b32_e32 v139, 0x10000000, v140
	global_load_dword v140, v[122:123], off
	v_add_nc_u16 v134, 0xf000, v134
	v_add_co_u32 v122, s1, v99, s8
	v_add_co_ci_u32_e64 v123, null, s19, v100, s1
	v_or_b32_sdwa v133, v133, v134 dst_sel:DWORD dst_unused:UNUSED_PAD src0_sel:DWORD src1_sel:BYTE_1
	v_or3_b32 v134, v136, v138, v139
	v_lshrrev_b32_e32 v138, 12, v135
	global_load_dword v136, v[122:123], off
	v_and_b32_e32 v121, 0xf0f0f0f, v121
	v_add_nc_u16 v122, 0xf000, v133
	v_lshrrev_b32_e32 v123, 16, v134
	v_lshlrev_b32_e32 v133, 2, v135
	v_lshlrev_b32_e32 v134, 9, v135
	v_lshrrev_b32_e32 v135, 5, v135
	v_and_b32_e32 v138, 16, v138
	v_and_b32_e32 v139, 0x1f00, v123
	;; [unrolled: 1-line block ×5, first 2 shown]
	v_lshlrev_b16 v123, 8, v123
	v_lshlrev_b16 v130, 8, v130
	s_waitcnt vmcnt(10)
	v_ashrrev_i32_e32 v4, v28, v4
	v_or3_b32 v133, v121, v133, v134
	v_or3_b32 v121, v138, v121, v135
	v_add_nc_u16 v134, 0xf000, v139
	v_add_nc_u16 v123, 0xf000, v123
	v_and_b32_e32 v135, 0xffff, v122
	v_add_nc_u16 v130, 0xf000, v130
	v_lshlrev_b16 v122, 8, v121
	v_lshrrev_b32_e32 v133, 16, v133
	v_perm_b32 v123, v123, v134, 0xc0c0105
	v_and_b32_e32 v134, 0x1f00, v121
	v_add_co_u32 v121, s1, v106, s8
	v_add_nc_u16 v138, 0xf000, v122
	v_add_co_ci_u32_e64 v122, null, s19, v107, s1
	v_perm_b32 v124, v130, v124, 0xc0c0105
	v_and_b32_e32 v130, 0x1f00, v132
	v_or_b32_sdwa v134, v134, v138 dst_sel:DWORD dst_unused:UNUSED_PAD src0_sel:DWORD src1_sel:BYTE_1
	global_load_dword v138, v[121:122], off
	v_add_co_u32 v121, s1, v104, s8
	v_lshlrev_b16 v132, 8, v132
	v_add_co_ci_u32_e64 v122, null, s19, v105, s1
	v_add_nc_u16 v130, 0xf000, v130
	v_lshlrev_b32_e32 v139, 4, v4
	v_add_nc_u16 v132, 0xf000, v132
	global_load_dword v143, v[121:122], off
	v_lshlrev_b32_e32 v141, 11, v4
	v_add_nc_u16 v134, 0xf000, v134
	v_lshlrev_b32_e32 v142, 18, v4
	v_perm_b32 v130, v132, v130, 0xc0c0105
	v_and_b32_e32 v132, 0x1f00, v133
	v_lshlrev_b16 v133, 8, v133
	v_lshlrev_b32_e32 v121, 25, v4
	v_and_b32_e32 v122, 0xf0f0f0f, v3
	v_and_b32_e32 v139, 16, v139
	v_add_nc_u16 v132, 0xf000, v132
	v_add_nc_u16 v133, 0xf000, v133
	v_and_b32_e32 v141, 0x1000, v141
	v_and_b32_e32 v142, 0x100000, v142
	;; [unrolled: 1-line block ×3, first 2 shown]
	v_lshl_or_b32 v124, v124, 16, v135
	v_perm_b32 v132, v133, v132, 0xc0c0105
	v_and_b32_e32 v133, 0xffff, v134
	v_or3_b32 v134, v139, v122, v141
	v_or3_b32 v121, v122, v142, v121
	v_lshl_or_b32 v122, v123, 16, v130
	v_lshrrev_b32_e32 v3, 4, v3
	v_lshl_or_b32 v123, v132, 16, v133
	v_lshlrev_b16 v132, 8, v134
	ds_write2_b32 v12, v131, v124 offset1:1
	ds_write2_b32 v13, v122, v123 offset1:1
	v_lshrrev_b32_e32 v123, 12, v4
	v_add_nc_u16 v131, 0xf000, v132
	v_lshrrev_b32_e32 v124, 5, v4
	v_lshlrev_b32_e32 v132, 2, v4
	v_lshlrev_b32_e32 v4, 9, v4
	v_lshrrev_b32_e32 v121, 16, v121
	v_and_b32_e32 v133, 0xf0f0f0f, v3
	v_add_co_u32 v3, s1, v108, s8
	v_and_b32_e32 v130, 0x1f00, v134
	v_and_b32_e32 v123, 16, v123
	;; [unrolled: 1-line block ×5, first 2 shown]
	v_add_co_ci_u32_e64 v4, null, s19, v110, s1
	v_and_b32_e32 v122, 0x1f00, v121
	v_lshlrev_b16 v121, 8, v121
	v_or3_b32 v141, v123, v133, v124
	v_or3_b32 v132, v133, v132, v134
	global_load_ushort v133, v[3:4], off
	v_add_co_u32 v3, s1, v111, s8
	v_add_nc_u16 v139, 0xf000, v121
	v_add_co_ci_u32_e64 v4, null, s19, v112, s1
	v_add_co_u32 v121, s1, v113, s8
	v_add_nc_u16 v135, 0xf000, v122
	v_add_co_ci_u32_e64 v122, null, s19, v114, s1
	v_add_co_u32 v123, s1, v115, s8
	v_add_co_ci_u32_e64 v124, null, s19, v116, s1
	global_load_ushort v3, v[3:4], off
	global_load_ushort v4, v[121:122], off
	;; [unrolled: 1-line block ×3, first 2 shown]
	v_add_nc_u16 v130, 0xf000, v130
	s_waitcnt vmcnt(14)
	v_ashrrev_i32_e32 v2, v28, v2
	v_lshlrev_b16 v123, 8, v141
	v_perm_b32 v124, v139, v135, 0xc0c0105
	v_lshrrev_b32_e32 v132, 16, v132
	v_perm_b32 v122, v131, v130, 0xc0c0105
	v_lshlrev_b32_e32 v131, 4, v2
	v_lshlrev_b32_e32 v135, 11, v2
	v_and_b32_e32 v134, 0x1f00, v141
	v_add_nc_u16 v123, 0xf000, v123
	v_and_b32_e32 v139, 0xf0f0f0f, v1
	v_and_b32_e32 v131, 16, v131
	v_lshlrev_b32_e32 v141, 18, v2
	v_lshlrev_b32_e32 v142, 25, v2
	v_and_b32_e32 v135, 0x1000, v135
	v_and_b32_e32 v130, 0x1f00, v132
	v_lshlrev_b16 v132, 8, v132
	v_or_b32_sdwa v123, v134, v123 dst_sel:DWORD dst_unused:UNUSED_PAD src0_sel:DWORD src1_sel:BYTE_1
	v_and_b32_e32 v134, 0x100000, v141
	v_and_b32_e32 v141, 0x10000000, v142
	v_or3_b32 v131, v131, v139, v135
	v_add_nc_u16 v130, 0xf000, v130
	v_add_nc_u16 v132, 0xf000, v132
	v_lshl_or_b32 v122, v124, 16, v122
	v_or3_b32 v134, v139, v134, v141
	v_and_b32_e32 v135, 0x1f00, v131
	v_lshrrev_b32_e32 v1, 4, v1
	v_perm_b32 v124, v132, v130, 0xc0c0105
	v_lshlrev_b32_e32 v139, 2, v2
	v_lshrrev_b32_e32 v130, 16, v134
	v_add_nc_u16 v132, 0xf000, v135
	v_lshrrev_b32_e32 v134, 12, v2
	v_lshrrev_b32_e32 v135, 5, v2
	v_lshlrev_b32_e32 v2, 9, v2
	v_add_nc_u16 v123, 0xf000, v123
	v_and_b32_e32 v1, 0xf0f0f0f, v1
	v_and_b32_e32 v134, 16, v134
	;; [unrolled: 1-line block ×6, first 2 shown]
	v_lshlrev_b16 v131, 8, v131
	v_and_b32_e32 v141, 0x1f00, v130
	v_lshlrev_b16 v130, 8, v130
	v_or3_b32 v134, v134, v1, v135
	v_or3_b32 v1, v1, v139, v2
	v_add_nc_u16 v131, 0xf000, v131
	v_add_nc_u16 v2, 0xf000, v141
	;; [unrolled: 1-line block ×3, first 2 shown]
	v_lshl_or_b32 v123, v124, 16, v123
	v_lshlrev_b16 v124, 8, v134
	v_lshrrev_b32_e32 v1, 16, v1
	v_perm_b32 v131, v131, v132, 0xc0c0105
	v_perm_b32 v2, v130, v2, 0xc0c0105
	v_and_b32_e32 v130, 0x1f00, v134
	v_add_nc_u16 v124, 0xf000, v124
	v_and_b32_e32 v132, 0x1f00, v1
	s_waitcnt vmcnt(13)
	v_ashrrev_i32_e32 v128, v28, v128
	v_lshlrev_b16 v1, 8, v1
	v_lshl_or_b32 v2, v2, 16, v131
	v_or_b32_sdwa v124, v130, v124 dst_sel:DWORD dst_unused:UNUSED_PAD src0_sel:DWORD src1_sel:BYTE_1
	v_add_nc_u16 v130, 0xf000, v132
	v_lshlrev_b32_e32 v131, 4, v128
	v_lshlrev_b32_e32 v132, 11, v128
	v_add_nc_u16 v1, 0xf000, v1
	s_waitcnt vmcnt(12)
	v_and_b32_e32 v134, 0xf0f0f0f, v127
	v_lshlrev_b32_e32 v135, 25, v128
	v_and_b32_e32 v131, 16, v131
	v_and_b32_e32 v132, 0x1000, v132
	v_perm_b32 v1, v1, v130, 0xc0c0105
	v_lshlrev_b32_e32 v130, 18, v128
	v_lshrrev_b32_e32 v127, 4, v127
	v_lshlrev_b32_e32 v139, 9, v128
	v_or3_b32 v131, v131, v134, v132
	v_and_b32_e32 v132, 0x10000000, v135
	v_lshlrev_b32_e32 v135, 2, v128
	v_and_b32_e32 v130, 0x100000, v130
	v_lshrrev_b32_e32 v141, 12, v128
	v_lshrrev_b32_e32 v128, 5, v128
	v_and_b32_e32 v127, 0xf0f0f0f, v127
	v_and_b32_e32 v135, 0x100000, v135
	;; [unrolled: 1-line block ×3, first 2 shown]
	v_or3_b32 v130, v134, v130, v132
	v_and_b32_e32 v132, 16, v141
	v_and_b32_e32 v128, 0x1000, v128
	;; [unrolled: 1-line block ×3, first 2 shown]
	v_or3_b32 v135, v127, v135, v139
	v_lshrrev_b32_e32 v130, 16, v130
	v_lshlrev_b16 v131, 8, v131
	v_or3_b32 v127, v132, v127, v128
	v_add_nc_u16 v128, 0xf000, v134
	v_lshrrev_b32_e32 v132, 16, v135
	v_and_b32_e32 v134, 0x1f00, v130
	v_lshlrev_b16 v130, 8, v130
	v_lshlrev_b16 v135, 8, v127
	v_and_b32_e32 v127, 0x1f00, v127
	v_and_b32_e32 v139, 0x1f00, v132
	v_lshlrev_b16 v132, 8, v132
	v_add_nc_u16 v131, 0xf000, v131
	v_add_nc_u16 v135, 0xf000, v135
	;; [unrolled: 1-line block ×6, first 2 shown]
	v_or_b32_sdwa v127, v127, v135 dst_sel:DWORD dst_unused:UNUSED_PAD src0_sel:DWORD src1_sel:BYTE_1
	v_add_nc_u16 v124, 0xf000, v124
	v_perm_b32 v128, v131, v128, 0xc0c0105
	v_perm_b32 v130, v130, v134, 0xc0c0105
	;; [unrolled: 1-line block ×3, first 2 shown]
	v_add_nc_u16 v127, 0xf000, v127
	s_waitcnt vmcnt(11)
	v_ashrrev_i32_e32 v126, v28, v126
	v_and_b32_e32 v124, 0xffff, v124
	s_waitcnt vmcnt(10)
	v_and_b32_e32 v135, 0xf0f0f0f, v125
	v_lshl_or_b32 v128, v130, 16, v128
	v_and_b32_e32 v127, 0xffff, v127
	v_lshlrev_b32_e32 v132, 4, v126
	v_lshlrev_b32_e32 v134, 11, v126
	;; [unrolled: 1-line block ×4, first 2 shown]
	v_lshl_or_b32 v1, v1, 16, v124
	v_and_b32_e32 v132, 16, v132
	v_and_b32_e32 v134, 0x1000, v134
	;; [unrolled: 1-line block ×4, first 2 shown]
	v_lshl_or_b32 v127, v131, 16, v127
	ds_write2_b32 v14, v122, v123 offset1:1
	v_or3_b32 v124, v132, v135, v134
	ds_write2_b32 v15, v2, v1 offset1:1
	ds_write2_b32 v16, v128, v127 offset1:1
	v_or3_b32 v130, v135, v139, v141
	v_lshrrev_b32_e32 v2, 4, v125
	v_and_b32_e32 v122, 0x1f00, v124
	v_lshlrev_b16 v123, 8, v124
	v_lshlrev_b32_e32 v124, 2, v126
	v_lshlrev_b32_e32 v125, 9, v126
	v_lshrrev_b32_e32 v127, 12, v126
	v_lshrrev_b32_e32 v126, 5, v126
	;; [unrolled: 1-line block ×3, first 2 shown]
	v_and_b32_e32 v2, 0xf0f0f0f, v2
	v_and_b32_e32 v124, 0x100000, v124
	;; [unrolled: 1-line block ×5, first 2 shown]
	v_add_nc_u16 v122, 0xf000, v122
	v_and_b32_e32 v128, 0x1f00, v1
	v_or3_b32 v124, v2, v124, v125
	v_add_nc_u16 v123, 0xf000, v123
	v_or3_b32 v2, v127, v2, v126
	v_lshlrev_b16 v1, 8, v1
	v_add_nc_u16 v125, 0xf000, v128
	v_lshrrev_b32_e32 v124, 16, v124
	s_waitcnt vmcnt(9)
	v_ashrrev_i32_e32 v126, v28, v137
	v_perm_b32 v122, v123, v122, 0xc0c0105
	v_lshlrev_b16 v123, 8, v2
	v_add_nc_u16 v1, 0xf000, v1
	v_and_b32_e32 v2, 0x1f00, v2
	v_lshlrev_b32_e32 v127, 4, v126
	v_lshlrev_b32_e32 v128, 11, v126
	v_add_nc_u16 v123, 0xf000, v123
	s_waitcnt vmcnt(8)
	v_and_b32_e32 v130, 0xf0f0f0f, v129
	v_lshlrev_b32_e32 v131, 18, v126
	v_and_b32_e32 v127, 16, v127
	v_lshlrev_b32_e32 v132, 25, v126
	v_and_b32_e32 v128, 0x1000, v128
	v_perm_b32 v1, v1, v125, 0xc0c0105
	v_and_b32_e32 v125, 0x1f00, v124
	v_lshlrev_b16 v124, 8, v124
	v_or_b32_sdwa v2, v2, v123 dst_sel:DWORD dst_unused:UNUSED_PAD src0_sel:DWORD src1_sel:BYTE_1
	v_and_b32_e32 v123, 0x100000, v131
	v_and_b32_e32 v131, 0x10000000, v132
	v_or3_b32 v127, v127, v130, v128
	v_add_nc_u16 v125, 0xf000, v125
	v_add_nc_u16 v124, 0xf000, v124
	v_lshl_or_b32 v1, v1, 16, v122
	v_or3_b32 v123, v130, v123, v131
	v_and_b32_e32 v128, 0x1f00, v127
	v_lshlrev_b32_e32 v130, 2, v126
	v_perm_b32 v122, v124, v125, 0xc0c0105
	v_lshlrev_b16 v125, 8, v127
	v_lshrrev_b32_e32 v123, 16, v123
	v_add_nc_u16 v124, 0xf000, v128
	v_lshrrev_b32_e32 v127, 4, v129
	v_lshrrev_b32_e32 v128, 12, v126
	v_lshrrev_b32_e32 v129, 5, v126
	v_lshlrev_b32_e32 v126, 9, v126
	v_add_nc_u16 v2, 0xf000, v2
	v_and_b32_e32 v127, 0xf0f0f0f, v127
	v_and_b32_e32 v128, 16, v128
	;; [unrolled: 1-line block ×6, first 2 shown]
	v_lshlrev_b16 v123, 8, v123
	v_and_b32_e32 v2, 0xffff, v2
	v_add_nc_u16 v125, 0xf000, v125
	v_or3_b32 v128, v128, v127, v129
	v_or3_b32 v126, v127, v130, v126
	v_add_nc_u16 v127, 0xf000, v131
	v_add_nc_u16 v123, 0xf000, v123
	v_lshl_or_b32 v2, v122, 16, v2
	v_lshlrev_b16 v122, 8, v128
	v_lshrrev_b32_e32 v126, 16, v126
	v_perm_b32 v124, v125, v124, 0xc0c0105
	v_perm_b32 v123, v123, v127, 0xc0c0105
	v_and_b32_e32 v125, 0x1f00, v128
	v_add_nc_u16 v122, 0xf000, v122
	v_and_b32_e32 v127, 0x1f00, v126
	s_waitcnt vmcnt(7)
	v_ashrrev_i32_e32 v128, v28, v140
	v_lshl_or_b32 v123, v123, 16, v124
	v_lshlrev_b16 v124, 8, v126
	v_or_b32_sdwa v122, v125, v122 dst_sel:DWORD dst_unused:UNUSED_PAD src0_sel:DWORD src1_sel:BYTE_1
	v_add_nc_u16 v125, 0xf000, v127
	v_lshlrev_b32_e32 v126, 4, v128
	v_lshlrev_b32_e32 v127, 11, v128
	v_add_nc_u16 v124, 0xf000, v124
	s_waitcnt vmcnt(6)
	v_and_b32_e32 v129, 0xf0f0f0f, v136
	v_lshlrev_b32_e32 v130, 25, v128
	v_and_b32_e32 v126, 16, v126
	v_and_b32_e32 v127, 0x1000, v127
	v_perm_b32 v124, v124, v125, 0xc0c0105
	v_lshlrev_b32_e32 v125, 18, v128
	v_and_b32_e32 v130, 0x10000000, v130
	v_lshlrev_b32_e32 v131, 2, v128
	v_or3_b32 v126, v126, v129, v127
	v_lshrrev_b32_e32 v127, 4, v136
	v_and_b32_e32 v125, 0x100000, v125
	v_lshlrev_b32_e32 v132, 9, v128
	v_lshrrev_b32_e32 v134, 12, v128
	v_lshrrev_b32_e32 v128, 5, v128
	v_and_b32_e32 v127, 0xf0f0f0f, v127
	v_and_b32_e32 v131, 0x100000, v131
	;; [unrolled: 1-line block ×3, first 2 shown]
	v_or3_b32 v125, v129, v125, v130
	v_and_b32_e32 v129, 16, v134
	v_and_b32_e32 v128, 0x1000, v128
	;; [unrolled: 1-line block ×3, first 2 shown]
	v_or3_b32 v131, v127, v131, v132
	v_lshrrev_b32_e32 v125, 16, v125
	v_lshlrev_b16 v126, 8, v126
	v_or3_b32 v127, v129, v127, v128
	v_add_nc_u16 v128, 0xf000, v130
	v_lshrrev_b32_e32 v129, 16, v131
	v_and_b32_e32 v130, 0x1f00, v125
	v_lshlrev_b16 v125, 8, v125
	v_lshlrev_b16 v131, 8, v127
	v_and_b32_e32 v127, 0x1f00, v127
	v_and_b32_e32 v132, 0x1f00, v129
	v_lshlrev_b16 v129, 8, v129
	v_add_nc_u16 v126, 0xf000, v126
	v_add_nc_u16 v131, 0xf000, v131
	;; [unrolled: 1-line block ×6, first 2 shown]
	v_or_b32_sdwa v127, v127, v131 dst_sel:DWORD dst_unused:UNUSED_PAD src0_sel:DWORD src1_sel:BYTE_1
	s_waitcnt vmcnt(5)
	v_ashrrev_i32_e32 v131, v28, v138
	v_perm_b32 v126, v126, v128, 0xc0c0105
	v_perm_b32 v125, v125, v130, 0xc0c0105
	;; [unrolled: 1-line block ×3, first 2 shown]
	s_waitcnt vmcnt(4)
	v_lshrrev_b32_e32 v136, 4, v143
	v_lshlrev_b32_e32 v129, 4, v131
	v_lshlrev_b32_e32 v130, 11, v131
	;; [unrolled: 1-line block ×4, first 2 shown]
	v_lshrrev_b32_e32 v137, 12, v131
	v_lshrrev_b32_e32 v138, 5, v131
	v_and_b32_e32 v132, 0xf0f0f0f, v143
	v_and_b32_e32 v129, 16, v129
	;; [unrolled: 1-line block ×6, first 2 shown]
	v_lshlrev_b32_e32 v139, 2, v131
	v_lshlrev_b32_e32 v131, 9, v131
	v_and_b32_e32 v137, 16, v137
	v_and_b32_e32 v138, 0x1000, v138
	v_or3_b32 v129, v129, v132, v130
	v_and_b32_e32 v130, 0x100000, v139
	v_and_b32_e32 v131, 0x10000000, v131
	v_or3_b32 v132, v132, v134, v135
	v_or3_b32 v134, v137, v136, v138
	v_and_b32_e32 v135, 0x1f00, v129
	v_lshlrev_b16 v129, 8, v129
	v_or3_b32 v130, v136, v130, v131
	v_lshrrev_b32_e32 v131, 16, v132
	v_lshlrev_b16 v132, 8, v134
	v_and_b32_e32 v134, 0x1f00, v134
	v_add_nc_u16 v122, 0xf000, v122
	v_lshrrev_b32_e32 v130, 16, v130
	v_and_b32_e32 v136, 0x1f00, v131
	v_add_nc_u16 v132, 0xf000, v132
	v_lshlrev_b16 v131, 8, v131
	v_add_nc_u16 v127, 0xf000, v127
	v_and_b32_e32 v137, 0x1f00, v130
	v_lshlrev_b16 v130, 8, v130
	v_or_b32_sdwa v132, v134, v132 dst_sel:DWORD dst_unused:UNUSED_PAD src0_sel:DWORD src1_sel:BYTE_1
	v_add_nc_u16 v135, 0xf000, v135
	v_add_nc_u16 v129, 0xf000, v129
	;; [unrolled: 1-line block ×7, first 2 shown]
	v_and_b32_e32 v122, 0xffff, v122
	v_and_b32_e32 v127, 0xffff, v127
	v_perm_b32 v129, v129, v135, 0xc0c0105
	v_perm_b32 v131, v131, v134, 0xc0c0105
	;; [unrolled: 1-line block ×3, first 2 shown]
	v_and_b32_e32 v132, 0xffff, v132
	v_lshl_or_b32 v122, v124, 16, v122
	ds_write2_b32 v17, v1, v2 offset1:1
	s_waitcnt vmcnt(3)
	v_cvt_f32_f16_e32 v1, v133
	v_lshl_or_b32 v124, v125, 16, v126
	v_lshl_or_b32 v125, v128, 16, v127
	;; [unrolled: 1-line block ×4, first 2 shown]
	ds_write2_b32 v18, v123, v122 offset1:1
	ds_write2_b32 v19, v124, v125 offset1:1
	ds_write2_b32 v20, v126, v127 offset1:1
	s_waitcnt vmcnt(2)
	v_cvt_f32_f16_e32 v2, v3
	ds_write_b32 v117, v1
	s_waitcnt vmcnt(1)
	v_cvt_f32_f16_e32 v1, v4
	s_waitcnt vmcnt(0)
	v_cvt_f32_f16_e32 v3, v121
	s_add_i32 s1, s10, 0xffffff80
	ds_write_b32 v118, v2
	s_cmp_lt_i32 s1, s9
	ds_write_b32 v119, v1
	ds_write_b32 v120, v3
	s_cbranch_scc0 .LBB222_5
; %bb.7:                                ;   in Loop: Header=BB222_6 Depth=1
	v_add_nc_u32_e32 v1, s4, v29
	v_cmp_gt_i32_e64 s1, s12, v1
	s_and_b32 s16, s0, s1
	s_and_saveexec_b32 s1, s16
	s_cbranch_execz .LBB222_9
; %bb.8:                                ;   in Loop: Header=BB222_6 Depth=1
	v_add_nc_u32_e32 v1, s4, v41
	v_mad_i64_i32 v[1:2], null, v1, 36, v[21:22]
	global_load_dword v1, v[1:2], off offset:4
	s_waitcnt vmcnt(0)
	ds_write_b32 v31, v1
.LBB222_9:                              ;   in Loop: Header=BB222_6 Depth=1
	s_or_b32 exec_lo, exec_lo, s1
	v_add_nc_u32_e32 v121, s4, v0
	v_cmp_gt_i32_e64 s1, s12, v121
	s_and_b32 s16, s5, s1
	s_and_saveexec_b32 s1, s16
	s_cbranch_execz .LBB222_11
; %bb.10:                               ;   in Loop: Header=BB222_6 Depth=1
	v_add_nc_u32_e32 v1, s4, v42
	v_mad_i64_i32 v[1:2], null, v1, 36, s[6:7]
	global_load_dword v1, v[1:2], off
	s_waitcnt vmcnt(0)
	v_cvt_f32_f16_e32 v1, v1
	ds_write_b32 v33, v1
.LBB222_11:                             ;   in Loop: Header=BB222_6 Depth=1
	s_or_b32 exec_lo, exec_lo, s1
	v_add_nc_u32_e32 v1, 0x2080, v34
	s_waitcnt lgkmcnt(0)
	s_barrier
	buffer_gl0_inv
	ds_read_b128 v[122:125], v30
	ds_read2_b32 v[130:131], v34 offset1:1
	ds_read_b128 v[126:129], v30 offset:16
	ds_read2_b32 v[132:133], v1 offset1:1
	ds_read_b128 v[1:4], v32
	ds_read2_b32 v[134:135], v34 offset0:2 offset1:3
	v_add_nc_u32_e32 v138, 0x2088, v34
	v_add_nc_u32_e32 v146, 0x4100, v34
	ds_read2_b32 v[136:137], v34 offset0:4 offset1:5
	ds_read2_b32 v[138:139], v138 offset1:1
	ds_read2_b32 v[140:141], v38 offset1:1
	ds_read2_b32 v[142:143], v38 offset0:2 offset1:3
	ds_read2_b32 v[144:145], v34 offset0:6 offset1:7
	ds_read2_b32 v[146:147], v146 offset1:1
	ds_read2_b32 v[148:149], v34 offset0:8 offset1:9
	v_mov_b32_e32 v168, 0
	v_mov_b32_e32 v169, 0
	v_add_nc_u32_e32 v150, 0x2090, v34
	v_mov_b32_e32 v170, 0
	v_add_nc_u32_e32 v154, 0x2098, v34
	v_add_nc_u32_e32 v161, 0x6188, v34
	v_mov_b32_e32 v174, 0
	ds_read2_b32 v[150:151], v150 offset1:1
	v_add_nc_u32_e32 v160, 0x4118, v34
	ds_read2_b32 v[154:155], v154 offset1:1
	s_waitcnt lgkmcnt(11)
	v_dot4c_i32_i8 v169, v132, v122
	v_dot4c_i32_i8 v168, v130, v122
	v_add_nc_u32_e32 v130, 0x4108, v34
	v_add_nc_u32_e32 v132, 0x6180, v34
	v_mov_b32_e32 v175, 0
	v_dot4c_i32_i8 v169, v133, v126
	v_dot4c_i32_i8 v168, v131, v126
	ds_read2_b32 v[152:153], v130 offset1:1
	ds_read2_b32 v[156:157], v132 offset1:1
	v_add_nc_u32_e32 v131, 0x4110, v34
	s_waitcnt lgkmcnt(5)
	v_dot4c_i32_i8 v170, v146, v122
	v_dot4c_i32_i8 v168, v134, v123
	;; [unrolled: 1-line block ×3, first 2 shown]
	v_add_nc_u32_e32 v172, 0x61a0, v34
	ds_read2_b32 v[158:159], v131 offset1:1
	v_dot4c_i32_i8 v170, v147, v126
	ds_read2_b32 v[146:147], v161 offset1:1
	v_dot4c_i32_i8 v168, v135, v127
	v_dot4c_i32_i8 v169, v139, v127
	ds_read2_b32 v[138:139], v35 offset1:1
	ds_read_b128 v[130:133], v30 offset:32
	v_mov_b32_e32 v176, 0
	v_dot4c_i32_i8 v168, v136, v124
	s_waitcnt lgkmcnt(7)
	v_dot4c_i32_i8 v169, v150, v124
	v_mov_b32_e32 v177, 0
	v_mov_b32_e32 v178, 0
	s_cmp_ge_i32 s10, s9
	s_waitcnt lgkmcnt(5)
	v_dot4c_i32_i8 v170, v152, v123
	s_waitcnt lgkmcnt(4)
	v_dot4c_i32_i8 v174, v156, v122
	v_dot4c_i32_i8 v168, v137, v128
	;; [unrolled: 1-line block ×3, first 2 shown]
	ds_read2_b32 v[150:151], v160 offset1:1
	v_dot4c_i32_i8 v170, v153, v127
	v_dot4c_i32_i8 v174, v157, v126
	v_dot4c_i32_i8 v168, v144, v125
	v_add_nc_u32_e32 v122, 0x6190, v34
	ds_read_b128 v[134:137], v30 offset:48
	v_dot4c_i32_i8 v169, v154, v125
	s_waitcnt lgkmcnt(5)
	v_dot4c_i32_i8 v170, v158, v124
	v_add_nc_u32_e32 v154, 0x6198, v34
	s_waitcnt lgkmcnt(4)
	v_dot4c_i32_i8 v174, v146, v123
	v_dot4c_i32_i8 v168, v145, v129
	ds_read2_b32 v[144:145], v36 offset1:1
	ds_read2_b32 v[152:153], v37 offset1:1
	v_add_nc_u32_e32 v160, 0x20a0, v34
	ds_read2_b32 v[156:157], v122 offset1:1
	v_dot4c_i32_i8 v170, v159, v128
	ds_read2_b32 v[158:159], v154 offset1:1
	ds_read2_b32 v[160:161], v160 offset1:1
	ds_read2_b32 v[162:163], v34 offset0:26 offset1:27
	ds_read2_b32 v[164:165], v34 offset0:28 offset1:29
	;; [unrolled: 1-line block ×3, first 2 shown]
	v_dot4c_i32_i8 v169, v155, v129
	v_dot4c_i32_i8 v174, v147, v127
	ds_read2_b32 v[122:123], v34 offset0:10 offset1:11
	ds_read2_b32 v[146:147], v36 offset0:2 offset1:3
	;; [unrolled: 1-line block ×3, first 2 shown]
	s_waitcnt lgkmcnt(13)
	v_dot4c_i32_i8 v175, v148, v130
	ds_read2_b32 v[126:127], v34 offset0:12 offset1:13
	s_waitcnt lgkmcnt(13)
	v_dot4c_i32_i8 v170, v150, v125
	v_mul_f32_e32 v138, v1, v138
	v_cvt_f32_i32_e32 v168, v168
	s_waitcnt lgkmcnt(12)
	v_dot4c_i32_i8 v175, v149, v134
	v_cvt_f32_i32_e32 v150, v169
	v_dot4c_i32_i8 v170, v151, v129
	s_waitcnt lgkmcnt(11)
	v_mul_f32_e32 v144, v1, v144
	v_fmac_f32_e32 v27, v138, v168
	v_add_nc_u32_e32 v138, 0x20b8, v34
	s_waitcnt lgkmcnt(9)
	v_dot4c_i32_i8 v174, v156, v124
	v_mul_f32_e32 v124, v1, v152
	v_cvt_f32_i32_e32 v151, v170
	v_fmac_f32_e32 v109, v144, v150
	v_add_nc_u32_e32 v144, 0x4120, v34
	s_waitcnt lgkmcnt(3)
	v_dot4c_i32_i8 v175, v122, v131
	v_dot4c_i32_i8 v174, v157, v128
	v_add_nc_u32_e32 v122, 0x20a8, v34
	v_add_nc_u32_e32 v128, 0x20b0, v34
	v_fmac_f32_e32 v103, v124, v151
	v_dot4c_i32_i8 v175, v123, v135
	v_dot4c_i32_i8 v174, v158, v125
	ds_read2_b32 v[124:125], v34 offset0:14 offset1:15
	ds_read2_b32 v[148:149], v34 offset0:16 offset1:17
	ds_read2_b32 v[122:123], v122 offset1:1
	ds_read2_b32 v[150:151], v128 offset1:1
	;; [unrolled: 1-line block ×4, first 2 shown]
	v_mov_b32_e32 v144, 0
	s_waitcnt lgkmcnt(6)
	v_dot4c_i32_i8 v175, v126, v132
	v_add_nc_u32_e32 v126, 0x4128, v34
	v_add_nc_u32_e32 v138, 0x4130, v34
	;; [unrolled: 1-line block ×3, first 2 shown]
	v_dot4c_i32_i8 v174, v159, v129
	v_dot4c_i32_i8 v144, v160, v130
	ds_read2_b32 v[128:129], v126 offset1:1
	ds_read2_b32 v[158:159], v138 offset1:1
	;; [unrolled: 1-line block ×4, first 2 shown]
	v_add_nc_u32_e32 v126, 0x61a8, v34
	v_dot4c_i32_i8 v175, v127, v136
	v_mov_b32_e32 v152, 0
	v_dot4c_i32_i8 v144, v161, v134
	ds_read2_b32 v[160:161], v37 offset0:2 offset1:3
	ds_read2_b32 v[126:127], v126 offset1:1
	v_mul_f32_e32 v1, v1, v140
	v_cvt_f32_i32_e32 v140, v174
	s_waitcnt lgkmcnt(9)
	v_dot4c_i32_i8 v144, v122, v131
	v_add_nc_u32_e32 v122, 0x61b0, v34
	v_mul_f32_e32 v174, v2, v139
	s_waitcnt lgkmcnt(6)
	v_dot4c_i32_i8 v152, v168, v130
	v_dot4c_i32_i8 v175, v124, v133
	;; [unrolled: 1-line block ×3, first 2 shown]
	ds_read2_b32 v[138:139], v122 offset1:1
	v_add_nc_u32_e32 v122, 0x61b8, v34
	v_dot4c_i32_i8 v152, v169, v134
	v_add_nc_u32_e32 v123, 0x20c0, v34
	v_dot4c_i32_i8 v144, v150, v132
	s_waitcnt lgkmcnt(3)
	v_dot4c_i32_i8 v176, v172, v130
	v_dot4c_i32_i8 v175, v125, v137
	;; [unrolled: 1-line block ×3, first 2 shown]
	v_add_nc_u32_e32 v172, 0x4158, v34
	v_dot4c_i32_i8 v144, v151, v136
	v_dot4c_i32_i8 v176, v173, v134
	ds_read2_b32 v[150:151], v122 offset1:1
	ds_read2_b32 v[168:169], v123 offset1:1
	ds_read_b128 v[122:125], v30 offset:64
	v_dot4c_i32_i8 v152, v129, v135
	v_dot4c_i32_i8 v144, v156, v133
	s_waitcnt lgkmcnt(4)
	v_dot4c_i32_i8 v176, v126, v131
	v_cvt_f32_i32_e32 v130, v175
	v_mul_f32_e32 v131, v2, v145
	v_dot4c_i32_i8 v152, v158, v132
	v_dot4c_i32_i8 v144, v157, v137
	v_dot4c_i32_i8 v176, v127, v135
	ds_read_b128 v[126:129], v30 offset:80
	v_fmac_f32_e32 v27, v174, v130
	v_dot4c_i32_i8 v152, v159, v136
	v_cvt_f32_i32_e32 v134, v144
	s_waitcnt lgkmcnt(4)
	v_dot4c_i32_i8 v176, v138, v132
	v_add_nc_u32_e32 v132, 0x20c8, v34
	v_add_nc_u32_e32 v138, 0x20d8, v34
	v_dot4c_i32_i8 v152, v170, v133
	v_fmac_f32_e32 v109, v131, v134
	v_dot4c_i32_i8 v176, v139, v136
	v_mov_b32_e32 v136, 0
	ds_read2_b32 v[130:131], v34 offset0:18 offset1:19
	v_add_nc_u32_e32 v134, 0x20d0, v34
	v_dot4c_i32_i8 v152, v171, v137
	s_waitcnt lgkmcnt(4)
	v_dot4c_i32_i8 v176, v150, v133
	s_waitcnt lgkmcnt(2)
	v_dot4c_i32_i8 v136, v148, v122
	v_add_nc_u32_e32 v150, 0x4148, v34
	v_add_nc_u32_e32 v144, 0x4140, v34
	;; [unrolled: 1-line block ×4, first 2 shown]
	s_waitcnt lgkmcnt(1)
	v_dot4c_i32_i8 v136, v149, v126
	ds_read2_b32 v[132:133], v132 offset1:1
	ds_read2_b32 v[134:135], v134 offset1:1
	;; [unrolled: 1-line block ×4, first 2 shown]
	ds_read2_b32 v[148:149], v34 offset0:20 offset1:21
	v_fmac_f32_e32 v25, v1, v140
	v_mul_f32_e32 v1, v2, v153
	v_cvt_f32_i32_e32 v140, v152
	ds_read2_b32 v[152:153], v34 offset0:22 offset1:23
	ds_read2_b32 v[156:157], v34 offset0:24 offset1:25
	ds_read2_b32 v[158:159], v150 offset1:1
	ds_read2_b32 v[170:171], v170 offset1:1
	;; [unrolled: 1-line block ×4, first 2 shown]
	v_dot4c_i32_i8 v176, v151, v137
	v_mul_f32_e32 v137, v2, v141
	v_fmac_f32_e32 v103, v1, v140
	v_add_nc_u32_e32 v1, 0x61c8, v34
	s_waitcnt lgkmcnt(11)
	v_dot4c_i32_i8 v136, v130, v123
	v_dot4c_i32_i8 v177, v168, v122
	v_mov_b32_e32 v168, 0
	v_add_nc_u32_e32 v130, 0x61d0, v34
	ds_read2_b32 v[1:2], v1 offset1:1
	v_dot4c_i32_i8 v136, v131, v127
	v_dot4c_i32_i8 v177, v169, v126
	v_add_nc_u32_e32 v150, 0x4170, v34
	ds_read2_b32 v[130:131], v130 offset1:1
	s_waitcnt lgkmcnt(9)
	v_dot4c_i32_i8 v178, v144, v122
	s_waitcnt lgkmcnt(8)
	v_dot4c_i32_i8 v136, v148, v124
	v_dot4c_i32_i8 v177, v132, v123
	v_add_nc_u32_e32 v132, 0x20e0, v34
	v_add_nc_u32_e32 v148, 0x4168, v34
	v_dot4c_i32_i8 v178, v145, v126
	s_waitcnt lgkmcnt(2)
	v_dot4c_i32_i8 v168, v174, v122
	v_dot4c_i32_i8 v136, v149, v128
	;; [unrolled: 1-line block ×3, first 2 shown]
	v_add_nc_u32_e32 v122, 0x61d8, v34
	v_dot4c_i32_i8 v178, v158, v123
	v_dot4c_i32_i8 v168, v175, v126
	;; [unrolled: 1-line block ×4, first 2 shown]
	ds_read2_b32 v[140:141], v122 offset1:1
	ds_read2_b32 v[144:145], v132 offset1:1
	v_dot4c_i32_i8 v178, v159, v127
	s_waitcnt lgkmcnt(3)
	v_dot4c_i32_i8 v168, v1, v123
	v_dot4c_i32_i8 v136, v153, v129
	v_cvt_f32_i32_e32 v1, v176
	v_dot4c_i32_i8 v177, v135, v128
	v_dot4c_i32_i8 v178, v170, v124
	;; [unrolled: 1-line block ×3, first 2 shown]
	v_mul_f32_e32 v2, v3, v154
	v_cvt_f32_i32_e32 v122, v136
	v_dot4c_i32_i8 v177, v138, v125
	v_dot4c_i32_i8 v178, v171, v128
	s_waitcnt lgkmcnt(2)
	v_dot4c_i32_i8 v168, v130, v124
	v_fmac_f32_e32 v25, v137, v1
	v_add_nc_u32_e32 v1, 0x20e8, v34
	v_fmac_f32_e32 v27, v2, v122
	v_add_nc_u32_e32 v122, 0x20f0, v34
	v_add_nc_u32_e32 v124, 0x20f8, v34
	v_dot4c_i32_i8 v168, v131, v128
	v_add_nc_u32_e32 v128, 0x4160, v34
	v_add_nc_u32_e32 v152, 0x4178, v34
	v_dot4c_i32_i8 v178, v172, v125
	v_dot4c_i32_i8 v177, v139, v129
	ds_read_b128 v[130:133], v30 offset:96
	ds_read_b128 v[134:137], v30 offset:112
	v_add_nc_u32_e32 v154, 0x61e0, v34
	ds_read2_b32 v[1:2], v1 offset1:1
	ds_read2_b32 v[122:123], v122 offset1:1
	ds_read2_b32 v[126:127], v124 offset1:1
	ds_read2_b32 v[138:139], v128 offset1:1
	ds_read2_b32 v[148:149], v148 offset1:1
	ds_read2_b32 v[150:151], v150 offset1:1
	ds_read2_b32 v[152:153], v152 offset1:1
	ds_read2_b32 v[158:159], v154 offset1:1
	v_dot4c_i32_i8 v178, v173, v129
	v_mul_f32_e32 v124, v3, v146
	v_cvt_f32_i32_e32 v128, v177
	s_waitcnt lgkmcnt(11)
	v_dot4c_i32_i8 v168, v140, v125
	v_add_nc_u32_e32 v125, 0x61e8, v34
	v_mul_f32_e32 v146, v3, v160
	v_cvt_f32_i32_e32 v154, v178
	v_fmac_f32_e32 v109, v124, v128
	v_mov_b32_e32 v140, 0
	ds_read2_b32 v[124:125], v125 offset1:1
	v_dot4c_i32_i8 v168, v141, v129
	v_fmac_f32_e32 v103, v146, v154
	v_mov_b32_e32 v141, 0
	v_mov_b32_e32 v146, 0
	;; [unrolled: 1-line block ×3, first 2 shown]
	v_add_nc_u32_e32 v128, 0x61f0, v34
	s_waitcnt lgkmcnt(10)
	v_dot4c_i32_i8 v140, v156, v130
	v_dot4c_i32_i8 v141, v144, v130
	s_waitcnt lgkmcnt(5)
	v_dot4c_i32_i8 v146, v138, v130
	s_waitcnt lgkmcnt(1)
	v_dot4c_i32_i8 v154, v158, v130
	ds_read2_b32 v[128:129], v128 offset1:1
	v_dot4c_i32_i8 v140, v157, v134
	v_dot4c_i32_i8 v141, v145, v134
	;; [unrolled: 1-line block ×3, first 2 shown]
	v_add_nc_u32_e32 v130, 0x61f8, v34
	v_dot4c_i32_i8 v154, v159, v134
	v_dot4c_i32_i8 v140, v162, v131
	;; [unrolled: 1-line block ×4, first 2 shown]
	ds_read2_b32 v[138:139], v130 offset1:1
	s_waitcnt lgkmcnt(2)
	v_dot4c_i32_i8 v154, v124, v131
	v_dot4c_i32_i8 v140, v163, v135
	;; [unrolled: 1-line block ×4, first 2 shown]
	v_mul_f32_e32 v1, v3, v142
	v_dot4c_i32_i8 v154, v125, v135
	v_dot4c_i32_i8 v140, v164, v132
	;; [unrolled: 1-line block ×4, first 2 shown]
	v_cvt_f32_i32_e32 v2, v168
	s_waitcnt lgkmcnt(1)
	v_dot4c_i32_i8 v154, v128, v132
	v_dot4c_i32_i8 v140, v165, v136
	;; [unrolled: 1-line block ×4, first 2 shown]
	v_fmac_f32_e32 v25, v1, v2
	v_dot4c_i32_i8 v154, v129, v136
	v_dot4c_i32_i8 v140, v166, v133
	;; [unrolled: 1-line block ×4, first 2 shown]
	v_mul_f32_e32 v1, v4, v155
	s_waitcnt lgkmcnt(0)
	v_dot4c_i32_i8 v154, v138, v133
	v_dot4c_i32_i8 v140, v167, v137
	;; [unrolled: 1-line block ×4, first 2 shown]
	v_mul_f32_e32 v3, v4, v147
	v_dot4c_i32_i8 v154, v139, v137
	v_cvt_f32_i32_e32 v2, v140
	v_cvt_f32_i32_e32 v122, v141
	v_mul_f32_e32 v123, v4, v161
	v_cvt_f32_i32_e32 v124, v146
	v_mul_f32_e32 v4, v4, v143
	v_cvt_f32_i32_e32 v125, v154
	v_fmac_f32_e32 v27, v1, v2
	v_fmac_f32_e32 v109, v3, v122
	v_fmac_f32_e32 v103, v123, v124
	v_fmac_f32_e32 v25, v4, v125
	s_barrier
	buffer_gl0_inv
	s_cbranch_scc1 .LBB222_5
; %bb.12:                               ;   in Loop: Header=BB222_6 Depth=1
	v_add_nc_u32_e32 v1, s4, v39
	v_cmp_gt_i32_e64 s1, s12, v1
	s_and_b32 s16, s0, s1
	s_and_saveexec_b32 s1, s16
	s_cbranch_execz .LBB222_14
; %bb.13:                               ;   in Loop: Header=BB222_6 Depth=1
	v_add_nc_u32_e32 v1, s4, v40
	v_mad_i64_i32 v[1:2], null, v1, 36, v[21:22]
	global_load_dword v1, v[1:2], off offset:4
	s_waitcnt vmcnt(0)
	ds_write_b32 v31, v1
.LBB222_14:                             ;   in Loop: Header=BB222_6 Depth=1
	s_or_b32 exec_lo, exec_lo, s1
	s_and_saveexec_b32 s16, vcc_lo
	s_cbranch_execz .LBB222_4
; %bb.15:                               ;   in Loop: Header=BB222_6 Depth=1
	v_add_nc_u32_e32 v1, 4, v121
	v_cmp_gt_i32_e64 s1, s12, v1
	s_and_b32 s1, s0, s1
	s_and_b32 exec_lo, exec_lo, s1
	s_cbranch_execz .LBB222_4
; %bb.16:                               ;   in Loop: Header=BB222_6 Depth=1
	global_load_dword v1, v[23:24], off
	s_waitcnt vmcnt(0)
	v_cvt_f32_f16_e32 v1, v1
	ds_write_b32 v33, v1
	s_branch .LBB222_4
.LBB222_17:
	s_mul_i32 s0, s14, s11
	s_waitcnt vmcnt(0)
	v_cmp_gt_i32_e32 vcc_lo, s0, v26
	s_and_saveexec_b32 s0, vcc_lo
	s_cbranch_execz .LBB222_26
; %bb.18:
	v_add_nc_u32_e32 v1, s15, v0
	v_mul_lo_u32 v0, v26, s13
	s_mov_b32 s0, exec_lo
	v_cmpx_gt_u32_e64 s13, v1
	s_cbranch_execz .LBB222_20
; %bb.19:
	v_add_nc_u32_e32 v2, v0, v1
	v_mov_b32_e32 v3, 0
	v_bfe_u32 v4, v27, 16, 1
	v_cmp_o_f32_e32 vcc_lo, v27, v27
	v_mov_b32_e32 v5, 0x7fc0
	v_lshlrev_b64 v[2:3], 1, v[2:3]
	v_add3_u32 v4, v27, v4, 0x7fff
	v_cndmask_b32_sdwa v4, v5, v4, vcc_lo dst_sel:DWORD dst_unused:UNUSED_PAD src0_sel:DWORD src1_sel:WORD_1
	v_add_co_u32 v2, vcc_lo, s2, v2
	v_add_co_ci_u32_e64 v3, null, s3, v3, vcc_lo
	global_store_short v[2:3], v4, off
.LBB222_20:
	s_or_b32 exec_lo, exec_lo, s0
	v_add_nc_u32_e32 v2, 32, v1
	s_mov_b32 s0, exec_lo
	v_cmpx_gt_u32_e64 s13, v2
	s_cbranch_execz .LBB222_22
; %bb.21:
	v_add_nc_u32_e32 v2, v0, v2
	v_mov_b32_e32 v3, 0
	v_bfe_u32 v4, v109, 16, 1
	v_cmp_o_f32_e32 vcc_lo, v109, v109
	v_mov_b32_e32 v5, 0x7fc0
	v_lshlrev_b64 v[2:3], 1, v[2:3]
	v_add3_u32 v4, v109, v4, 0x7fff
	v_cndmask_b32_sdwa v4, v5, v4, vcc_lo dst_sel:DWORD dst_unused:UNUSED_PAD src0_sel:DWORD src1_sel:WORD_1
	v_add_co_u32 v2, vcc_lo, s2, v2
	v_add_co_ci_u32_e64 v3, null, s3, v3, vcc_lo
	global_store_short v[2:3], v4, off
.LBB222_22:
	s_or_b32 exec_lo, exec_lo, s0
	v_add_nc_u32_e32 v2, 64, v1
	;; [unrolled: 18-line block ×3, first 2 shown]
	v_cmp_gt_u32_e32 vcc_lo, s13, v1
	s_and_b32 exec_lo, exec_lo, vcc_lo
	s_cbranch_execz .LBB222_26
; %bb.25:
	v_add_nc_u32_e32 v0, v0, v1
	v_mov_b32_e32 v1, 0
	v_bfe_u32 v2, v25, 16, 1
	v_cmp_o_f32_e32 vcc_lo, v25, v25
	v_mov_b32_e32 v3, 0x7fc0
	v_lshlrev_b64 v[0:1], 1, v[0:1]
	v_add3_u32 v2, v25, v2, 0x7fff
	v_cndmask_b32_sdwa v2, v3, v2, vcc_lo dst_sel:DWORD dst_unused:UNUSED_PAD src0_sel:DWORD src1_sel:WORD_1
	v_add_co_u32 v0, vcc_lo, s2, v0
	v_add_co_ci_u32_e64 v1, null, s3, v1, vcc_lo
	global_store_short v[0:1], v2, off
.LBB222_26:
	s_endpgm
	.section	.rodata,"a",@progbits
	.p2align	6, 0x0
	.amdhsa_kernel _ZL8moe_q5_0IN3c108BFloat16ELb1EEvPKvS3_PT_PKiS7_S7_iiiiiii
		.amdhsa_group_segment_fixed_size 38656
		.amdhsa_private_segment_fixed_size 0
		.amdhsa_kernarg_size 76
		.amdhsa_user_sgpr_count 6
		.amdhsa_user_sgpr_private_segment_buffer 1
		.amdhsa_user_sgpr_dispatch_ptr 0
		.amdhsa_user_sgpr_queue_ptr 0
		.amdhsa_user_sgpr_kernarg_segment_ptr 1
		.amdhsa_user_sgpr_dispatch_id 0
		.amdhsa_user_sgpr_flat_scratch_init 0
		.amdhsa_user_sgpr_private_segment_size 0
		.amdhsa_wavefront_size32 1
		.amdhsa_uses_dynamic_stack 0
		.amdhsa_system_sgpr_private_segment_wavefront_offset 0
		.amdhsa_system_sgpr_workgroup_id_x 1
		.amdhsa_system_sgpr_workgroup_id_y 1
		.amdhsa_system_sgpr_workgroup_id_z 0
		.amdhsa_system_sgpr_workgroup_info 0
		.amdhsa_system_vgpr_workitem_id 1
		.amdhsa_next_free_vgpr 185
		.amdhsa_next_free_sgpr 20
		.amdhsa_reserve_vcc 1
		.amdhsa_reserve_flat_scratch 0
		.amdhsa_float_round_mode_32 0
		.amdhsa_float_round_mode_16_64 0
		.amdhsa_float_denorm_mode_32 3
		.amdhsa_float_denorm_mode_16_64 3
		.amdhsa_dx10_clamp 1
		.amdhsa_ieee_mode 1
		.amdhsa_fp16_overflow 0
		.amdhsa_workgroup_processor_mode 1
		.amdhsa_memory_ordered 1
		.amdhsa_forward_progress 1
		.amdhsa_shared_vgpr_count 0
		.amdhsa_exception_fp_ieee_invalid_op 0
		.amdhsa_exception_fp_denorm_src 0
		.amdhsa_exception_fp_ieee_div_zero 0
		.amdhsa_exception_fp_ieee_overflow 0
		.amdhsa_exception_fp_ieee_underflow 0
		.amdhsa_exception_fp_ieee_inexact 0
		.amdhsa_exception_int_div_zero 0
	.end_amdhsa_kernel
	.section	.text._ZL8moe_q5_0IN3c108BFloat16ELb1EEvPKvS3_PT_PKiS7_S7_iiiiiii,"axG",@progbits,_ZL8moe_q5_0IN3c108BFloat16ELb1EEvPKvS3_PT_PKiS7_S7_iiiiiii,comdat
.Lfunc_end222:
	.size	_ZL8moe_q5_0IN3c108BFloat16ELb1EEvPKvS3_PT_PKiS7_S7_iiiiiii, .Lfunc_end222-_ZL8moe_q5_0IN3c108BFloat16ELb1EEvPKvS3_PT_PKiS7_S7_iiiiiii
                                        ; -- End function
	.set _ZL8moe_q5_0IN3c108BFloat16ELb1EEvPKvS3_PT_PKiS7_S7_iiiiiii.num_vgpr, 185
	.set _ZL8moe_q5_0IN3c108BFloat16ELb1EEvPKvS3_PT_PKiS7_S7_iiiiiii.num_agpr, 0
	.set _ZL8moe_q5_0IN3c108BFloat16ELb1EEvPKvS3_PT_PKiS7_S7_iiiiiii.numbered_sgpr, 20
	.set _ZL8moe_q5_0IN3c108BFloat16ELb1EEvPKvS3_PT_PKiS7_S7_iiiiiii.num_named_barrier, 0
	.set _ZL8moe_q5_0IN3c108BFloat16ELb1EEvPKvS3_PT_PKiS7_S7_iiiiiii.private_seg_size, 0
	.set _ZL8moe_q5_0IN3c108BFloat16ELb1EEvPKvS3_PT_PKiS7_S7_iiiiiii.uses_vcc, 1
	.set _ZL8moe_q5_0IN3c108BFloat16ELb1EEvPKvS3_PT_PKiS7_S7_iiiiiii.uses_flat_scratch, 0
	.set _ZL8moe_q5_0IN3c108BFloat16ELb1EEvPKvS3_PT_PKiS7_S7_iiiiiii.has_dyn_sized_stack, 0
	.set _ZL8moe_q5_0IN3c108BFloat16ELb1EEvPKvS3_PT_PKiS7_S7_iiiiiii.has_recursion, 0
	.set _ZL8moe_q5_0IN3c108BFloat16ELb1EEvPKvS3_PT_PKiS7_S7_iiiiiii.has_indirect_call, 0
	.section	.AMDGPU.csdata,"",@progbits
; Kernel info:
; codeLenInByte = 15684
; TotalNumSgprs: 22
; NumVgprs: 185
; ScratchSize: 0
; MemoryBound: 0
; FloatMode: 240
; IeeeMode: 1
; LDSByteSize: 38656 bytes/workgroup (compile time only)
; SGPRBlocks: 0
; VGPRBlocks: 23
; NumSGPRsForWavesPerEU: 22
; NumVGPRsForWavesPerEU: 185
; Occupancy: 5
; WaveLimiterHint : 1
; COMPUTE_PGM_RSRC2:SCRATCH_EN: 0
; COMPUTE_PGM_RSRC2:USER_SGPR: 6
; COMPUTE_PGM_RSRC2:TRAP_HANDLER: 0
; COMPUTE_PGM_RSRC2:TGID_X_EN: 1
; COMPUTE_PGM_RSRC2:TGID_Y_EN: 1
; COMPUTE_PGM_RSRC2:TGID_Z_EN: 0
; COMPUTE_PGM_RSRC2:TIDIG_COMP_CNT: 1
	.section	.text._ZL8moe_q5_1IN3c108BFloat16ELb0EEvPKvS3_PT_PKiS7_S7_iiiiiii,"axG",@progbits,_ZL8moe_q5_1IN3c108BFloat16ELb0EEvPKvS3_PT_PKiS7_S7_iiiiiii,comdat
	.globl	_ZL8moe_q5_1IN3c108BFloat16ELb0EEvPKvS3_PT_PKiS7_S7_iiiiiii ; -- Begin function _ZL8moe_q5_1IN3c108BFloat16ELb0EEvPKvS3_PT_PKiS7_S7_iiiiiii
	.p2align	8
	.type	_ZL8moe_q5_1IN3c108BFloat16ELb0EEvPKvS3_PT_PKiS7_S7_iiiiiii,@function
_ZL8moe_q5_1IN3c108BFloat16ELb0EEvPKvS3_PT_PKiS7_S7_iiiiiii: ; @_ZL8moe_q5_1IN3c108BFloat16ELb0EEvPKvS3_PT_PKiS7_S7_iiiiiii
; %bb.0:
	s_load_dwordx4 s[0:3], s[4:5], 0x18
	s_mov_b32 s8, s7
	s_mov_b32 s9, 0
	s_lshl_b64 s[10:11], s[8:9], 2
	s_waitcnt lgkmcnt(0)
	s_add_u32 s2, s2, s10
	s_addc_u32 s3, s3, s11
	s_load_dword s7, s[2:3], 0x0
	s_waitcnt lgkmcnt(0)
	s_cmpk_gt_u32 s7, 0xff
	s_cbranch_scc1 .LBB223_30
; %bb.1:
	s_load_dwordx2 s[2:3], s[4:5], 0x28
	s_waitcnt lgkmcnt(0)
	s_load_dword s3, s[2:3], 0x0
	s_lshl_b32 s2, s8, 3
	s_waitcnt lgkmcnt(0)
	s_cmp_gt_u32 s2, s3
	s_cbranch_scc1 .LBB223_30
; %bb.2:
	v_add_nc_u32_e32 v2, s2, v1
	v_mov_b32_e32 v3, 0
	s_lshl_b32 s6, s6, 7
	v_lshlrev_b64 v[4:5], 2, v[2:3]
	v_mov_b32_e32 v29, v3
	v_mov_b32_e32 v43, v3
	;; [unrolled: 1-line block ×3, first 2 shown]
	v_add_co_u32 v4, vcc_lo, s0, v4
	v_add_co_ci_u32_e64 v5, null, s1, v5, vcc_lo
	global_load_dword v6, v[4:5], off
	s_clause 0x2
	s_load_dwordx2 s[14:15], s[4:5], 0x30
	s_load_dwordx2 s[12:13], s[4:5], 0x10
	s_load_dwordx4 s[8:11], s[4:5], 0x3c
	s_waitcnt lgkmcnt(0)
	s_cmp_lt_i32 s15, 32
	s_cbranch_scc1 .LBB223_21
; %bb.3:
	s_load_dwordx4 s[0:3], s[4:5], 0x0
	s_ashr_i32 s4, s15, 31
	s_ashr_i32 s5, s9, 31
	s_lshr_b32 s4, s4, 27
	s_lshr_b32 s5, s5, 27
	s_add_i32 s4, s15, s4
	s_mul_i32 s14, s7, s14
	s_add_i32 s5, s9, s5
	s_ashr_i32 s7, s4, 5
	s_ashr_i32 s9, s5, 5
	s_mul_i32 s5, s7, s6
	s_ashr_i32 s16, s14, 31
	s_mul_hi_i32 s17, s5, 24
	s_mul_i32 s5, s5, 24
	v_mul_lo_u32 v9, s7, v1
	s_waitcnt vmcnt(0)
	v_sub_nc_u32_e32 v18, 0, v6
	v_lshlrev_b32_e32 v3, 3, v0
	v_lshrrev_b32_e32 v11, 3, v0
	v_and_b32_e32 v10, 7, v0
	v_xor_b32_e32 v17, s11, v6
	s_waitcnt lgkmcnt(0)
	s_add_u32 s0, s0, s14
	s_addc_u32 s1, s1, s16
	s_add_u32 s14, s0, s5
	s_addc_u32 s16, s1, s17
	s_abs_i32 s0, s11
	s_lshl_b32 s1, s7, 3
	v_cvt_f32_u32_e32 v4, s0
	s_sub_i32 s5, 0, s0
	v_add_nc_u32_e32 v12, s1, v9
	v_max_i32_e32 v44, v6, v18
	v_mad_u32_u24 v15, 0x104, v1, v3
	v_rcp_iflag_f32_e32 v4, v4
	v_lshl_add_u32 v3, v1, 2, v11
	v_add_nc_u32_e32 v13, s1, v12
	v_lshlrev_b32_e32 v29, 2, v10
	v_ashrrev_i32_e32 v43, 31, v17
	v_lshlrev_b32_e32 v2, 2, v0
	v_add_nc_u32_e32 v42, 32, v3
	v_add_nc_u32_e32 v16, s1, v13
	v_and_b32_e32 v41, 0x7fc, v3
	v_and_b32_e32 v5, 31, v0
	v_mul_f32_e32 v4, 0x4f7ffffe, v4
	v_and_b32_e32 v46, 0xffc, v42
	v_add_nc_u32_e32 v18, s1, v16
	v_add3_u32 v68, v41, v29, 0x8200
	v_add_nc_u32_e32 v45, 64, v3
	v_cvt_u32_f32_e32 v4, v4
	v_add3_u32 v71, v46, v29, 0x8200
	v_add_nc_u32_e32 v21, s1, v18
	v_lshlrev_b32_e32 v69, 5, v42
	v_mul_lo_u32 v38, s7, v3
	v_mul_lo_u32 v30, s5, v4
	v_and_b32_e32 v14, 12, v2
	v_add_nc_u32_e32 v26, s1, v21
	v_lshlrev_b32_e32 v67, 5, v3
	v_add_nc_u32_e32 v3, 0x60, v3
	v_and_b32_e32 v48, 0xffc, v45
	v_lshlrev_b32_e32 v70, 5, v45
	v_add_nc_u32_e32 v31, s1, v26
	v_mul_hi_u32 v37, v4, v30
	s_andn2_b32 s4, s4, 31
	v_and_b32_e32 v49, 0xffc, v3
	v_and_b32_e32 v58, 0xfc, v0
	v_add_nc_u32_e32 v36, s1, v31
	v_add3_u32 v72, v48, v29, 0x8200
	v_lshlrev_b32_e32 v3, 5, v3
	v_add3_u32 v29, v49, v29, 0x8200
	v_add_nc_u32_e32 v4, v4, v37
	v_add_nc_u32_e32 v39, s1, v36
	v_lshrrev_b32_e32 v8, 2, v0
	v_mov_b32_e32 v7, 0
	v_add_nc_u32_e32 v17, 0x820, v15
	v_mul_hi_u32 v4, v44, v4
	v_add_nc_u32_e32 v40, s1, v39
	v_add_nc_u32_e32 v19, 0x1040, v15
	;; [unrolled: 1-line block ×7, first 2 shown]
	v_mul_lo_u32 v47, v4, s0
	v_add_nc_u32_e32 v46, 1, v4
	v_add_nc_u32_e32 v25, 0x38e0, v15
	;; [unrolled: 1-line block ×7, first 2 shown]
	v_sub_nc_u32_e32 v50, v44, v47
	v_add_nc_u32_e32 v45, s1, v42
	v_add_nc_u32_e32 v44, s4, v38
	;; [unrolled: 1-line block ×4, first 2 shown]
	v_subrev_nc_u32_e32 v51, s0, v50
	v_cmp_le_u32_e32 vcc_lo, s0, v50
	v_add_nc_u32_e32 v47, s1, v45
	v_add_nc_u32_e32 v35, 0x71c0, v15
	;; [unrolled: 1-line block ×3, first 2 shown]
	v_mul_u32_u24_e32 v54, 0x104, v0
	v_cndmask_b32_e32 v4, v4, v46, vcc_lo
	v_cndmask_b32_e32 v50, v50, v51, vcc_lo
	v_add_nc_u32_e32 v46, s4, v44
	v_add_nc_u32_e32 v49, s1, v47
	;; [unrolled: 1-line block ×4, first 2 shown]
	v_cmp_le_u32_e32 vcc_lo, s0, v50
	v_lshl_add_u32 v50, v1, 7, 0x9280
	v_add_nc_u32_e32 v48, s4, v46
	v_add_nc_u32_e32 v68, v71, v69
	v_add_nc_u32_e32 v69, v72, v70
	v_cndmask_b32_e32 v4, v4, v51, vcc_lo
	v_lshl_add_u32 v51, v1, 4, 0x9680
	v_and_b32_e32 v1, 28, v2
	v_lshl_or_b32 v52, v5, 2, v50
	v_add_nc_u32_e32 v5, 64, v0
	v_xor_b32_e32 v4, v4, v43
	v_add_nc_u32_e32 v53, v51, v2
	v_add_nc_u32_e32 v2, 32, v0
	v_add_co_u32 v1, s1, s2, v1
	v_sub_nc_u32_e32 v4, v4, v43
	v_add_nc_u32_e32 v43, 0x60, v0
	v_and_b32_e32 v5, 0x1fc, v5
	v_and_b32_e32 v57, 0x1fc, v2
	v_cmp_gt_u32_e32 vcc_lo, 4, v0
	v_cmp_gt_i32_e64 s0, s8, v4
	v_mul_lo_u32 v56, v4, s9
	v_lshlrev_b32_e32 v4, 5, v0
	v_and_b32_e32 v43, 0x1fc, v43
	v_lshrrev_b32_e32 v55, 3, v2
	v_add_co_ci_u32_e64 v2, null, s3, 0, s1
	v_add_nc_u32_e32 v5, v4, v5
	v_add_nc_u32_e32 v43, v4, v43
	v_add_nc_u32_e32 v64, v4, v57
	v_add_nc_u32_e32 v4, v4, v58
	s_movk_i32 s1, 0x80
	v_ashrrev_i32_e32 v57, 31, v56
	v_add_nc_u32_e32 v58, 0x8e00, v43
	v_add_nc_u32_e32 v59, 0x8a00, v5
	;; [unrolled: 1-line block ×8, first 2 shown]
	v_mad_u32_u24 v66, 0x104, v0, s1
	v_add_nc_u32_e32 v70, v29, v3
	v_mov_b32_e32 v43, 0
	v_mov_b32_e32 v29, 0
	v_mov_b32_e32 v3, 0
	s_mov_b32 s17, 0
	s_and_b32 s18, vcc_lo, s0
	s_branch .LBB223_5
.LBB223_4:                              ;   in Loop: Header=BB223_5 Depth=1
	s_add_i32 s17, s17, 8
	s_cmp_ge_i32 s17, s7
	s_cbranch_scc1 .LBB223_21
.LBB223_5:                              ; =>This Loop Header: Depth=1
                                        ;     Child Loop BB223_11 Depth 2
                                        ;     Child Loop BB223_19 Depth 2
	s_mul_i32 s1, s17, 24
	s_mul_hi_u32 s5, s17, 24
	s_add_u32 s4, s14, s1
	s_addc_u32 s5, s16, s5
	v_mad_u64_u32 v[4:5], null, v8, 24, s[4:5]
	v_mad_u64_u32 v[71:72], null, v9, 24, v[4:5]
	v_mad_u64_u32 v[73:74], null, v12, 24, v[4:5]
	v_mad_u64_u32 v[75:76], null, v13, 24, v[4:5]
	v_mad_u64_u32 v[77:78], null, v16, 24, v[4:5]
	v_add_co_u32 v79, s1, v71, v14
	v_add_co_ci_u32_e64 v80, null, 0, v72, s1
	v_add_co_u32 v81, s1, v73, v14
	v_add_co_ci_u32_e64 v82, null, 0, v74, s1
	;; [unrolled: 2-line block ×4, first 2 shown]
	v_mad_u64_u32 v[87:88], null, v18, 24, v[4:5]
	s_clause 0x7
	global_load_dword v95, v[79:80], off offset:8
	global_load_dword v96, v[81:82], off offset:8
	;; [unrolled: 1-line block ×8, first 2 shown]
	v_mad_u64_u32 v[71:72], null, v21, 24, v[4:5]
	v_mad_u64_u32 v[75:76], null, v26, 24, v[4:5]
	;; [unrolled: 1-line block ×3, first 2 shown]
	v_add_co_u32 v73, s1, v87, v14
	v_add_co_ci_u32_e64 v74, null, 0, v88, s1
	v_add_co_u32 v79, s1, v71, v14
	v_add_co_ci_u32_e64 v80, null, 0, v72, s1
	v_add_co_u32 v81, s1, v75, v14
	v_mad_u64_u32 v[85:86], null, v36, 24, v[4:5]
	v_add_co_ci_u32_e64 v82, null, 0, v76, s1
	v_add_co_u32 v83, s1, v77, v14
	v_add_co_ci_u32_e64 v84, null, 0, v78, s1
	v_mad_u64_u32 v[93:94], null, v41, 24, v[4:5]
	s_clause 0x7
	global_load_dword v103, v[77:78], off offset:4
	global_load_dword v104, v[75:76], off offset:4
	;; [unrolled: 1-line block ×8, first 2 shown]
	v_mad_u64_u32 v[91:92], null, v40, 24, v[4:5]
	v_mad_u64_u32 v[89:90], null, v39, 24, v[4:5]
	v_add_co_u32 v71, s1, v85, v14
	v_add_co_ci_u32_e64 v72, null, 0, v86, s1
	s_clause 0x4
	global_load_dword v84, v[93:94], off offset:4
	global_load_dword v108, v[91:92], off offset:4
	;; [unrolled: 1-line block ×5, first 2 shown]
	v_mad_u64_u32 v[75:76], null, v49, 24, v[4:5]
	v_add_co_u32 v71, s1, v89, v14
	v_add_co_ci_u32_e64 v72, null, 0, v90, s1
	v_mad_u64_u32 v[73:74], null, v45, 24, v[4:5]
	v_mad_u64_u32 v[77:78], null, v10, 24, s[4:5]
	global_load_dword v89, v[71:72], off offset:8
	v_add_co_u32 v71, s1, v91, v14
	v_add_co_ci_u32_e64 v72, null, 0, v92, s1
	s_lshl_b32 s4, s17, 5
	v_mad_u64_u32 v[81:82], null, v46, 24, v[77:78]
	global_load_dword v90, v[71:72], off offset:8
	v_add_co_u32 v71, s1, v93, v14
	v_add_co_ci_u32_e64 v72, null, 0, v94, s1
	s_cmp_lt_i32 s4, s15
	global_load_dword v91, v[71:72], off offset:8
	v_mad_u64_u32 v[71:72], null, v42, 24, v[4:5]
	v_mad_u64_u32 v[4:5], null, v47, 24, v[4:5]
	v_add_co_u32 v79, s1, v71, v14
	v_add_co_ci_u32_e64 v80, null, 0, v72, s1
	s_clause 0x4
	global_load_dword v92, v[75:76], off offset:4
	global_load_dword v93, v[4:5], off offset:4
	;; [unrolled: 1-line block ×5, first 2 shown]
	v_add_co_u32 v73, s1, v73, v14
	v_add_co_ci_u32_e64 v74, null, 0, v74, s1
	v_add_co_u32 v4, s1, v4, v14
	v_mad_u64_u32 v[71:72], null, v38, 24, v[77:78]
	v_add_co_ci_u32_e64 v5, null, 0, v5, s1
	v_add_co_u32 v75, s1, v75, v14
	v_mad_u64_u32 v[79:80], null, v44, 24, v[77:78]
	v_add_co_ci_u32_e64 v76, null, 0, v76, s1
	v_mad_u64_u32 v[77:78], null, v48, 24, v[77:78]
	s_clause 0x6
	global_load_dword v73, v[73:74], off offset:8
	global_load_dword v4, v[4:5], off offset:8
	;; [unrolled: 1-line block ×3, first 2 shown]
	global_load_dword v71, v[71:72], off
	global_load_dword v72, v[79:80], off
	;; [unrolled: 1-line block ×4, first 2 shown]
	s_waitcnt vmcnt(35)
	v_and_b32_e32 v77, 0xf0f0f0f, v95
	v_lshrrev_b32_e32 v78, 4, v95
	s_waitcnt vmcnt(34)
	v_and_b32_e32 v80, 0xf0f0f0f, v96
	v_lshrrev_b32_e32 v81, 4, v96
	s_waitcnt vmcnt(33)
	v_and_b32_e32 v95, 0xf0f0f0f, v97
	s_waitcnt vmcnt(30)
	v_ashrrev_i32_e32 v82, v14, v100
	s_waitcnt vmcnt(29)
	v_ashrrev_i32_e32 v79, v14, v101
	;; [unrolled: 2-line block ×3, first 2 shown]
	v_lshrrev_b32_e32 v96, 4, v97
	v_ashrrev_i32_e32 v97, v14, v99
	v_lshlrev_b32_e32 v128, 4, v82
	v_lshlrev_b32_e32 v121, 4, v79
	;; [unrolled: 1-line block ×4, first 2 shown]
	v_lshrrev_b32_e32 v118, 12, v76
	v_lshrrev_b32_e32 v119, 5, v76
	v_lshlrev_b32_e32 v122, 11, v79
	v_lshrrev_b32_e32 v125, 12, v79
	v_lshrrev_b32_e32 v126, 5, v79
	v_lshlrev_b32_e32 v129, 11, v82
	v_lshrrev_b32_e32 v132, 12, v82
	v_lshrrev_b32_e32 v133, 5, v82
	v_and_b32_e32 v99, 0xf0f0f0f, v98
	v_lshrrev_b32_e32 v98, 4, v98
	v_lshlrev_b32_e32 v135, 4, v97
	v_lshlrev_b32_e32 v136, 11, v97
	v_lshrrev_b32_e32 v139, 12, v97
	v_lshrrev_b32_e32 v140, 5, v97
	s_waitcnt vmcnt(26)
	v_ashrrev_i32_e32 v104, v14, v104
	s_waitcnt vmcnt(25)
	v_ashrrev_i32_e32 v101, v14, v105
	;; [unrolled: 2-line block ×3, first 2 shown]
	s_waitcnt vmcnt(23)
	v_and_b32_e32 v100, 0xf0f0f0f, v88
	v_lshrrev_b32_e32 v88, 4, v88
	s_waitcnt vmcnt(22)
	v_and_b32_e32 v102, 0xf0f0f0f, v106
	v_lshrrev_b32_e32 v105, 4, v106
	v_lshlrev_b32_e32 v142, 4, v87
	v_lshlrev_b32_e32 v143, 11, v87
	v_lshrrev_b32_e32 v146, 12, v87
	v_lshrrev_b32_e32 v147, 5, v87
	s_waitcnt vmcnt(21)
	v_and_b32_e32 v106, 0xf0f0f0f, v107
	v_lshrrev_b32_e32 v107, 4, v107
	v_lshlrev_b32_e32 v116, 18, v76
	v_lshlrev_b32_e32 v117, 25, v76
	v_and_b32_e32 v78, 0xf0f0f0f, v78
	v_lshlrev_b32_e32 v120, 2, v76
	v_lshlrev_b32_e32 v76, 9, v76
	;; [unrolled: 1-line block ×4, first 2 shown]
	v_lshrrev_b32_e32 v153, 12, v101
	v_lshrrev_b32_e32 v154, 5, v101
	v_lshlrev_b32_e32 v156, 4, v104
	v_lshlrev_b32_e32 v157, 11, v104
	v_lshrrev_b32_e32 v160, 12, v104
	v_lshrrev_b32_e32 v161, 5, v104
	v_and_b32_e32 v114, 16, v114
	v_and_b32_e32 v115, 0x1000, v115
	v_and_b32_e32 v118, 16, v118
	v_and_b32_e32 v119, 0x1000, v119
	v_lshlrev_b32_e32 v123, 18, v79
	v_lshlrev_b32_e32 v124, 25, v79
	v_and_b32_e32 v81, 0xf0f0f0f, v81
	v_lshlrev_b32_e32 v127, 2, v79
	v_lshlrev_b32_e32 v79, 9, v79
	v_and_b32_e32 v121, 16, v121
	v_and_b32_e32 v122, 0x1000, v122
	v_and_b32_e32 v125, 16, v125
	v_and_b32_e32 v126, 0x1000, v126
	v_lshlrev_b32_e32 v130, 18, v82
	v_lshlrev_b32_e32 v131, 25, v82
	v_and_b32_e32 v96, 0xf0f0f0f, v96
	v_lshlrev_b32_e32 v134, 2, v82
	v_lshlrev_b32_e32 v82, 9, v82
	;; [unrolled: 9-line block ×4, first 2 shown]
	v_and_b32_e32 v142, 16, v142
	v_and_b32_e32 v143, 0x1000, v143
	;; [unrolled: 1-line block ×4, first 2 shown]
	v_ashrrev_i32_e32 v103, v14, v103
	s_waitcnt vmcnt(16)
	v_ashrrev_i32_e32 v85, v14, v85
	v_ashrrev_i32_e32 v109, v14, v109
	v_lshlrev_b32_e32 v151, 18, v101
	v_lshlrev_b32_e32 v152, 25, v101
	v_and_b32_e32 v105, 0xf0f0f0f, v105
	v_lshlrev_b32_e32 v155, 2, v101
	v_lshlrev_b32_e32 v101, 9, v101
	;; [unrolled: 1-line block ×4, first 2 shown]
	v_and_b32_e32 v107, 0xf0f0f0f, v107
	v_lshlrev_b32_e32 v162, 2, v104
	v_lshlrev_b32_e32 v104, 9, v104
	v_and_b32_e32 v116, 0x100000, v116
	v_and_b32_e32 v117, 0x10000000, v117
	;; [unrolled: 1-line block ×12, first 2 shown]
	v_or3_b32 v77, v114, v77, v115
	v_or3_b32 v78, v118, v78, v119
	v_and_b32_e32 v123, 0x100000, v123
	v_and_b32_e32 v124, 0x10000000, v124
	v_and_b32_e32 v127, 0x100000, v127
	v_and_b32_e32 v79, 0x10000000, v79
	v_or3_b32 v80, v121, v80, v122
	v_or3_b32 v81, v125, v81, v126
	v_and_b32_e32 v130, 0x100000, v130
	v_and_b32_e32 v131, 0x10000000, v131
	v_and_b32_e32 v134, 0x100000, v134
	v_and_b32_e32 v82, 0x10000000, v82
	v_or3_b32 v95, v128, v95, v129
	v_or3_b32 v96, v132, v96, v133
	v_and_b32_e32 v137, 0x100000, v137
	v_and_b32_e32 v138, 0x10000000, v138
	v_and_b32_e32 v141, 0x100000, v141
	v_and_b32_e32 v97, 0x10000000, v97
	v_or3_b32 v99, v135, v99, v136
	v_or3_b32 v98, v139, v98, v140
	v_and_b32_e32 v144, 0x100000, v144
	v_and_b32_e32 v145, 0x10000000, v145
	v_and_b32_e32 v148, 0x100000, v148
	v_and_b32_e32 v87, 0x10000000, v87
	v_or3_b32 v100, v142, v100, v143
	v_or3_b32 v88, v146, v88, v147
	v_and_b32_e32 v112, 0xf0f0f0f, v83
	v_lshrrev_b32_e32 v83, 4, v83
	s_waitcnt vmcnt(15)
	v_and_b32_e32 v113, 0xf0f0f0f, v86
	v_lshrrev_b32_e32 v86, 4, v86
	v_lshlrev_b32_e32 v163, 4, v103
	v_lshlrev_b32_e32 v164, 11, v103
	v_lshrrev_b32_e32 v167, 12, v103
	v_lshrrev_b32_e32 v168, 5, v103
	;; [unrolled: 1-line block ×4, first 2 shown]
	v_lshlrev_b32_e32 v177, 4, v109
	v_lshlrev_b32_e32 v178, 11, v109
	v_and_b32_e32 v151, 0x100000, v151
	v_and_b32_e32 v152, 0x10000000, v152
	;; [unrolled: 1-line block ×8, first 2 shown]
	v_or3_b32 v102, v149, v102, v150
	v_or3_b32 v105, v153, v105, v154
	v_or3_b32 v106, v156, v106, v157
	v_or3_b32 v107, v160, v107, v161
	v_or3_b32 v77, v77, v116, v117
	v_or3_b32 v76, v78, v120, v76
	v_or3_b32 v78, v80, v123, v124
	v_or3_b32 v79, v81, v127, v79
	v_or3_b32 v80, v95, v130, v131
	v_or3_b32 v81, v96, v134, v82
	v_or3_b32 v82, v99, v137, v138
	v_or3_b32 v95, v98, v141, v97
	v_or3_b32 v96, v100, v144, v145
	v_or3_b32 v87, v88, v148, v87
	v_lshlrev_b32_e32 v165, 18, v103
	v_lshlrev_b32_e32 v166, 25, v103
	v_and_b32_e32 v83, 0xf0f0f0f, v83
	v_lshlrev_b32_e32 v169, 2, v103
	v_lshlrev_b32_e32 v103, 9, v103
	;; [unrolled: 1-line block ×6, first 2 shown]
	v_and_b32_e32 v86, 0xf0f0f0f, v86
	v_lshlrev_b32_e32 v176, 2, v85
	v_lshlrev_b32_e32 v85, 9, v85
	v_and_b32_e32 v163, 16, v163
	v_and_b32_e32 v164, 0x1000, v164
	;; [unrolled: 1-line block ×6, first 2 shown]
	v_or3_b32 v88, v102, v151, v152
	v_or3_b32 v97, v105, v155, v101
	;; [unrolled: 1-line block ×4, first 2 shown]
	ds_write2_b32 v15, v77, v76 offset1:1
	ds_write2_b32 v17, v78, v79 offset1:1
	;; [unrolled: 1-line block ×7, first 2 shown]
	s_waitcnt vmcnt(14)
	v_and_b32_e32 v76, 0xf0f0f0f, v89
	v_and_b32_e32 v77, 16, v177
	;; [unrolled: 1-line block ×9, first 2 shown]
	v_or3_b32 v112, v163, v112, v164
	v_or3_b32 v83, v167, v83, v168
	;; [unrolled: 1-line block ×4, first 2 shown]
	v_lshrrev_b32_e32 v77, 4, v89
	v_lshrrev_b32_e32 v78, 12, v109
	;; [unrolled: 1-line block ×3, first 2 shown]
	v_and_b32_e32 v170, 16, v170
	v_and_b32_e32 v171, 0x1000, v171
	v_or3_b32 v100, v112, v165, v166
	v_or3_b32 v83, v83, v169, v103
	;; [unrolled: 1-line block ×3, first 2 shown]
	v_and_b32_e32 v77, 0xf0f0f0f, v77
	v_and_b32_e32 v78, 16, v78
	;; [unrolled: 1-line block ×3, first 2 shown]
	v_ashrrev_i32_e32 v85, v14, v108
	v_and_b32_e32 v172, 0x100000, v172
	v_and_b32_e32 v173, 0x10000000, v173
	v_or3_b32 v113, v170, v113, v171
	ds_write2_b32 v25, v100, v83 offset1:1
	v_lshlrev_b32_e32 v81, 18, v109
	v_lshlrev_b32_e32 v83, 25, v109
	v_or3_b32 v77, v78, v77, v82
	v_lshlrev_b32_e32 v78, 4, v85
	v_lshlrev_b32_e32 v82, 11, v85
	v_or3_b32 v79, v113, v172, v173
	v_and_b32_e32 v81, 0x100000, v81
	v_and_b32_e32 v83, 0x10000000, v83
	s_waitcnt vmcnt(13)
	v_and_b32_e32 v88, 0xf0f0f0f, v90
	v_and_b32_e32 v78, 16, v78
	v_and_b32_e32 v82, 0x1000, v82
	v_lshlrev_b32_e32 v86, 2, v109
	v_lshlrev_b32_e32 v87, 9, v109
	ds_write2_b32 v27, v79, v80 offset1:1
	v_or3_b32 v76, v76, v81, v83
	v_or3_b32 v78, v78, v88, v82
	v_lshrrev_b32_e32 v80, 4, v90
	v_lshrrev_b32_e32 v81, 12, v85
	;; [unrolled: 1-line block ×3, first 2 shown]
	v_and_b32_e32 v86, 0x100000, v86
	v_and_b32_e32 v87, 0x10000000, v87
	;; [unrolled: 1-line block ×5, first 2 shown]
	v_ashrrev_i32_e32 v84, v14, v84
	v_or3_b32 v77, v77, v86, v87
	v_lshlrev_b32_e32 v79, 18, v85
	v_lshlrev_b32_e32 v83, 25, v85
	;; [unrolled: 1-line block ×4, first 2 shown]
	v_or3_b32 v80, v81, v80, v82
	v_lshlrev_b32_e32 v81, 4, v84
	v_lshlrev_b32_e32 v82, 11, v84
	v_and_b32_e32 v79, 0x100000, v79
	v_and_b32_e32 v83, 0x10000000, v83
	;; [unrolled: 1-line block ×4, first 2 shown]
	s_waitcnt vmcnt(12)
	v_and_b32_e32 v87, 0xf0f0f0f, v91
	v_and_b32_e32 v81, 16, v81
	;; [unrolled: 1-line block ×3, first 2 shown]
	ds_write2_b32 v28, v76, v77 offset1:1
	v_or3_b32 v76, v78, v79, v83
	v_or3_b32 v77, v80, v86, v85
	v_lshrrev_b32_e32 v80, 4, v91
	v_or3_b32 v79, v81, v87, v82
	v_lshrrev_b32_e32 v81, 12, v84
	v_lshrrev_b32_e32 v82, 5, v84
	s_waitcnt vmcnt(8)
	v_ashrrev_i32_e32 v85, v14, v110
	v_and_b32_e32 v80, 0xf0f0f0f, v80
	v_lshlrev_b32_e32 v78, 18, v84
	v_and_b32_e32 v81, 16, v81
	v_and_b32_e32 v82, 0x1000, v82
	v_lshlrev_b32_e32 v83, 25, v84
	v_lshlrev_b32_e32 v86, 2, v84
	;; [unrolled: 1-line block ×3, first 2 shown]
	v_and_b32_e32 v78, 0x100000, v78
	v_or3_b32 v80, v81, v80, v82
	v_lshlrev_b32_e32 v81, 4, v85
	v_lshlrev_b32_e32 v82, 11, v85
	v_and_b32_e32 v83, 0x10000000, v83
	v_and_b32_e32 v86, 0x100000, v86
	;; [unrolled: 1-line block ×3, first 2 shown]
	s_waitcnt vmcnt(7)
	v_and_b32_e32 v87, 0xf0f0f0f, v111
	v_and_b32_e32 v81, 16, v81
	v_and_b32_e32 v82, 0x1000, v82
	ds_write2_b32 v30, v76, v77 offset1:1
	v_or3_b32 v76, v79, v78, v83
	v_or3_b32 v77, v80, v86, v84
	v_lshrrev_b32_e32 v80, 4, v111
	v_or3_b32 v79, v81, v87, v82
	v_lshrrev_b32_e32 v81, 12, v85
	v_lshrrev_b32_e32 v82, 5, v85
	v_ashrrev_i32_e32 v84, v14, v94
	v_and_b32_e32 v80, 0xf0f0f0f, v80
	v_lshlrev_b32_e32 v78, 18, v85
	v_and_b32_e32 v81, 16, v81
	v_and_b32_e32 v82, 0x1000, v82
	v_lshlrev_b32_e32 v83, 25, v85
	v_lshlrev_b32_e32 v86, 2, v85
	;; [unrolled: 1-line block ×3, first 2 shown]
	v_and_b32_e32 v78, 0x100000, v78
	v_or3_b32 v80, v81, v80, v82
	v_lshlrev_b32_e32 v81, 4, v84
	v_lshlrev_b32_e32 v82, 11, v84
	v_and_b32_e32 v83, 0x10000000, v83
	v_and_b32_e32 v86, 0x100000, v86
	;; [unrolled: 1-line block ×3, first 2 shown]
	s_waitcnt vmcnt(6)
	v_and_b32_e32 v87, 0xf0f0f0f, v73
	v_and_b32_e32 v81, 16, v81
	;; [unrolled: 1-line block ×3, first 2 shown]
	v_lshlrev_b32_e32 v88, 18, v84
	v_lshlrev_b32_e32 v89, 25, v84
	v_or3_b32 v78, v79, v78, v83
	v_or3_b32 v79, v80, v86, v85
	;; [unrolled: 1-line block ×3, first 2 shown]
	v_and_b32_e32 v81, 0x100000, v88
	v_and_b32_e32 v82, 0x10000000, v89
	v_lshrrev_b32_e32 v83, 12, v84
	v_lshrrev_b32_e32 v85, 5, v84
	v_ashrrev_i32_e32 v86, v14, v93
	v_lshrrev_b32_e32 v73, 4, v73
	v_or3_b32 v80, v80, v81, v82
	v_and_b32_e32 v81, 16, v83
	v_and_b32_e32 v82, 0x1000, v85
	v_lshlrev_b32_e32 v83, 4, v86
	v_lshlrev_b32_e32 v85, 11, v86
	s_waitcnt vmcnt(5)
	v_and_b32_e32 v88, 0xf0f0f0f, v4
	v_and_b32_e32 v73, 0xf0f0f0f, v73
	v_lshlrev_b32_e32 v87, 2, v84
	v_and_b32_e32 v83, 16, v83
	v_and_b32_e32 v85, 0x1000, v85
	v_lshrrev_b32_e32 v4, 4, v4
	v_or3_b32 v73, v81, v73, v82
	v_and_b32_e32 v81, 0x100000, v87
	v_lshrrev_b32_e32 v87, 5, v86
	v_or3_b32 v83, v83, v88, v85
	v_ashrrev_i32_e32 v88, v14, v92
	v_lshrrev_b32_e32 v85, 12, v86
	v_and_b32_e32 v4, 0xf0f0f0f, v4
	v_and_b32_e32 v87, 0x1000, v87
	s_waitcnt vmcnt(4)
	v_and_b32_e32 v93, 0xf0f0f0f, v5
	v_lshlrev_b32_e32 v90, 4, v88
	v_lshlrev_b32_e32 v91, 11, v88
	v_and_b32_e32 v85, 16, v85
	v_lshlrev_b32_e32 v84, 9, v84
	v_lshlrev_b32_e32 v89, 18, v86
	v_and_b32_e32 v90, 16, v90
	v_and_b32_e32 v91, 0x1000, v91
	v_lshlrev_b32_e32 v92, 2, v86
	v_or3_b32 v4, v85, v4, v87
	v_lshrrev_b32_e32 v5, 4, v5
	v_and_b32_e32 v82, 0x10000000, v84
	v_or3_b32 v87, v90, v93, v91
	v_lshrrev_b32_e32 v90, 12, v88
	v_lshrrev_b32_e32 v91, 5, v88
	v_and_b32_e32 v84, 0x100000, v89
	v_lshlrev_b32_e32 v89, 25, v86
	v_lshlrev_b32_e32 v86, 9, v86
	v_and_b32_e32 v85, 0x100000, v92
	v_lshlrev_b32_e32 v92, 18, v88
	v_lshlrev_b32_e32 v93, 25, v88
	v_and_b32_e32 v5, 0xf0f0f0f, v5
	v_and_b32_e32 v90, 16, v90
	v_and_b32_e32 v91, 0x1000, v91
	v_lshlrev_b32_e32 v94, 2, v88
	v_lshlrev_b32_e32 v88, 9, v88
	v_and_b32_e32 v89, 0x10000000, v89
	v_and_b32_e32 v86, 0x10000000, v86
	;; [unrolled: 1-line block ×4, first 2 shown]
	v_or3_b32 v5, v90, v5, v91
	v_and_b32_e32 v90, 0x100000, v94
	v_and_b32_e32 v88, 0x10000000, v88
	v_or3_b32 v73, v73, v81, v82
	v_or3_b32 v81, v83, v84, v89
	;; [unrolled: 1-line block ×5, first 2 shown]
	ds_write2_b32 v32, v76, v77 offset1:1
	ds_write2_b32 v33, v78, v79 offset1:1
	;; [unrolled: 1-line block ×5, first 2 shown]
	s_waitcnt vmcnt(3)
	ds_write_b32 v67, v71
	s_waitcnt vmcnt(2)
	ds_write_b32 v68, v72
	;; [unrolled: 2-line block ×4, first 2 shown]
	s_cbranch_scc0 .LBB223_4
; %bb.6:                                ;   in Loop: Header=BB223_5 Depth=1
	v_add_nc_u32_e32 v4, s17, v11
	v_cmp_gt_i32_e64 s1, s9, v4
	s_and_b32 s5, s0, s1
	s_and_saveexec_b32 s1, s5
	s_cbranch_execz .LBB223_8
; %bb.7:                                ;   in Loop: Header=BB223_5 Depth=1
	v_add_nc_u32_e32 v4, v56, v4
	v_mad_i64_i32 v[4:5], null, v4, 36, v[1:2]
	global_load_dword v4, v[4:5], off offset:4
	s_waitcnt vmcnt(0)
	ds_write_b32 v52, v4
.LBB223_8:                              ;   in Loop: Header=BB223_5 Depth=1
	s_or_b32 exec_lo, exec_lo, s1
	v_add_nc_u32_e32 v4, s17, v0
	v_cmp_gt_i32_e64 s1, s9, v4
	s_and_b32 s5, s18, s1
	s_and_saveexec_b32 s1, s5
	s_cbranch_execz .LBB223_10
; %bb.9:                                ;   in Loop: Header=BB223_5 Depth=1
	v_add_nc_u32_e32 v5, v56, v4
	v_mad_i64_i32 v[71:72], null, v5, 36, s[2:3]
	global_load_dword v5, v[71:72], off
	s_waitcnt vmcnt(0)
	ds_write_b32 v53, v5
.LBB223_10:                             ;   in Loop: Header=BB223_5 Depth=1
	s_or_b32 exec_lo, exec_lo, s1
	v_mov_b32_e32 v5, v50
	v_mov_b32_e32 v71, v54
	;; [unrolled: 1-line block ×7, first 2 shown]
	s_mov_b32 s1, -4
	s_waitcnt lgkmcnt(0)
	s_barrier
	buffer_gl0_inv
.LBB223_11:                             ;   Parent Loop BB223_5 Depth=1
                                        ; =>  This Inner Loop Header: Depth=2
	v_add_nc_u32_e32 v93, 0x2080, v71
	v_add_nc_u32_e32 v95, 0x4100, v71
	;; [unrolled: 1-line block ×3, first 2 shown]
	ds_read_b128 v[77:80], v5
	ds_read_b128 v[81:84], v5 offset:16
	ds_read2_b32 v[85:86], v71 offset1:1
	ds_read2_b32 v[87:88], v71 offset0:2 offset1:3
	ds_read2_b32 v[89:90], v71 offset0:4 offset1:5
	;; [unrolled: 1-line block ×3, first 2 shown]
	ds_read_b32 v119, v72
	ds_read_b32 v120, v73
	;; [unrolled: 1-line block ×4, first 2 shown]
	ds_read2_b32 v[93:94], v93 offset1:1
	ds_read2_b32 v[95:96], v95 offset1:1
	;; [unrolled: 1-line block ×3, first 2 shown]
	ds_read_b32 v124, v76
	v_add_nc_u32_e32 v99, 0x2088, v71
	v_add_nc_u32_e32 v101, 0x4108, v71
	;; [unrolled: 1-line block ×4, first 2 shown]
	v_mov_b32_e32 v117, 0
	v_mov_b32_e32 v118, 0
	v_add_nc_u32_e32 v107, 0x2098, v71
	v_mov_b32_e32 v123, 0
	v_add_nc_u32_e32 v109, 0x4110, v71
	v_add_nc_u32_e32 v111, 0x4118, v71
	v_mov_b32_e32 v125, 0
	v_add_nc_u32_e32 v113, 0x6190, v71
	v_add_nc_u32_e32 v115, 0x6198, v71
	ds_read2_b32 v[99:100], v99 offset1:1
	ds_read2_b32 v[101:102], v101 offset1:1
	;; [unrolled: 1-line block ×9, first 2 shown]
	v_add_nc_u32_e32 v76, 4, v76
	s_waitcnt lgkmcnt(20)
	v_dot4c_i32_i8 v117, v85, v77
	s_waitcnt lgkmcnt(12)
	v_dot4c_i32_i8 v118, v93, v77
	s_waitcnt lgkmcnt(11)
	v_dot4c_i32_i8 v123, v95, v77
	s_waitcnt lgkmcnt(10)
	v_dot4c_i32_i8 v125, v97, v77
	v_pk_mul_f16 v77, v119, v120
	v_dot4c_i32_i8 v117, v86, v81
	v_dot4c_i32_i8 v118, v94, v81
	;; [unrolled: 1-line block ×4, first 2 shown]
	v_add_nc_u32_e32 v75, 4, v75
	v_dot4c_i32_i8 v117, v87, v78
	s_waitcnt lgkmcnt(8)
	v_dot4c_i32_i8 v118, v99, v78
	s_waitcnt lgkmcnt(7)
	;; [unrolled: 2-line block ×3, first 2 shown]
	v_dot4c_i32_i8 v125, v103, v78
	v_pk_mul_f16 v78, v119, v121
	v_dot4c_i32_i8 v117, v88, v82
	v_dot4c_i32_i8 v118, v100, v82
	;; [unrolled: 1-line block ×4, first 2 shown]
	v_add_nc_u32_e32 v74, 4, v74
	v_dot4c_i32_i8 v117, v89, v79
	s_waitcnt lgkmcnt(5)
	v_dot4c_i32_i8 v118, v105, v79
	s_waitcnt lgkmcnt(3)
	;; [unrolled: 2-line block ×3, first 2 shown]
	v_dot4c_i32_i8 v125, v113, v79
	v_pk_mul_f16 v79, v119, v122
	v_dot4c_i32_i8 v117, v90, v83
	v_dot4c_i32_i8 v118, v106, v83
	;; [unrolled: 1-line block ×4, first 2 shown]
	v_add_nc_u32_e32 v73, 4, v73
	v_dot4c_i32_i8 v117, v91, v80
	v_dot4c_i32_i8 v118, v107, v80
	;; [unrolled: 1-line block ×3, first 2 shown]
	s_waitcnt lgkmcnt(0)
	v_dot4c_i32_i8 v125, v115, v80
	v_pk_mul_f16 v80, v119, v124
	v_dot4c_i32_i8 v117, v92, v84
	v_dot4c_i32_i8 v118, v108, v84
	;; [unrolled: 1-line block ×4, first 2 shown]
	v_add_nc_u32_e32 v72, 4, v72
	v_cvt_f32_i32_e32 v81, v117
	v_cvt_f32_i32_e32 v82, v118
	;; [unrolled: 1-line block ×4, first 2 shown]
	v_add_nc_u32_e32 v71, 32, v71
	v_fma_mix_f32 v77, v77, v81, v77 op_sel:[0,0,1] op_sel_hi:[1,0,1]
	v_fma_mix_f32 v78, v78, v82, v78 op_sel:[0,0,1] op_sel_hi:[1,0,1]
	;; [unrolled: 1-line block ×4, first 2 shown]
	v_add_nc_u32_e32 v5, 32, v5
	v_add_f32_e32 v7, v7, v77
	v_add_f32_e32 v43, v43, v78
	;; [unrolled: 1-line block ×4, first 2 shown]
	s_add_i32 s1, s1, 4
	s_cmp_lt_u32 s1, 12
	s_cbranch_scc1 .LBB223_11
; %bb.12:                               ;   in Loop: Header=BB223_5 Depth=1
	s_bitset1_b32 s4, 7
	s_cmp_ge_i32 s4, s15
	s_barrier
	buffer_gl0_inv
	s_cbranch_scc1 .LBB223_4
; %bb.13:                               ;   in Loop: Header=BB223_5 Depth=1
	v_add_nc_u32_e32 v5, s17, v55
	v_cmp_gt_i32_e64 s1, s9, v5
	s_and_b32 s4, s0, s1
	s_and_saveexec_b32 s1, s4
	s_cbranch_execz .LBB223_15
; %bb.14:                               ;   in Loop: Header=BB223_5 Depth=1
	v_add_nc_u32_e32 v5, v56, v5
	v_mad_i64_i32 v[71:72], null, v5, 36, v[1:2]
	global_load_dword v5, v[71:72], off offset:4
	s_waitcnt vmcnt(0)
	ds_write_b32 v52, v5
.LBB223_15:                             ;   in Loop: Header=BB223_5 Depth=1
	s_or_b32 exec_lo, exec_lo, s1
	s_and_saveexec_b32 s4, vcc_lo
	s_cbranch_execz .LBB223_18
; %bb.16:                               ;   in Loop: Header=BB223_5 Depth=1
	v_or_b32_e32 v5, 4, v4
	v_cmp_gt_i32_e64 s1, s9, v5
	s_and_b32 s1, s0, s1
	s_and_b32 exec_lo, exec_lo, s1
	s_cbranch_execz .LBB223_18
; %bb.17:                               ;   in Loop: Header=BB223_5 Depth=1
	v_ashrrev_i32_e32 v5, 31, v4
	v_add_co_u32 v4, s1, v56, v4
	v_add_co_ci_u32_e64 v71, null, v57, v5, s1
	v_mad_u64_u32 v[4:5], null, v4, 36, s[2:3]
	v_mad_i32_i24 v5, v71, 36, v5
	global_load_dword v4, v[4:5], off offset:144
	s_waitcnt vmcnt(0)
	ds_write_b32 v53, v4
.LBB223_18:                             ;   in Loop: Header=BB223_5 Depth=1
	s_or_b32 exec_lo, exec_lo, s4
	v_mov_b32_e32 v4, v51
	v_mov_b32_e32 v5, v50
	;; [unrolled: 1-line block ×7, first 2 shown]
	s_mov_b32 s1, 12
	s_waitcnt lgkmcnt(0)
	s_barrier
	buffer_gl0_inv
.LBB223_19:                             ;   Parent Loop BB223_5 Depth=1
                                        ; =>  This Inner Loop Header: Depth=2
	v_add_nc_u32_e32 v92, 0x2080, v71
	v_add_nc_u32_e32 v94, 0x4100, v71
	;; [unrolled: 1-line block ×3, first 2 shown]
	ds_read_b128 v[76:79], v5
	ds_read_b32 v116, v4
	ds_read_b128 v[80:83], v5 offset:16
	ds_read2_b32 v[84:85], v71 offset1:1
	ds_read_b32 v118, v72
	ds_read2_b32 v[86:87], v71 offset0:2 offset1:3
	ds_read2_b32 v[88:89], v71 offset0:4 offset1:5
	;; [unrolled: 1-line block ×3, first 2 shown]
	ds_read_b32 v120, v73
	ds_read_b32 v121, v74
	ds_read2_b32 v[92:93], v92 offset1:1
	ds_read2_b32 v[94:95], v94 offset1:1
	ds_read2_b32 v[96:97], v96 offset1:1
	ds_read_b32 v123, v75
	v_add_nc_u32_e32 v98, 0x2088, v71
	v_add_nc_u32_e32 v100, 0x4108, v71
	;; [unrolled: 1-line block ×4, first 2 shown]
	v_mov_b32_e32 v117, 0
	v_mov_b32_e32 v119, 0
	v_add_nc_u32_e32 v106, 0x2098, v71
	v_mov_b32_e32 v122, 0
	v_add_nc_u32_e32 v108, 0x4110, v71
	v_add_nc_u32_e32 v110, 0x4118, v71
	v_mov_b32_e32 v124, 0
	v_add_nc_u32_e32 v112, 0x6190, v71
	v_add_nc_u32_e32 v114, 0x6198, v71
	ds_read2_b32 v[98:99], v98 offset1:1
	ds_read2_b32 v[100:101], v100 offset1:1
	;; [unrolled: 1-line block ×9, first 2 shown]
	v_add_nc_u32_e32 v75, 4, v75
	v_add_nc_u32_e32 v74, 4, v74
	s_waitcnt lgkmcnt(19)
	v_dot4c_i32_i8 v117, v84, v76
	s_waitcnt lgkmcnt(12)
	v_dot4c_i32_i8 v119, v92, v76
	;; [unrolled: 2-line block ×4, first 2 shown]
	v_pk_mul_f16 v76, v116, v118
	v_dot4c_i32_i8 v117, v85, v80
	v_dot4c_i32_i8 v119, v93, v80
	v_dot4c_i32_i8 v122, v95, v80
	v_dot4c_i32_i8 v124, v97, v80
	v_add_nc_u32_e32 v73, 4, v73
	v_dot4c_i32_i8 v117, v86, v77
	s_waitcnt lgkmcnt(8)
	v_dot4c_i32_i8 v119, v98, v77
	s_waitcnt lgkmcnt(7)
	;; [unrolled: 2-line block ×3, first 2 shown]
	v_dot4c_i32_i8 v124, v102, v77
	v_pk_mul_f16 v77, v116, v120
	v_dot4c_i32_i8 v117, v87, v81
	v_dot4c_i32_i8 v119, v99, v81
	;; [unrolled: 1-line block ×4, first 2 shown]
	v_add_nc_u32_e32 v72, 4, v72
	v_dot4c_i32_i8 v117, v88, v78
	s_waitcnt lgkmcnt(5)
	v_dot4c_i32_i8 v119, v104, v78
	s_waitcnt lgkmcnt(3)
	;; [unrolled: 2-line block ×3, first 2 shown]
	v_dot4c_i32_i8 v124, v112, v78
	v_pk_mul_f16 v78, v116, v121
	v_dot4c_i32_i8 v117, v89, v82
	v_dot4c_i32_i8 v119, v105, v82
	;; [unrolled: 1-line block ×4, first 2 shown]
	v_add_nc_u32_e32 v71, 32, v71
	v_dot4c_i32_i8 v117, v90, v79
	v_dot4c_i32_i8 v119, v106, v79
	;; [unrolled: 1-line block ×3, first 2 shown]
	s_waitcnt lgkmcnt(0)
	v_dot4c_i32_i8 v124, v114, v79
	v_pk_mul_f16 v79, v116, v123
	v_dot4c_i32_i8 v117, v91, v83
	v_dot4c_i32_i8 v119, v107, v83
	;; [unrolled: 1-line block ×4, first 2 shown]
	v_add_nc_u32_e32 v5, 32, v5
	v_cvt_f32_i32_e32 v80, v117
	v_cvt_f32_i32_e32 v81, v119
	;; [unrolled: 1-line block ×4, first 2 shown]
	v_add_nc_u32_e32 v4, 4, v4
	v_fma_mix_f32 v76, v76, v80, v76 op_sel:[0,0,1] op_sel_hi:[1,0,1]
	v_fma_mix_f32 v77, v77, v81, v77 op_sel:[0,0,1] op_sel_hi:[1,0,1]
	;; [unrolled: 1-line block ×4, first 2 shown]
	s_add_i32 s1, s1, 4
	v_add_f32_e32 v7, v7, v76
	v_add_f32_e32 v43, v43, v77
	;; [unrolled: 1-line block ×4, first 2 shown]
	s_cmp_lt_u32 s1, 28
	s_cbranch_scc1 .LBB223_19
; %bb.20:                               ;   in Loop: Header=BB223_5 Depth=1
	s_barrier
	buffer_gl0_inv
	s_branch .LBB223_4
.LBB223_21:
	s_mul_i32 s0, s11, s8
	s_waitcnt vmcnt(0)
	v_cmp_gt_i32_e32 vcc_lo, s0, v6
	s_and_saveexec_b32 s0, vcc_lo
	s_cbranch_execz .LBB223_30
; %bb.22:
	v_add_nc_u32_e32 v1, s6, v0
	v_mul_lo_u32 v0, v6, s10
	s_mov_b32 s0, exec_lo
	v_cmpx_gt_u32_e64 s10, v1
	s_cbranch_execz .LBB223_24
; %bb.23:
	v_add_nc_u32_e32 v4, v0, v1
	v_mov_b32_e32 v5, 0
	v_bfe_u32 v2, v7, 16, 1
	v_cmp_o_f32_e32 vcc_lo, v7, v7
	v_mov_b32_e32 v6, 0x7fc0
	v_lshlrev_b64 v[4:5], 1, v[4:5]
	v_add3_u32 v2, v7, v2, 0x7fff
	v_cndmask_b32_sdwa v2, v6, v2, vcc_lo dst_sel:DWORD dst_unused:UNUSED_PAD src0_sel:DWORD src1_sel:WORD_1
	v_add_co_u32 v4, vcc_lo, s12, v4
	v_add_co_ci_u32_e64 v5, null, s13, v5, vcc_lo
	global_store_short v[4:5], v2, off
.LBB223_24:
	s_or_b32 exec_lo, exec_lo, s0
	v_add_nc_u32_e32 v2, 32, v1
	s_mov_b32 s0, exec_lo
	v_cmpx_gt_u32_e64 s10, v2
	s_cbranch_execz .LBB223_26
; %bb.25:
	v_add_nc_u32_e32 v4, v0, v2
	v_mov_b32_e32 v5, 0
	v_bfe_u32 v6, v43, 16, 1
	v_cmp_o_f32_e32 vcc_lo, v43, v43
	v_mov_b32_e32 v2, 0x7fc0
	v_lshlrev_b64 v[4:5], 1, v[4:5]
	v_add3_u32 v6, v43, v6, 0x7fff
	v_cndmask_b32_sdwa v2, v2, v6, vcc_lo dst_sel:DWORD dst_unused:UNUSED_PAD src0_sel:DWORD src1_sel:WORD_1
	v_add_co_u32 v4, vcc_lo, s12, v4
	v_add_co_ci_u32_e64 v5, null, s13, v5, vcc_lo
	global_store_short v[4:5], v2, off
.LBB223_26:
	s_or_b32 exec_lo, exec_lo, s0
	v_add_nc_u32_e32 v2, 64, v1
	;; [unrolled: 18-line block ×3, first 2 shown]
	v_cmp_gt_u32_e32 vcc_lo, s10, v1
	s_and_b32 exec_lo, exec_lo, vcc_lo
	s_cbranch_execz .LBB223_30
; %bb.29:
	v_add_nc_u32_e32 v0, v0, v1
	v_mov_b32_e32 v1, 0
	v_bfe_u32 v2, v3, 16, 1
	v_cmp_o_f32_e32 vcc_lo, v3, v3
	v_mov_b32_e32 v4, 0x7fc0
	v_lshlrev_b64 v[0:1], 1, v[0:1]
	v_add3_u32 v2, v3, v2, 0x7fff
	v_cndmask_b32_sdwa v2, v4, v2, vcc_lo dst_sel:DWORD dst_unused:UNUSED_PAD src0_sel:DWORD src1_sel:WORD_1
	v_add_co_u32 v0, vcc_lo, s12, v0
	v_add_co_ci_u32_e64 v1, null, s13, v1, vcc_lo
	global_store_short v[0:1], v2, off
.LBB223_30:
	s_endpgm
	.section	.rodata,"a",@progbits
	.p2align	6, 0x0
	.amdhsa_kernel _ZL8moe_q5_1IN3c108BFloat16ELb0EEvPKvS3_PT_PKiS7_S7_iiiiiii
		.amdhsa_group_segment_fixed_size 38656
		.amdhsa_private_segment_fixed_size 0
		.amdhsa_kernarg_size 76
		.amdhsa_user_sgpr_count 6
		.amdhsa_user_sgpr_private_segment_buffer 1
		.amdhsa_user_sgpr_dispatch_ptr 0
		.amdhsa_user_sgpr_queue_ptr 0
		.amdhsa_user_sgpr_kernarg_segment_ptr 1
		.amdhsa_user_sgpr_dispatch_id 0
		.amdhsa_user_sgpr_flat_scratch_init 0
		.amdhsa_user_sgpr_private_segment_size 0
		.amdhsa_wavefront_size32 1
		.amdhsa_uses_dynamic_stack 0
		.amdhsa_system_sgpr_private_segment_wavefront_offset 0
		.amdhsa_system_sgpr_workgroup_id_x 1
		.amdhsa_system_sgpr_workgroup_id_y 1
		.amdhsa_system_sgpr_workgroup_id_z 0
		.amdhsa_system_sgpr_workgroup_info 0
		.amdhsa_system_vgpr_workitem_id 1
		.amdhsa_next_free_vgpr 179
		.amdhsa_next_free_sgpr 19
		.amdhsa_reserve_vcc 1
		.amdhsa_reserve_flat_scratch 0
		.amdhsa_float_round_mode_32 0
		.amdhsa_float_round_mode_16_64 0
		.amdhsa_float_denorm_mode_32 3
		.amdhsa_float_denorm_mode_16_64 3
		.amdhsa_dx10_clamp 1
		.amdhsa_ieee_mode 1
		.amdhsa_fp16_overflow 0
		.amdhsa_workgroup_processor_mode 1
		.amdhsa_memory_ordered 1
		.amdhsa_forward_progress 1
		.amdhsa_shared_vgpr_count 0
		.amdhsa_exception_fp_ieee_invalid_op 0
		.amdhsa_exception_fp_denorm_src 0
		.amdhsa_exception_fp_ieee_div_zero 0
		.amdhsa_exception_fp_ieee_overflow 0
		.amdhsa_exception_fp_ieee_underflow 0
		.amdhsa_exception_fp_ieee_inexact 0
		.amdhsa_exception_int_div_zero 0
	.end_amdhsa_kernel
	.section	.text._ZL8moe_q5_1IN3c108BFloat16ELb0EEvPKvS3_PT_PKiS7_S7_iiiiiii,"axG",@progbits,_ZL8moe_q5_1IN3c108BFloat16ELb0EEvPKvS3_PT_PKiS7_S7_iiiiiii,comdat
.Lfunc_end223:
	.size	_ZL8moe_q5_1IN3c108BFloat16ELb0EEvPKvS3_PT_PKiS7_S7_iiiiiii, .Lfunc_end223-_ZL8moe_q5_1IN3c108BFloat16ELb0EEvPKvS3_PT_PKiS7_S7_iiiiiii
                                        ; -- End function
	.set _ZL8moe_q5_1IN3c108BFloat16ELb0EEvPKvS3_PT_PKiS7_S7_iiiiiii.num_vgpr, 179
	.set _ZL8moe_q5_1IN3c108BFloat16ELb0EEvPKvS3_PT_PKiS7_S7_iiiiiii.num_agpr, 0
	.set _ZL8moe_q5_1IN3c108BFloat16ELb0EEvPKvS3_PT_PKiS7_S7_iiiiiii.numbered_sgpr, 19
	.set _ZL8moe_q5_1IN3c108BFloat16ELb0EEvPKvS3_PT_PKiS7_S7_iiiiiii.num_named_barrier, 0
	.set _ZL8moe_q5_1IN3c108BFloat16ELb0EEvPKvS3_PT_PKiS7_S7_iiiiiii.private_seg_size, 0
	.set _ZL8moe_q5_1IN3c108BFloat16ELb0EEvPKvS3_PT_PKiS7_S7_iiiiiii.uses_vcc, 1
	.set _ZL8moe_q5_1IN3c108BFloat16ELb0EEvPKvS3_PT_PKiS7_S7_iiiiiii.uses_flat_scratch, 0
	.set _ZL8moe_q5_1IN3c108BFloat16ELb0EEvPKvS3_PT_PKiS7_S7_iiiiiii.has_dyn_sized_stack, 0
	.set _ZL8moe_q5_1IN3c108BFloat16ELb0EEvPKvS3_PT_PKiS7_S7_iiiiiii.has_recursion, 0
	.set _ZL8moe_q5_1IN3c108BFloat16ELb0EEvPKvS3_PT_PKiS7_S7_iiiiiii.has_indirect_call, 0
	.section	.AMDGPU.csdata,"",@progbits
; Kernel info:
; codeLenInByte = 6464
; TotalNumSgprs: 21
; NumVgprs: 179
; ScratchSize: 0
; MemoryBound: 0
; FloatMode: 240
; IeeeMode: 1
; LDSByteSize: 38656 bytes/workgroup (compile time only)
; SGPRBlocks: 0
; VGPRBlocks: 22
; NumSGPRsForWavesPerEU: 21
; NumVGPRsForWavesPerEU: 179
; Occupancy: 5
; WaveLimiterHint : 1
; COMPUTE_PGM_RSRC2:SCRATCH_EN: 0
; COMPUTE_PGM_RSRC2:USER_SGPR: 6
; COMPUTE_PGM_RSRC2:TRAP_HANDLER: 0
; COMPUTE_PGM_RSRC2:TGID_X_EN: 1
; COMPUTE_PGM_RSRC2:TGID_Y_EN: 1
; COMPUTE_PGM_RSRC2:TGID_Z_EN: 0
; COMPUTE_PGM_RSRC2:TIDIG_COMP_CNT: 1
	.section	.text._ZL8moe_q5_1IN3c108BFloat16ELb1EEvPKvS3_PT_PKiS7_S7_iiiiiii,"axG",@progbits,_ZL8moe_q5_1IN3c108BFloat16ELb1EEvPKvS3_PT_PKiS7_S7_iiiiiii,comdat
	.globl	_ZL8moe_q5_1IN3c108BFloat16ELb1EEvPKvS3_PT_PKiS7_S7_iiiiiii ; -- Begin function _ZL8moe_q5_1IN3c108BFloat16ELb1EEvPKvS3_PT_PKiS7_S7_iiiiiii
	.p2align	8
	.type	_ZL8moe_q5_1IN3c108BFloat16ELb1EEvPKvS3_PT_PKiS7_S7_iiiiiii,@function
_ZL8moe_q5_1IN3c108BFloat16ELb1EEvPKvS3_PT_PKiS7_S7_iiiiiii: ; @_ZL8moe_q5_1IN3c108BFloat16ELb1EEvPKvS3_PT_PKiS7_S7_iiiiiii
; %bb.0:
	s_load_dwordx4 s[0:3], s[4:5], 0x18
	s_mov_b32 s8, s7
	s_mov_b32 s9, 0
	s_lshl_b64 s[10:11], s[8:9], 2
	s_waitcnt lgkmcnt(0)
	s_add_u32 s2, s2, s10
	s_addc_u32 s3, s3, s11
	s_load_dword s2, s[2:3], 0x0
	s_waitcnt lgkmcnt(0)
	s_cmpk_gt_u32 s2, 0xff
	s_cbranch_scc1 .LBB224_30
; %bb.1:
	s_load_dwordx2 s[10:11], s[4:5], 0x28
	s_lshl_b32 s3, s8, 3
	s_waitcnt lgkmcnt(0)
	s_load_dword s7, s[10:11], 0x0
	s_waitcnt lgkmcnt(0)
	s_cmp_gt_u32 s3, s7
	s_cbranch_scc1 .LBB224_30
; %bb.2:
	v_add_nc_u32_e32 v12, s3, v1
	v_mov_b32_e32 v13, 0
	v_lshlrev_b64 v[2:3], 2, v[12:13]
	v_mov_b32_e32 v45, v13
	v_mov_b32_e32 v49, v13
	;; [unrolled: 1-line block ×3, first 2 shown]
	v_add_co_u32 v2, vcc_lo, s0, v2
	v_add_co_ci_u32_e64 v3, null, s1, v3, vcc_lo
	global_load_dword v23, v[2:3], off
	s_clause 0x1
	s_load_dwordx8 s[8:15], s[4:5], 0x30
	s_load_dwordx2 s[16:17], s[4:5], 0x10
	s_waitcnt lgkmcnt(0)
	s_lshl_b32 s15, s6, 7
	s_cmp_lt_i32 s9, 32
	s_cbranch_scc1 .LBB224_21
; %bb.3:
	s_load_dwordx4 s[4:7], s[4:5], 0x0
	s_ashr_i32 s0, s9, 31
	s_ashr_i32 s1, s12, 31
	s_lshr_b32 s0, s0, 27
	s_lshr_b32 s1, s1, 27
	s_add_i32 s0, s9, s0
	s_mul_i32 s2, s2, s8
	s_ashr_i32 s8, s0, 5
	s_add_i32 s0, s12, s1
	s_mul_i32 s1, s8, s15
	s_ashr_i32 s3, s2, 31
	s_ashr_i32 s12, s0, 5
	s_mul_hi_i32 s0, s1, 24
	s_mul_i32 s1, s1, 24
	v_add_nc_u32_e32 v2, 8, v1
	v_add_nc_u32_e32 v3, 16, v1
	;; [unrolled: 1-line block ×4, first 2 shown]
	v_lshlrev_b32_e32 v20, 2, v0
	v_lshlrev_b32_e32 v19, 3, v0
	s_waitcnt lgkmcnt(0)
	s_add_u32 s2, s4, s2
	s_addc_u32 s3, s5, s3
	s_add_u32 s4, s2, s1
	s_addc_u32 s5, s3, s0
	s_not_b32 s0, s15
	v_add_nc_u32_e32 v9, 40, v1
	s_add_i32 s0, s10, s0
	v_add_nc_u32_e32 v10, 48, v1
	v_min_i32_e32 v4, s0, v1
	v_min_i32_e32 v5, s0, v2
	;; [unrolled: 1-line block ×3, first 2 shown]
	v_add_nc_u32_e32 v11, 56, v1
	v_min_i32_e32 v7, s0, v7
	v_add_nc_u32_e32 v12, 64, v1
	v_min_i32_e32 v8, s0, v8
	v_add_nc_u32_e32 v13, 0x48, v1
	v_mad_u64_u32 v[2:3], null, 0x104, v4, v[19:20]
	v_min_i32_e32 v9, s0, v9
	v_add_nc_u32_e32 v14, 0x50, v1
	v_mul_lo_u32 v27, v4, s8
	v_mad_u64_u32 v[3:4], null, 0x104, v5, v[19:20]
	v_min_i32_e32 v10, s0, v10
	v_mul_lo_u32 v28, v5, s8
	v_mad_u64_u32 v[4:5], null, 0x104, v6, v[19:20]
	v_min_i32_e32 v11, s0, v11
	;; [unrolled: 3-line block ×5, first 2 shown]
	v_mul_lo_u32 v32, v9, s8
	v_mad_u64_u32 v[8:9], null, 0x104, v10, v[19:20]
	v_add_nc_u32_e32 v16, 0x60, v1
	v_mul_lo_u32 v33, v10, s8
	v_mad_u64_u32 v[9:10], null, 0x104, v11, v[19:20]
	v_mul_lo_u32 v34, v11, s8
	v_mad_u64_u32 v[10:11], null, 0x104, v12, v[19:20]
	v_mul_lo_u32 v35, v12, s8
	v_mad_u64_u32 v[11:12], null, 0x104, v13, v[19:20]
	s_abs_i32 s1, s14
	v_mul_lo_u32 v36, v13, s8
	v_mad_u64_u32 v[12:13], null, 0x104, v14, v[19:20]
	v_min_i32_e32 v13, s0, v16
	v_cvt_f32_u32_e32 v16, s1
	v_add_nc_u32_e32 v15, 0x58, v1
	v_add_nc_u32_e32 v21, 0x70, v1
	v_lshrrev_b32_e32 v40, 3, v0
	v_add_nc_u32_e32 v17, 0x68, v1
	v_rcp_iflag_f32_e32 v18, v16
	v_min_i32_e32 v15, s0, v15
	v_mul_lo_u32 v37, v14, s8
	v_mul_lo_u32 v39, v13, s8
	v_lshl_add_u32 v22, v1, 2, v40
	s_sub_i32 s2, 0, s1
	v_mul_lo_u32 v38, v15, s8
	v_mad_u64_u32 v[14:15], null, 0x104, v15, v[19:20]
	v_mad_u64_u32 v[15:16], null, 0x104, v13, v[19:20]
	v_mul_f32_e32 v18, 0x4f7ffffe, v18
	v_min_i32_e32 v13, s0, v21
	v_add_nc_u32_e32 v21, 0x78, v1
	v_min_i32_e32 v17, s0, v17
	v_add_nc_u32_e32 v48, 32, v22
	v_cvt_u32_f32_e32 v47, v18
	s_waitcnt vmcnt(0)
	v_sub_nc_u32_e32 v49, 0, v23
	v_min_i32_e32 v21, s0, v21
	v_mul_lo_u32 v41, v17, s8
	v_mad_u64_u32 v[16:17], null, 0x104, v17, v[19:20]
	v_mul_lo_u32 v46, s2, v47
	v_mad_u64_u32 v[17:18], null, 0x104, v13, v[19:20]
	v_mad_u64_u32 v[18:19], null, 0x104, v21, v[19:20]
	v_min_i32_e32 v19, s0, v48
	v_mul_lo_u32 v43, v21, s8
	v_add_nc_u32_e32 v21, 64, v22
	v_mul_hi_u32 v48, v47, v46
	v_max_i32_e32 v49, v23, v49
	v_ashrrev_i32_e32 v50, 31, v19
	v_and_b32_e32 v44, 7, v0
	v_min_i32_e32 v21, s0, v21
	v_min_i32_e32 v45, s0, v22
	v_add_nc_u32_e32 v22, 0x60, v22
	v_mul_lo_u32 v42, v13, s8
	v_add_nc_u32_e32 v47, v47, v48
	v_lshrrev_b32_e32 v48, 30, v50
	v_ashrrev_i32_e32 v50, 31, v21
	v_lshlrev_b32_e32 v51, 2, v44
	v_min_i32_e32 v22, s0, v22
	v_mul_hi_u32 v52, v49, v47
	v_add_nc_u32_e32 v47, v19, v48
	v_lshrrev_b32_e32 v48, 30, v50
	v_ashrrev_i32_e32 v13, 31, v45
	v_ashrrev_i32_e32 v54, 31, v22
	v_lshlrev_b32_e32 v69, 5, v19
	v_and_b32_e32 v50, -4, v47
	v_add_nc_u32_e32 v48, v21, v48
	v_mul_lo_u32 v53, v52, s1
	v_lshrrev_b32_e32 v13, 30, v13
	v_mul_lo_u32 v47, v19, s8
	v_add3_u32 v68, v50, v51, 0x8200
	v_and_b32_e32 v50, -4, v48
	v_lshrrev_b32_e32 v19, 30, v54
	v_add_nc_u32_e32 v13, v45, v13
	v_xor_b32_e32 v54, s14, v23
	v_sub_nc_u32_e32 v49, v49, v53
	v_add3_u32 v70, v50, v51, 0x8200
	v_add_nc_u32_e32 v50, 1, v52
	v_add_nc_u32_e32 v19, v22, v19
	v_and_b32_e32 v13, -4, v13
	v_subrev_nc_u32_e32 v53, s1, v49
	v_cmp_le_u32_e32 vcc_lo, s1, v49
	v_ashrrev_i32_e32 v54, 31, v54
	v_and_b32_e32 v19, -4, v19
	v_add3_u32 v13, v13, v51, 0x8200
	v_and_b32_e32 v26, 12, v20
	v_cndmask_b32_e32 v52, v52, v50, vcc_lo
	v_cndmask_b32_e32 v49, v49, v53, vcc_lo
	v_add3_u32 v71, v19, v51, 0x8200
	v_and_b32_e32 v19, 31, v0
	v_lshl_add_u32 v51, v1, 7, 0x9280
	v_add_nc_u32_e32 v53, 1, v52
	v_cmp_le_u32_e32 vcc_lo, s1, v49
	v_lshl_add_u32 v1, v1, 4, 0x9680
	v_and_b32_e32 v57, 28, v20
	v_add_nc_u32_e32 v58, 0x60, v0
	v_lshlrev_b32_e32 v59, 5, v0
	v_cndmask_b32_e32 v49, v52, v53, vcc_lo
	v_lshl_or_b32 v52, v19, 2, v51
	v_add_nc_u32_e32 v53, v1, v20
	v_add_nc_u32_e32 v19, 32, v0
	v_and_b32_e32 v58, 0x1fc, v58
	v_xor_b32_e32 v49, v49, v54
	v_and_b32_e32 v61, 0xfc, v0
	v_mul_lo_u32 v46, v45, s8
	v_and_b32_e32 v60, 0x1fc, v19
	v_lshlrev_b32_e32 v45, 5, v45
	v_sub_nc_u32_e32 v20, v49, v54
	v_add_nc_u32_e32 v49, 64, v0
	v_mul_lo_u32 v48, v21, s8
	v_lshlrev_b32_e32 v21, 5, v21
	v_mul_lo_u32 v50, v22, s8
	v_mul_lo_u32 v56, v20, s12
	v_and_b32_e32 v49, 0x1fc, v49
	v_lshlrev_b32_e32 v22, 5, v22
	v_add_nc_u32_e32 v62, v59, v58
	v_add_nc_u32_e32 v64, v59, v60
	;; [unrolled: 1-line block ×4, first 2 shown]
	v_lshrrev_b32_e32 v55, 3, v19
	v_add_co_u32 v19, s1, s6, v57
	v_cmp_gt_u32_e32 vcc_lo, 4, v0
	v_cmp_gt_i32_e64 s0, s11, v20
	v_add_co_ci_u32_e64 v20, null, s7, 0, s1
	s_movk_i32 s1, 0x80
	v_lshrrev_b32_e32 v25, 2, v0
	v_mov_b32_e32 v24, 0
	v_mul_u32_u24_e32 v54, 0x104, v0
	v_ashrrev_i32_e32 v57, 31, v56
	v_add_nc_u32_e32 v58, 0x8e00, v62
	v_add_nc_u32_e32 v59, 0x8a00, v49
	;; [unrolled: 1-line block ×8, first 2 shown]
	v_mad_u32_u24 v66, 0x104, v0, s1
	v_add_nc_u32_e32 v67, v13, v45
	v_add_nc_u32_e32 v68, v68, v69
	v_add_nc_u32_e32 v69, v70, v21
	v_add_nc_u32_e32 v70, v71, v22
	v_mov_b32_e32 v49, 0
	v_mov_b32_e32 v45, 0
	;; [unrolled: 1-line block ×3, first 2 shown]
	s_mov_b32 s10, 0
	s_and_b32 s18, vcc_lo, s0
	s_branch .LBB224_5
.LBB224_4:                              ;   in Loop: Header=BB224_5 Depth=1
	s_add_i32 s10, s10, 8
	s_cmp_ge_i32 s10, s8
	s_cbranch_scc1 .LBB224_21
.LBB224_5:                              ; =>This Loop Header: Depth=1
                                        ;     Child Loop BB224_11 Depth 2
                                        ;     Child Loop BB224_19 Depth 2
	s_mul_i32 s1, s10, 24
	s_mul_hi_u32 s3, s10, 24
	s_add_u32 s2, s4, s1
	s_addc_u32 s3, s5, s3
	v_mad_u64_u32 v[21:22], null, v25, 24, s[2:3]
	v_mad_i64_i32 v[71:72], null, v27, 24, v[21:22]
	v_mad_i64_i32 v[73:74], null, v28, 24, v[21:22]
	;; [unrolled: 1-line block ×4, first 2 shown]
	s_clause 0x1
	global_load_dword v92, v[73:74], off offset:4
	global_load_dword v93, v[71:72], off offset:4
	v_add_co_u32 v71, s1, v71, v26
	v_add_co_ci_u32_e64 v72, null, 0, v72, s1
	v_add_co_u32 v73, s1, v73, v26
	v_mad_i64_i32 v[79:80], null, v31, 24, v[21:22]
	v_mad_i64_i32 v[81:82], null, v32, 24, v[21:22]
	v_add_co_ci_u32_e64 v74, null, 0, v74, s1
	v_mad_i64_i32 v[83:84], null, v33, 24, v[21:22]
	v_mad_i64_i32 v[85:86], null, v34, 24, v[21:22]
	;; [unrolled: 1-line block ×4, first 2 shown]
	s_clause 0x9
	global_load_dword v94, v[75:76], off offset:4
	global_load_dword v95, v[77:78], off offset:4
	;; [unrolled: 1-line block ×10, first 2 shown]
	v_add_co_u32 v71, s1, v75, v26
	v_add_co_ci_u32_e64 v72, null, 0, v76, s1
	v_add_co_u32 v73, s1, v77, v26
	v_add_co_ci_u32_e64 v74, null, 0, v78, s1
	global_load_dword v104, v[71:72], off offset:8
	v_mad_i64_i32 v[76:77], null, v38, 24, v[21:22]
	global_load_dword v105, v[73:74], off offset:8
	v_add_co_u32 v71, s1, v79, v26
	v_add_co_ci_u32_e64 v72, null, 0, v80, s1
	v_add_co_u32 v73, s1, v81, v26
	v_add_co_ci_u32_e64 v74, null, 0, v82, s1
	global_load_dword v106, v[71:72], off offset:8
	v_mad_i64_i32 v[78:79], null, v39, 24, v[21:22]
	global_load_dword v107, v[73:74], off offset:8
	v_add_co_u32 v71, s1, v83, v26
	v_add_co_ci_u32_e64 v72, null, 0, v84, s1
	v_add_co_u32 v73, s1, v85, v26
	v_add_co_ci_u32_e64 v74, null, 0, v86, s1
	s_clause 0x1
	global_load_dword v108, v[71:72], off offset:8
	global_load_dword v109, v[73:74], off offset:8
	v_add_co_u32 v71, s1, v87, v26
	v_add_co_ci_u32_e64 v72, null, 0, v88, s1
	global_load_dword v111, v[78:79], off offset:4
	v_mad_i64_i32 v[82:83], null, v43, 24, v[21:22]
	global_load_dword v110, v[71:72], off offset:8
	v_add_co_u32 v71, s1, v89, v26
	v_add_co_ci_u32_e64 v72, null, 0, v90, s1
	v_mad_i64_i32 v[84:85], null, v42, 24, v[21:22]
	v_mad_i64_i32 v[80:81], null, v41, 24, v[21:22]
	global_load_dword v75, v[71:72], off offset:8
	v_mad_i64_i32 v[71:72], null, v37, 24, v[21:22]
	global_load_dword v74, v[71:72], off offset:4
	v_add_co_u32 v71, s1, v71, v26
	v_add_co_ci_u32_e64 v72, null, 0, v72, s1
	s_clause 0x1
	global_load_dword v73, v[71:72], off offset:8
	global_load_dword v72, v[76:77], off offset:4
	v_add_co_u32 v76, s1, v76, v26
	v_add_co_ci_u32_e64 v77, null, 0, v77, s1
	v_add_co_u32 v78, s1, v78, v26
	v_add_co_ci_u32_e64 v79, null, 0, v79, s1
	s_clause 0x4
	global_load_dword v71, v[76:77], off offset:8
	global_load_dword v112, v[82:83], off offset:4
	;; [unrolled: 1-line block ×5, first 2 shown]
	v_mad_u64_u32 v[76:77], null, v44, 24, s[2:3]
	v_add_co_u32 v78, s1, v80, v26
	v_add_co_u32 v80, s2, v84, v26
	;; [unrolled: 1-line block ×3, first 2 shown]
	v_mad_i64_i32 v[21:22], null, v46, 24, v[76:77]
	v_mad_i64_i32 v[88:89], null, v48, 24, v[76:77]
	;; [unrolled: 1-line block ×4, first 2 shown]
	v_add_co_ci_u32_e64 v79, null, 0, v81, s1
	v_add_co_ci_u32_e64 v81, null, 0, v85, s2
	;; [unrolled: 1-line block ×3, first 2 shown]
	s_clause 0x6
	global_load_dword v22, v[21:22], off
	global_load_dword v21, v[86:87], off
	;; [unrolled: 1-line block ×4, first 2 shown]
	global_load_dword v78, v[78:79], off offset:8
	global_load_dword v79, v[80:81], off offset:8
	;; [unrolled: 1-line block ×3, first 2 shown]
	s_lshl_b32 s2, s10, 5
	s_cmp_lt_i32 s2, s9
	s_waitcnt vmcnt(35)
	v_ashrrev_i32_e32 v82, v26, v92
	s_waitcnt vmcnt(34)
	v_ashrrev_i32_e32 v81, v26, v93
	v_lshrrev_b32_e32 v116, 12, v82
	v_lshlrev_b32_e32 v91, 4, v81
	v_lshlrev_b32_e32 v92, 11, v81
	v_lshrrev_b32_e32 v117, 5, v82
	v_lshlrev_b32_e32 v93, 18, v81
	v_lshlrev_b32_e32 v118, 2, v82
	v_and_b32_e32 v91, 16, v91
	v_and_b32_e32 v92, 0x1000, v92
	;; [unrolled: 1-line block ×4, first 2 shown]
	s_waitcnt vmcnt(33)
	v_ashrrev_i32_e32 v83, v26, v94
	s_waitcnt vmcnt(32)
	v_ashrrev_i32_e32 v84, v26, v95
	;; [unrolled: 2-line block ×6, first 2 shown]
	v_lshlrev_b32_e32 v98, 4, v82
	v_lshlrev_b32_e32 v99, 11, v82
	;; [unrolled: 1-line block ×4, first 2 shown]
	s_waitcnt vmcnt(24)
	v_and_b32_e32 v158, 0xf0f0f0f, v103
	v_and_b32_e32 v98, 16, v98
	;; [unrolled: 1-line block ×3, first 2 shown]
	v_lshlrev_b32_e32 v133, 4, v85
	v_lshlrev_b32_e32 v134, 11, v85
	v_and_b32_e32 v126, 16, v126
	v_and_b32_e32 v127, 0x1000, v127
	v_or3_b32 v98, v98, v158, v99
	v_and_b32_e32 v156, 0xf0f0f0f, v102
	v_lshrrev_b32_e32 v95, 12, v81
	v_lshrrev_b32_e32 v96, 5, v81
	s_waitcnt vmcnt(22)
	v_and_b32_e32 v99, 0xf0f0f0f, v105
	v_lshrrev_b32_e32 v102, 4, v102
	v_lshrrev_b32_e32 v103, 4, v103
	v_lshlrev_b32_e32 v119, 4, v83
	v_lshlrev_b32_e32 v120, 11, v83
	v_or3_b32 v99, v126, v99, v127
	v_and_b32_e32 v127, 16, v133
	v_and_b32_e32 v133, 0x1000, v134
	v_lshrrev_b32_e32 v123, 12, v83
	s_waitcnt vmcnt(21)
	v_and_b32_e32 v126, 0xf0f0f0f, v106
	v_lshrrev_b32_e32 v124, 5, v83
	v_or3_b32 v91, v91, v156, v92
	v_and_b32_e32 v156, 0xf0f0f0f, v104
	v_lshrrev_b32_e32 v104, 4, v104
	v_lshrrev_b32_e32 v130, 12, v84
	;; [unrolled: 1-line block ×7, first 2 shown]
	v_lshlrev_b32_e32 v94, 25, v81
	v_lshlrev_b32_e32 v97, 2, v81
	;; [unrolled: 1-line block ×5, first 2 shown]
	v_lshrrev_b32_e32 v144, 12, v86
	v_lshrrev_b32_e32 v145, 5, v86
	v_lshlrev_b32_e32 v147, 4, v87
	v_lshlrev_b32_e32 v148, 11, v87
	v_lshrrev_b32_e32 v151, 12, v87
	v_lshrrev_b32_e32 v152, 5, v87
	s_waitcnt vmcnt(20)
	v_and_b32_e32 v134, 0xf0f0f0f, v107
	v_or3_b32 v126, v127, v126, v133
	s_waitcnt vmcnt(19)
	v_and_b32_e32 v133, 0xf0f0f0f, v108
	v_and_b32_e32 v95, 16, v95
	;; [unrolled: 1-line block ×4, first 2 shown]
	v_lshrrev_b32_e32 v107, 4, v107
	v_lshrrev_b32_e32 v108, 4, v108
	v_ashrrev_i32_e32 v89, v26, v100
	v_ashrrev_i32_e32 v90, v26, v101
	v_lshlrev_b32_e32 v100, 18, v82
	v_lshlrev_b32_e32 v101, 25, v82
	;; [unrolled: 1-line block ×3, first 2 shown]
	v_and_b32_e32 v103, 0xf0f0f0f, v103
	v_lshlrev_b32_e32 v121, 18, v83
	v_lshlrev_b32_e32 v122, 25, v83
	;; [unrolled: 1-line block ×4, first 2 shown]
	v_and_b32_e32 v119, 16, v119
	v_and_b32_e32 v120, 0x1000, v120
	;; [unrolled: 1-line block ×5, first 2 shown]
	v_lshlrev_b32_e32 v128, 18, v84
	v_lshlrev_b32_e32 v129, 25, v84
	;; [unrolled: 1-line block ×4, first 2 shown]
	v_and_b32_e32 v130, 16, v130
	v_and_b32_e32 v131, 0x1000, v131
	;; [unrolled: 1-line block ×3, first 2 shown]
	v_lshlrev_b32_e32 v135, 18, v85
	v_lshlrev_b32_e32 v136, 25, v85
	;; [unrolled: 1-line block ×4, first 2 shown]
	v_and_b32_e32 v137, 16, v137
	v_and_b32_e32 v138, 0x1000, v138
	;; [unrolled: 1-line block ×3, first 2 shown]
	v_lshlrev_b32_e32 v142, 18, v86
	v_lshlrev_b32_e32 v143, 25, v86
	;; [unrolled: 1-line block ×10, first 2 shown]
	v_and_b32_e32 v140, 16, v140
	v_and_b32_e32 v141, 0x1000, v141
	;; [unrolled: 1-line block ×4, first 2 shown]
	v_or3_b32 v95, v95, v102, v96
	v_and_b32_e32 v93, 0x100000, v93
	v_and_b32_e32 v94, 0x10000000, v94
	;; [unrolled: 1-line block ×14, first 2 shown]
	v_or3_b32 v103, v116, v103, v117
	v_or3_b32 v119, v119, v156, v120
	v_and_b32_e32 v121, 0x100000, v121
	v_and_b32_e32 v122, 0x10000000, v122
	v_and_b32_e32 v125, 0x100000, v125
	v_and_b32_e32 v83, 0x10000000, v83
	v_or3_b32 v104, v123, v104, v124
	v_and_b32_e32 v128, 0x100000, v128
	v_and_b32_e32 v129, 0x10000000, v129
	v_and_b32_e32 v132, 0x100000, v132
	v_and_b32_e32 v84, 0x10000000, v84
	;; [unrolled: 5-line block ×3, first 2 shown]
	v_or3_b32 v106, v137, v106, v138
	v_lshlrev_b32_e32 v127, 4, v89
	v_or3_b32 v134, v140, v134, v141
	v_lshlrev_b32_e32 v140, 11, v89
	s_waitcnt vmcnt(18)
	v_and_b32_e32 v141, 0xf0f0f0f, v109
	v_and_b32_e32 v154, 16, v154
	;; [unrolled: 1-line block ×3, first 2 shown]
	v_or3_b32 v133, v147, v133, v148
	v_lshlrev_b32_e32 v96, 4, v90
	v_lshlrev_b32_e32 v102, 11, v90
	v_and_b32_e32 v142, 0x100000, v142
	v_and_b32_e32 v143, 0x10000000, v143
	;; [unrolled: 1-line block ×8, first 2 shown]
	v_or3_b32 v107, v144, v107, v145
	v_or3_b32 v108, v151, v108, v152
	;; [unrolled: 1-line block ×12, first 2 shown]
	v_lshrrev_b32_e32 v158, 12, v88
	v_lshrrev_b32_e32 v120, 5, v88
	v_or3_b32 v141, v154, v141, v155
	s_waitcnt vmcnt(16)
	v_and_b32_e32 v154, 0xf0f0f0f, v110
	v_and_b32_e32 v127, 16, v127
	;; [unrolled: 1-line block ×3, first 2 shown]
	v_lshrrev_b32_e32 v109, 4, v109
	v_or3_b32 v100, v134, v142, v143
	v_or3_b32 v101, v133, v149, v150
	;; [unrolled: 1-line block ×4, first 2 shown]
	ds_write2_b32 v2, v91, v81 offset1:1
	ds_write2_b32 v3, v93, v82 offset1:1
	ds_write2_b32 v4, v94, v83 offset1:1
	ds_write2_b32 v5, v98, v84 offset1:1
	ds_write2_b32 v6, v99, v85 offset1:1
	ds_write2_b32 v7, v100, v86 offset1:1
	ds_write2_b32 v8, v101, v87 offset1:1
	s_waitcnt vmcnt(15)
	v_and_b32_e32 v81, 0xf0f0f0f, v75
	v_and_b32_e32 v82, 16, v96
	;; [unrolled: 1-line block ×3, first 2 shown]
	v_lshlrev_b32_e32 v157, 18, v88
	v_lshlrev_b32_e32 v92, 25, v88
	;; [unrolled: 1-line block ×4, first 2 shown]
	v_lshrrev_b32_e32 v155, 12, v89
	v_or3_b32 v127, v127, v154, v140
	v_lshrrev_b32_e32 v140, 5, v89
	v_lshrrev_b32_e32 v110, 4, v110
	v_and_b32_e32 v158, 16, v158
	v_and_b32_e32 v120, 0x1000, v120
	;; [unrolled: 1-line block ×3, first 2 shown]
	v_or3_b32 v81, v82, v81, v83
	v_lshrrev_b32_e32 v75, 4, v75
	v_lshrrev_b32_e32 v82, 12, v90
	;; [unrolled: 1-line block ×3, first 2 shown]
	v_lshlrev_b32_e32 v147, 18, v89
	v_lshlrev_b32_e32 v148, 25, v89
	;; [unrolled: 1-line block ×4, first 2 shown]
	v_and_b32_e32 v157, 0x100000, v157
	v_and_b32_e32 v92, 0x10000000, v92
	;; [unrolled: 1-line block ×7, first 2 shown]
	v_or3_b32 v109, v158, v109, v120
	v_and_b32_e32 v75, 0xf0f0f0f, v75
	v_and_b32_e32 v82, 16, v82
	;; [unrolled: 1-line block ×3, first 2 shown]
	s_waitcnt vmcnt(14)
	v_ashrrev_i32_e32 v74, v26, v74
	v_and_b32_e32 v147, 0x100000, v147
	v_and_b32_e32 v148, 0x10000000, v148
	;; [unrolled: 1-line block ×4, first 2 shown]
	v_or3_b32 v110, v155, v110, v140
	v_or3_b32 v92, v141, v157, v92
	;; [unrolled: 1-line block ×4, first 2 shown]
	v_lshlrev_b32_e32 v82, 4, v74
	v_lshlrev_b32_e32 v83, 11, v74
	v_or3_b32 v84, v127, v147, v148
	ds_write2_b32 v9, v92, v88 offset1:1
	v_or3_b32 v85, v110, v154, v89
	v_lshlrev_b32_e32 v86, 18, v90
	v_lshlrev_b32_e32 v87, 25, v90
	;; [unrolled: 1-line block ×4, first 2 shown]
	s_waitcnt vmcnt(13)
	v_and_b32_e32 v90, 0xf0f0f0f, v73
	v_and_b32_e32 v82, 16, v82
	;; [unrolled: 1-line block ×3, first 2 shown]
	ds_write2_b32 v10, v84, v85 offset1:1
	v_lshrrev_b32_e32 v73, 4, v73
	v_lshrrev_b32_e32 v85, 5, v74
	v_and_b32_e32 v86, 0x100000, v86
	v_or3_b32 v82, v82, v90, v83
	v_lshrrev_b32_e32 v83, 12, v74
	v_and_b32_e32 v87, 0x10000000, v87
	v_and_b32_e32 v73, 0xf0f0f0f, v73
	;; [unrolled: 1-line block ×3, first 2 shown]
	s_waitcnt vmcnt(12)
	v_ashrrev_i32_e32 v72, v26, v72
	v_and_b32_e32 v83, 16, v83
	v_and_b32_e32 v88, 0x100000, v88
	;; [unrolled: 1-line block ×3, first 2 shown]
	v_or3_b32 v81, v81, v86, v87
	v_lshlrev_b32_e32 v84, 18, v74
	v_lshlrev_b32_e32 v86, 25, v74
	v_or3_b32 v73, v83, v73, v85
	v_lshlrev_b32_e32 v83, 4, v72
	v_lshlrev_b32_e32 v85, 11, v72
	v_or3_b32 v75, v75, v88, v89
	v_and_b32_e32 v84, 0x100000, v84
	v_and_b32_e32 v86, 0x10000000, v86
	s_waitcnt vmcnt(11)
	v_and_b32_e32 v88, 0xf0f0f0f, v71
	v_and_b32_e32 v83, 16, v83
	v_and_b32_e32 v85, 0x1000, v85
	v_lshlrev_b32_e32 v87, 2, v74
	v_lshlrev_b32_e32 v74, 9, v74
	ds_write2_b32 v11, v81, v75 offset1:1
	v_or3_b32 v75, v82, v84, v86
	v_or3_b32 v81, v83, v88, v85
	v_lshrrev_b32_e32 v71, 4, v71
	v_lshrrev_b32_e32 v82, 12, v72
	;; [unrolled: 1-line block ×3, first 2 shown]
	v_and_b32_e32 v87, 0x100000, v87
	v_and_b32_e32 v74, 0x10000000, v74
	v_and_b32_e32 v71, 0xf0f0f0f, v71
	v_and_b32_e32 v82, 16, v82
	v_and_b32_e32 v83, 0x1000, v83
	v_ashrrev_i32_e32 v85, v26, v111
	v_or3_b32 v73, v73, v87, v74
	v_lshlrev_b32_e32 v74, 18, v72
	v_lshlrev_b32_e32 v84, 25, v72
	v_or3_b32 v71, v82, v71, v83
	v_lshlrev_b32_e32 v82, 4, v85
	v_lshlrev_b32_e32 v83, 11, v85
	v_and_b32_e32 v74, 0x100000, v74
	v_and_b32_e32 v84, 0x10000000, v84
	s_waitcnt vmcnt(8)
	v_and_b32_e32 v87, 0xf0f0f0f, v114
	v_and_b32_e32 v82, 16, v82
	;; [unrolled: 1-line block ×3, first 2 shown]
	v_lshlrev_b32_e32 v86, 2, v72
	v_lshlrev_b32_e32 v72, 9, v72
	ds_write2_b32 v12, v75, v73 offset1:1
	v_or3_b32 v73, v81, v74, v84
	v_or3_b32 v74, v82, v87, v83
	v_lshrrev_b32_e32 v75, 4, v114
	v_lshrrev_b32_e32 v81, 12, v85
	;; [unrolled: 1-line block ×3, first 2 shown]
	v_and_b32_e32 v86, 0x100000, v86
	v_and_b32_e32 v72, 0x10000000, v72
	;; [unrolled: 1-line block ×5, first 2 shown]
	s_waitcnt vmcnt(7)
	v_ashrrev_i32_e32 v84, v26, v115
	v_or3_b32 v71, v71, v86, v72
	v_lshlrev_b32_e32 v72, 18, v85
	v_lshlrev_b32_e32 v83, 25, v85
	v_lshlrev_b32_e32 v86, 2, v85
	v_lshlrev_b32_e32 v85, 9, v85
	v_or3_b32 v75, v81, v75, v82
	v_lshlrev_b32_e32 v81, 4, v84
	v_lshlrev_b32_e32 v82, 11, v84
	v_and_b32_e32 v72, 0x100000, v72
	v_and_b32_e32 v83, 0x10000000, v83
	;; [unrolled: 1-line block ×4, first 2 shown]
	s_waitcnt vmcnt(2)
	v_and_b32_e32 v87, 0xf0f0f0f, v78
	v_and_b32_e32 v81, 16, v81
	;; [unrolled: 1-line block ×3, first 2 shown]
	v_lshlrev_b32_e32 v88, 18, v84
	v_lshlrev_b32_e32 v89, 25, v84
	v_or3_b32 v72, v74, v72, v83
	v_or3_b32 v74, v75, v86, v85
	;; [unrolled: 1-line block ×3, first 2 shown]
	v_and_b32_e32 v81, 0x100000, v88
	v_and_b32_e32 v82, 0x10000000, v89
	v_lshrrev_b32_e32 v83, 12, v84
	v_lshrrev_b32_e32 v85, 5, v84
	v_ashrrev_i32_e32 v86, v26, v113
	v_lshrrev_b32_e32 v78, 4, v78
	v_or3_b32 v75, v75, v81, v82
	v_and_b32_e32 v81, 16, v83
	v_and_b32_e32 v82, 0x1000, v85
	v_lshlrev_b32_e32 v83, 4, v86
	v_lshlrev_b32_e32 v85, 11, v86
	s_waitcnt vmcnt(1)
	v_and_b32_e32 v88, 0xf0f0f0f, v79
	v_and_b32_e32 v78, 0xf0f0f0f, v78
	v_lshlrev_b32_e32 v87, 2, v84
	v_and_b32_e32 v83, 16, v83
	v_and_b32_e32 v85, 0x1000, v85
	v_lshrrev_b32_e32 v79, 4, v79
	v_or3_b32 v78, v81, v78, v82
	v_and_b32_e32 v81, 0x100000, v87
	v_lshrrev_b32_e32 v87, 5, v86
	v_or3_b32 v83, v83, v88, v85
	v_ashrrev_i32_e32 v88, v26, v112
	v_lshrrev_b32_e32 v85, 12, v86
	v_and_b32_e32 v79, 0xf0f0f0f, v79
	v_and_b32_e32 v87, 0x1000, v87
	s_waitcnt vmcnt(0)
	v_and_b32_e32 v93, 0xf0f0f0f, v80
	v_lshlrev_b32_e32 v90, 4, v88
	v_lshlrev_b32_e32 v91, 11, v88
	v_and_b32_e32 v85, 16, v85
	v_lshlrev_b32_e32 v84, 9, v84
	v_lshlrev_b32_e32 v89, 18, v86
	v_and_b32_e32 v90, 16, v90
	v_and_b32_e32 v91, 0x1000, v91
	v_lshlrev_b32_e32 v92, 2, v86
	v_or3_b32 v79, v85, v79, v87
	v_lshrrev_b32_e32 v80, 4, v80
	v_and_b32_e32 v82, 0x10000000, v84
	v_or3_b32 v87, v90, v93, v91
	v_lshrrev_b32_e32 v90, 12, v88
	v_lshrrev_b32_e32 v91, 5, v88
	v_and_b32_e32 v84, 0x100000, v89
	v_lshlrev_b32_e32 v89, 25, v86
	v_lshlrev_b32_e32 v86, 9, v86
	v_and_b32_e32 v85, 0x100000, v92
	v_lshlrev_b32_e32 v92, 18, v88
	v_lshlrev_b32_e32 v93, 25, v88
	v_and_b32_e32 v80, 0xf0f0f0f, v80
	v_and_b32_e32 v90, 16, v90
	v_and_b32_e32 v91, 0x1000, v91
	v_lshlrev_b32_e32 v94, 2, v88
	v_lshlrev_b32_e32 v88, 9, v88
	v_and_b32_e32 v89, 0x10000000, v89
	v_and_b32_e32 v86, 0x10000000, v86
	;; [unrolled: 1-line block ×4, first 2 shown]
	v_or3_b32 v80, v90, v80, v91
	v_and_b32_e32 v90, 0x100000, v94
	v_and_b32_e32 v88, 0x10000000, v88
	v_or3_b32 v78, v78, v81, v82
	v_or3_b32 v81, v83, v84, v89
	;; [unrolled: 1-line block ×5, first 2 shown]
	ds_write2_b32 v14, v73, v71 offset1:1
	ds_write2_b32 v15, v72, v74 offset1:1
	;; [unrolled: 1-line block ×5, first 2 shown]
	ds_write_b32 v67, v22
	ds_write_b32 v68, v21
	;; [unrolled: 1-line block ×4, first 2 shown]
	s_cbranch_scc0 .LBB224_4
; %bb.6:                                ;   in Loop: Header=BB224_5 Depth=1
	v_add_nc_u32_e32 v21, s10, v40
	v_cmp_gt_i32_e64 s1, s12, v21
	s_and_b32 s3, s0, s1
	s_and_saveexec_b32 s1, s3
	s_cbranch_execz .LBB224_8
; %bb.7:                                ;   in Loop: Header=BB224_5 Depth=1
	v_add_nc_u32_e32 v21, v56, v21
	v_mad_i64_i32 v[21:22], null, v21, 36, v[19:20]
	global_load_dword v21, v[21:22], off offset:4
	s_waitcnt vmcnt(0)
	ds_write_b32 v52, v21
.LBB224_8:                              ;   in Loop: Header=BB224_5 Depth=1
	s_or_b32 exec_lo, exec_lo, s1
	v_add_nc_u32_e32 v21, s10, v0
	v_cmp_gt_i32_e64 s1, s12, v21
	s_and_b32 s3, s18, s1
	s_and_saveexec_b32 s1, s3
	s_cbranch_execz .LBB224_10
; %bb.9:                                ;   in Loop: Header=BB224_5 Depth=1
	v_add_nc_u32_e32 v22, v56, v21
	v_mad_i64_i32 v[71:72], null, v22, 36, s[6:7]
	global_load_dword v22, v[71:72], off
	s_waitcnt vmcnt(0)
	ds_write_b32 v53, v22
.LBB224_10:                             ;   in Loop: Header=BB224_5 Depth=1
	s_or_b32 exec_lo, exec_lo, s1
	v_mov_b32_e32 v22, v51
	v_mov_b32_e32 v71, v54
	v_mov_b32_e32 v72, v1
	v_mov_b32_e32 v73, v61
	v_mov_b32_e32 v74, v60
	v_mov_b32_e32 v75, v59
	v_mov_b32_e32 v76, v58
	s_mov_b32 s1, -4
	s_waitcnt lgkmcnt(0)
	s_barrier
	buffer_gl0_inv
.LBB224_11:                             ;   Parent Loop BB224_5 Depth=1
                                        ; =>  This Inner Loop Header: Depth=2
	v_add_nc_u32_e32 v93, 0x2080, v71
	v_add_nc_u32_e32 v95, 0x4100, v71
	v_add_nc_u32_e32 v97, 0x6180, v71
	ds_read_b128 v[77:80], v22
	ds_read_b128 v[81:84], v22 offset:16
	ds_read2_b32 v[85:86], v71 offset1:1
	ds_read2_b32 v[87:88], v71 offset0:2 offset1:3
	ds_read2_b32 v[89:90], v71 offset0:4 offset1:5
	ds_read2_b32 v[91:92], v71 offset0:6 offset1:7
	ds_read_b32 v119, v72
	ds_read_b32 v120, v73
	;; [unrolled: 1-line block ×4, first 2 shown]
	ds_read2_b32 v[93:94], v93 offset1:1
	ds_read2_b32 v[95:96], v95 offset1:1
	;; [unrolled: 1-line block ×3, first 2 shown]
	ds_read_b32 v124, v76
	v_add_nc_u32_e32 v99, 0x2088, v71
	v_add_nc_u32_e32 v101, 0x4108, v71
	;; [unrolled: 1-line block ×4, first 2 shown]
	v_mov_b32_e32 v117, 0
	v_mov_b32_e32 v118, 0
	v_add_nc_u32_e32 v107, 0x2098, v71
	v_mov_b32_e32 v123, 0
	v_add_nc_u32_e32 v109, 0x4110, v71
	v_add_nc_u32_e32 v111, 0x4118, v71
	v_mov_b32_e32 v125, 0
	v_add_nc_u32_e32 v113, 0x6190, v71
	v_add_nc_u32_e32 v115, 0x6198, v71
	ds_read2_b32 v[99:100], v99 offset1:1
	ds_read2_b32 v[101:102], v101 offset1:1
	;; [unrolled: 1-line block ×9, first 2 shown]
	v_add_nc_u32_e32 v76, 4, v76
	s_waitcnt lgkmcnt(20)
	v_dot4c_i32_i8 v117, v85, v77
	s_waitcnt lgkmcnt(12)
	v_dot4c_i32_i8 v118, v93, v77
	;; [unrolled: 2-line block ×4, first 2 shown]
	v_pk_mul_f16 v77, v119, v120
	v_dot4c_i32_i8 v117, v86, v81
	v_dot4c_i32_i8 v118, v94, v81
	;; [unrolled: 1-line block ×4, first 2 shown]
	v_add_nc_u32_e32 v75, 4, v75
	v_dot4c_i32_i8 v117, v87, v78
	s_waitcnt lgkmcnt(8)
	v_dot4c_i32_i8 v118, v99, v78
	s_waitcnt lgkmcnt(7)
	;; [unrolled: 2-line block ×3, first 2 shown]
	v_dot4c_i32_i8 v125, v103, v78
	v_pk_mul_f16 v78, v119, v121
	v_dot4c_i32_i8 v117, v88, v82
	v_dot4c_i32_i8 v118, v100, v82
	;; [unrolled: 1-line block ×4, first 2 shown]
	v_add_nc_u32_e32 v74, 4, v74
	v_dot4c_i32_i8 v117, v89, v79
	s_waitcnt lgkmcnt(5)
	v_dot4c_i32_i8 v118, v105, v79
	s_waitcnt lgkmcnt(3)
	;; [unrolled: 2-line block ×3, first 2 shown]
	v_dot4c_i32_i8 v125, v113, v79
	v_pk_mul_f16 v79, v119, v122
	v_dot4c_i32_i8 v117, v90, v83
	v_dot4c_i32_i8 v118, v106, v83
	;; [unrolled: 1-line block ×4, first 2 shown]
	v_add_nc_u32_e32 v73, 4, v73
	v_dot4c_i32_i8 v117, v91, v80
	v_dot4c_i32_i8 v118, v107, v80
	v_dot4c_i32_i8 v123, v111, v80
	s_waitcnt lgkmcnt(0)
	v_dot4c_i32_i8 v125, v115, v80
	v_pk_mul_f16 v80, v119, v124
	v_dot4c_i32_i8 v117, v92, v84
	v_dot4c_i32_i8 v118, v108, v84
	;; [unrolled: 1-line block ×4, first 2 shown]
	v_add_nc_u32_e32 v72, 4, v72
	v_cvt_f32_i32_e32 v81, v117
	v_cvt_f32_i32_e32 v82, v118
	v_cvt_f32_i32_e32 v83, v123
	v_cvt_f32_i32_e32 v84, v125
	v_add_nc_u32_e32 v71, 32, v71
	v_fma_mix_f32 v77, v77, v81, v77 op_sel:[0,0,1] op_sel_hi:[1,0,1]
	v_fma_mix_f32 v78, v78, v82, v78 op_sel:[0,0,1] op_sel_hi:[1,0,1]
	;; [unrolled: 1-line block ×4, first 2 shown]
	v_add_nc_u32_e32 v22, 32, v22
	v_add_f32_e32 v24, v24, v77
	v_add_f32_e32 v49, v49, v78
	;; [unrolled: 1-line block ×4, first 2 shown]
	s_add_i32 s1, s1, 4
	s_cmp_lt_u32 s1, 12
	s_cbranch_scc1 .LBB224_11
; %bb.12:                               ;   in Loop: Header=BB224_5 Depth=1
	s_bitset1_b32 s2, 7
	s_cmp_ge_i32 s2, s9
	s_barrier
	buffer_gl0_inv
	s_cbranch_scc1 .LBB224_4
; %bb.13:                               ;   in Loop: Header=BB224_5 Depth=1
	v_add_nc_u32_e32 v22, s10, v55
	v_cmp_gt_i32_e64 s1, s12, v22
	s_and_b32 s2, s0, s1
	s_and_saveexec_b32 s1, s2
	s_cbranch_execz .LBB224_15
; %bb.14:                               ;   in Loop: Header=BB224_5 Depth=1
	v_add_nc_u32_e32 v22, v56, v22
	v_mad_i64_i32 v[71:72], null, v22, 36, v[19:20]
	global_load_dword v22, v[71:72], off offset:4
	s_waitcnt vmcnt(0)
	ds_write_b32 v52, v22
.LBB224_15:                             ;   in Loop: Header=BB224_5 Depth=1
	s_or_b32 exec_lo, exec_lo, s1
	s_and_saveexec_b32 s2, vcc_lo
	s_cbranch_execz .LBB224_18
; %bb.16:                               ;   in Loop: Header=BB224_5 Depth=1
	v_or_b32_e32 v22, 4, v21
	v_cmp_gt_i32_e64 s1, s12, v22
	s_and_b32 s1, s0, s1
	s_and_b32 exec_lo, exec_lo, s1
	s_cbranch_execz .LBB224_18
; %bb.17:                               ;   in Loop: Header=BB224_5 Depth=1
	v_ashrrev_i32_e32 v22, 31, v21
	v_add_co_u32 v21, s1, v56, v21
	v_add_co_ci_u32_e64 v71, null, v57, v22, s1
	v_mad_u64_u32 v[21:22], null, v21, 36, s[6:7]
	v_mad_i32_i24 v22, v71, 36, v22
	global_load_dword v21, v[21:22], off offset:144
	s_waitcnt vmcnt(0)
	ds_write_b32 v53, v21
.LBB224_18:                             ;   in Loop: Header=BB224_5 Depth=1
	s_or_b32 exec_lo, exec_lo, s2
	v_mov_b32_e32 v21, v1
	v_mov_b32_e32 v22, v51
	;; [unrolled: 1-line block ×7, first 2 shown]
	s_mov_b32 s1, 12
	s_waitcnt lgkmcnt(0)
	s_barrier
	buffer_gl0_inv
.LBB224_19:                             ;   Parent Loop BB224_5 Depth=1
                                        ; =>  This Inner Loop Header: Depth=2
	v_add_nc_u32_e32 v92, 0x2080, v71
	v_add_nc_u32_e32 v94, 0x4100, v71
	;; [unrolled: 1-line block ×3, first 2 shown]
	ds_read_b128 v[76:79], v22
	ds_read_b32 v116, v21
	ds_read_b128 v[80:83], v22 offset:16
	ds_read2_b32 v[84:85], v71 offset1:1
	ds_read_b32 v118, v72
	ds_read2_b32 v[86:87], v71 offset0:2 offset1:3
	ds_read2_b32 v[88:89], v71 offset0:4 offset1:5
	;; [unrolled: 1-line block ×3, first 2 shown]
	ds_read_b32 v120, v73
	ds_read_b32 v121, v74
	ds_read2_b32 v[92:93], v92 offset1:1
	ds_read2_b32 v[94:95], v94 offset1:1
	;; [unrolled: 1-line block ×3, first 2 shown]
	ds_read_b32 v123, v75
	v_add_nc_u32_e32 v98, 0x2088, v71
	v_add_nc_u32_e32 v100, 0x4108, v71
	;; [unrolled: 1-line block ×4, first 2 shown]
	v_mov_b32_e32 v117, 0
	v_mov_b32_e32 v119, 0
	v_add_nc_u32_e32 v106, 0x2098, v71
	v_mov_b32_e32 v122, 0
	v_add_nc_u32_e32 v108, 0x4110, v71
	v_add_nc_u32_e32 v110, 0x4118, v71
	v_mov_b32_e32 v124, 0
	v_add_nc_u32_e32 v112, 0x6190, v71
	v_add_nc_u32_e32 v114, 0x6198, v71
	ds_read2_b32 v[98:99], v98 offset1:1
	ds_read2_b32 v[100:101], v100 offset1:1
	;; [unrolled: 1-line block ×9, first 2 shown]
	v_add_nc_u32_e32 v75, 4, v75
	v_add_nc_u32_e32 v74, 4, v74
	s_waitcnt lgkmcnt(19)
	v_dot4c_i32_i8 v117, v84, v76
	s_waitcnt lgkmcnt(12)
	v_dot4c_i32_i8 v119, v92, v76
	;; [unrolled: 2-line block ×4, first 2 shown]
	v_pk_mul_f16 v76, v116, v118
	v_dot4c_i32_i8 v117, v85, v80
	v_dot4c_i32_i8 v119, v93, v80
	;; [unrolled: 1-line block ×4, first 2 shown]
	v_add_nc_u32_e32 v73, 4, v73
	v_dot4c_i32_i8 v117, v86, v77
	s_waitcnt lgkmcnt(8)
	v_dot4c_i32_i8 v119, v98, v77
	s_waitcnt lgkmcnt(7)
	;; [unrolled: 2-line block ×3, first 2 shown]
	v_dot4c_i32_i8 v124, v102, v77
	v_pk_mul_f16 v77, v116, v120
	v_dot4c_i32_i8 v117, v87, v81
	v_dot4c_i32_i8 v119, v99, v81
	;; [unrolled: 1-line block ×4, first 2 shown]
	v_add_nc_u32_e32 v72, 4, v72
	v_dot4c_i32_i8 v117, v88, v78
	s_waitcnt lgkmcnt(5)
	v_dot4c_i32_i8 v119, v104, v78
	s_waitcnt lgkmcnt(3)
	;; [unrolled: 2-line block ×3, first 2 shown]
	v_dot4c_i32_i8 v124, v112, v78
	v_pk_mul_f16 v78, v116, v121
	v_dot4c_i32_i8 v117, v89, v82
	v_dot4c_i32_i8 v119, v105, v82
	;; [unrolled: 1-line block ×4, first 2 shown]
	v_add_nc_u32_e32 v71, 32, v71
	v_dot4c_i32_i8 v117, v90, v79
	v_dot4c_i32_i8 v119, v106, v79
	;; [unrolled: 1-line block ×3, first 2 shown]
	s_waitcnt lgkmcnt(0)
	v_dot4c_i32_i8 v124, v114, v79
	v_pk_mul_f16 v79, v116, v123
	v_dot4c_i32_i8 v117, v91, v83
	v_dot4c_i32_i8 v119, v107, v83
	;; [unrolled: 1-line block ×4, first 2 shown]
	v_add_nc_u32_e32 v22, 32, v22
	v_cvt_f32_i32_e32 v80, v117
	v_cvt_f32_i32_e32 v81, v119
	;; [unrolled: 1-line block ×4, first 2 shown]
	v_add_nc_u32_e32 v21, 4, v21
	v_fma_mix_f32 v76, v76, v80, v76 op_sel:[0,0,1] op_sel_hi:[1,0,1]
	v_fma_mix_f32 v77, v77, v81, v77 op_sel:[0,0,1] op_sel_hi:[1,0,1]
	;; [unrolled: 1-line block ×4, first 2 shown]
	s_add_i32 s1, s1, 4
	v_add_f32_e32 v24, v24, v76
	v_add_f32_e32 v49, v49, v77
	v_add_f32_e32 v45, v45, v78
	v_add_f32_e32 v13, v13, v79
	s_cmp_lt_u32 s1, 28
	s_cbranch_scc1 .LBB224_19
; %bb.20:                               ;   in Loop: Header=BB224_5 Depth=1
	s_barrier
	buffer_gl0_inv
	s_branch .LBB224_4
.LBB224_21:
	s_mul_i32 s0, s14, s11
	s_waitcnt vmcnt(0)
	v_cmp_gt_i32_e32 vcc_lo, s0, v23
	s_and_saveexec_b32 s0, vcc_lo
	s_cbranch_execz .LBB224_30
; %bb.22:
	v_add_nc_u32_e32 v1, s15, v0
	v_mul_lo_u32 v0, v23, s13
	s_mov_b32 s0, exec_lo
	v_cmpx_gt_u32_e64 s13, v1
	s_cbranch_execz .LBB224_24
; %bb.23:
	v_add_nc_u32_e32 v2, v0, v1
	v_mov_b32_e32 v3, 0
	v_bfe_u32 v4, v24, 16, 1
	v_cmp_o_f32_e32 vcc_lo, v24, v24
	v_mov_b32_e32 v5, 0x7fc0
	v_lshlrev_b64 v[2:3], 1, v[2:3]
	v_add3_u32 v4, v24, v4, 0x7fff
	v_cndmask_b32_sdwa v4, v5, v4, vcc_lo dst_sel:DWORD dst_unused:UNUSED_PAD src0_sel:DWORD src1_sel:WORD_1
	v_add_co_u32 v2, vcc_lo, s16, v2
	v_add_co_ci_u32_e64 v3, null, s17, v3, vcc_lo
	global_store_short v[2:3], v4, off
.LBB224_24:
	s_or_b32 exec_lo, exec_lo, s0
	v_add_nc_u32_e32 v2, 32, v1
	s_mov_b32 s0, exec_lo
	v_cmpx_gt_u32_e64 s13, v2
	s_cbranch_execz .LBB224_26
; %bb.25:
	v_add_nc_u32_e32 v2, v0, v2
	v_mov_b32_e32 v3, 0
	v_bfe_u32 v4, v49, 16, 1
	v_cmp_o_f32_e32 vcc_lo, v49, v49
	v_mov_b32_e32 v5, 0x7fc0
	v_lshlrev_b64 v[2:3], 1, v[2:3]
	v_add3_u32 v4, v49, v4, 0x7fff
	v_cndmask_b32_sdwa v4, v5, v4, vcc_lo dst_sel:DWORD dst_unused:UNUSED_PAD src0_sel:DWORD src1_sel:WORD_1
	v_add_co_u32 v2, vcc_lo, s16, v2
	v_add_co_ci_u32_e64 v3, null, s17, v3, vcc_lo
	global_store_short v[2:3], v4, off
.LBB224_26:
	s_or_b32 exec_lo, exec_lo, s0
	v_add_nc_u32_e32 v2, 64, v1
	;; [unrolled: 18-line block ×3, first 2 shown]
	v_cmp_gt_u32_e32 vcc_lo, s13, v1
	s_and_b32 exec_lo, exec_lo, vcc_lo
	s_cbranch_execz .LBB224_30
; %bb.29:
	v_add_nc_u32_e32 v0, v0, v1
	v_mov_b32_e32 v1, 0
	v_bfe_u32 v2, v13, 16, 1
	v_cmp_o_f32_e32 vcc_lo, v13, v13
	v_mov_b32_e32 v3, 0x7fc0
	v_lshlrev_b64 v[0:1], 1, v[0:1]
	v_add3_u32 v2, v13, v2, 0x7fff
	v_cndmask_b32_sdwa v2, v3, v2, vcc_lo dst_sel:DWORD dst_unused:UNUSED_PAD src0_sel:DWORD src1_sel:WORD_1
	v_add_co_u32 v0, vcc_lo, s16, v0
	v_add_co_ci_u32_e64 v1, null, s17, v1, vcc_lo
	global_store_short v[0:1], v2, off
.LBB224_30:
	s_endpgm
	.section	.rodata,"a",@progbits
	.p2align	6, 0x0
	.amdhsa_kernel _ZL8moe_q5_1IN3c108BFloat16ELb1EEvPKvS3_PT_PKiS7_S7_iiiiiii
		.amdhsa_group_segment_fixed_size 38656
		.amdhsa_private_segment_fixed_size 0
		.amdhsa_kernarg_size 76
		.amdhsa_user_sgpr_count 6
		.amdhsa_user_sgpr_private_segment_buffer 1
		.amdhsa_user_sgpr_dispatch_ptr 0
		.amdhsa_user_sgpr_queue_ptr 0
		.amdhsa_user_sgpr_kernarg_segment_ptr 1
		.amdhsa_user_sgpr_dispatch_id 0
		.amdhsa_user_sgpr_flat_scratch_init 0
		.amdhsa_user_sgpr_private_segment_size 0
		.amdhsa_wavefront_size32 1
		.amdhsa_uses_dynamic_stack 0
		.amdhsa_system_sgpr_private_segment_wavefront_offset 0
		.amdhsa_system_sgpr_workgroup_id_x 1
		.amdhsa_system_sgpr_workgroup_id_y 1
		.amdhsa_system_sgpr_workgroup_id_z 0
		.amdhsa_system_sgpr_workgroup_info 0
		.amdhsa_system_vgpr_workitem_id 1
		.amdhsa_next_free_vgpr 159
		.amdhsa_next_free_sgpr 19
		.amdhsa_reserve_vcc 1
		.amdhsa_reserve_flat_scratch 0
		.amdhsa_float_round_mode_32 0
		.amdhsa_float_round_mode_16_64 0
		.amdhsa_float_denorm_mode_32 3
		.amdhsa_float_denorm_mode_16_64 3
		.amdhsa_dx10_clamp 1
		.amdhsa_ieee_mode 1
		.amdhsa_fp16_overflow 0
		.amdhsa_workgroup_processor_mode 1
		.amdhsa_memory_ordered 1
		.amdhsa_forward_progress 1
		.amdhsa_shared_vgpr_count 0
		.amdhsa_exception_fp_ieee_invalid_op 0
		.amdhsa_exception_fp_denorm_src 0
		.amdhsa_exception_fp_ieee_div_zero 0
		.amdhsa_exception_fp_ieee_overflow 0
		.amdhsa_exception_fp_ieee_underflow 0
		.amdhsa_exception_fp_ieee_inexact 0
		.amdhsa_exception_int_div_zero 0
	.end_amdhsa_kernel
	.section	.text._ZL8moe_q5_1IN3c108BFloat16ELb1EEvPKvS3_PT_PKiS7_S7_iiiiiii,"axG",@progbits,_ZL8moe_q5_1IN3c108BFloat16ELb1EEvPKvS3_PT_PKiS7_S7_iiiiiii,comdat
.Lfunc_end224:
	.size	_ZL8moe_q5_1IN3c108BFloat16ELb1EEvPKvS3_PT_PKiS7_S7_iiiiiii, .Lfunc_end224-_ZL8moe_q5_1IN3c108BFloat16ELb1EEvPKvS3_PT_PKiS7_S7_iiiiiii
                                        ; -- End function
	.set _ZL8moe_q5_1IN3c108BFloat16ELb1EEvPKvS3_PT_PKiS7_S7_iiiiiii.num_vgpr, 159
	.set _ZL8moe_q5_1IN3c108BFloat16ELb1EEvPKvS3_PT_PKiS7_S7_iiiiiii.num_agpr, 0
	.set _ZL8moe_q5_1IN3c108BFloat16ELb1EEvPKvS3_PT_PKiS7_S7_iiiiiii.numbered_sgpr, 19
	.set _ZL8moe_q5_1IN3c108BFloat16ELb1EEvPKvS3_PT_PKiS7_S7_iiiiiii.num_named_barrier, 0
	.set _ZL8moe_q5_1IN3c108BFloat16ELb1EEvPKvS3_PT_PKiS7_S7_iiiiiii.private_seg_size, 0
	.set _ZL8moe_q5_1IN3c108BFloat16ELb1EEvPKvS3_PT_PKiS7_S7_iiiiiii.uses_vcc, 1
	.set _ZL8moe_q5_1IN3c108BFloat16ELb1EEvPKvS3_PT_PKiS7_S7_iiiiiii.uses_flat_scratch, 0
	.set _ZL8moe_q5_1IN3c108BFloat16ELb1EEvPKvS3_PT_PKiS7_S7_iiiiiii.has_dyn_sized_stack, 0
	.set _ZL8moe_q5_1IN3c108BFloat16ELb1EEvPKvS3_PT_PKiS7_S7_iiiiiii.has_recursion, 0
	.set _ZL8moe_q5_1IN3c108BFloat16ELb1EEvPKvS3_PT_PKiS7_S7_iiiiiii.has_indirect_call, 0
	.section	.AMDGPU.csdata,"",@progbits
; Kernel info:
; codeLenInByte = 6788
; TotalNumSgprs: 21
; NumVgprs: 159
; ScratchSize: 0
; MemoryBound: 0
; FloatMode: 240
; IeeeMode: 1
; LDSByteSize: 38656 bytes/workgroup (compile time only)
; SGPRBlocks: 0
; VGPRBlocks: 19
; NumSGPRsForWavesPerEU: 21
; NumVGPRsForWavesPerEU: 159
; Occupancy: 6
; WaveLimiterHint : 1
; COMPUTE_PGM_RSRC2:SCRATCH_EN: 0
; COMPUTE_PGM_RSRC2:USER_SGPR: 6
; COMPUTE_PGM_RSRC2:TRAP_HANDLER: 0
; COMPUTE_PGM_RSRC2:TGID_X_EN: 1
; COMPUTE_PGM_RSRC2:TGID_Y_EN: 1
; COMPUTE_PGM_RSRC2:TGID_Z_EN: 0
; COMPUTE_PGM_RSRC2:TIDIG_COMP_CNT: 1
	.section	.text._ZL8moe_q8_0IN3c108BFloat16ELb0EEvPKvS3_PT_PKiS7_S7_iiiiiii,"axG",@progbits,_ZL8moe_q8_0IN3c108BFloat16ELb0EEvPKvS3_PT_PKiS7_S7_iiiiiii,comdat
	.globl	_ZL8moe_q8_0IN3c108BFloat16ELb0EEvPKvS3_PT_PKiS7_S7_iiiiiii ; -- Begin function _ZL8moe_q8_0IN3c108BFloat16ELb0EEvPKvS3_PT_PKiS7_S7_iiiiiii
	.p2align	8
	.type	_ZL8moe_q8_0IN3c108BFloat16ELb0EEvPKvS3_PT_PKiS7_S7_iiiiiii,@function
_ZL8moe_q8_0IN3c108BFloat16ELb0EEvPKvS3_PT_PKiS7_S7_iiiiiii: ; @_ZL8moe_q8_0IN3c108BFloat16ELb0EEvPKvS3_PT_PKiS7_S7_iiiiiii
; %bb.0:
	s_load_dwordx4 s[0:3], s[4:5], 0x18
	s_mov_b32 s8, s7
	s_mov_b32 s9, 0
	s_lshl_b64 s[10:11], s[8:9], 2
	s_waitcnt lgkmcnt(0)
	s_add_u32 s2, s2, s10
	s_addc_u32 s3, s3, s11
	s_load_dword s7, s[2:3], 0x0
	s_waitcnt lgkmcnt(0)
	s_cmpk_gt_u32 s7, 0xff
	s_cbranch_scc1 .LBB225_22
; %bb.1:
	s_load_dwordx2 s[2:3], s[4:5], 0x28
	s_waitcnt lgkmcnt(0)
	s_load_dword s3, s[2:3], 0x0
	s_lshl_b32 s2, s8, 3
	s_waitcnt lgkmcnt(0)
	s_cmp_gt_u32 s2, s3
	s_cbranch_scc1 .LBB225_22
; %bb.2:
	v_add_nc_u32_e32 v2, s2, v1
	v_mov_b32_e32 v3, 0
	s_lshl_b32 s6, s6, 7
	v_lshlrev_b64 v[4:5], 2, v[2:3]
	v_mov_b32_e32 v10, v3
	v_mov_b32_e32 v18, v3
	v_add_co_u32 v4, vcc_lo, s0, v4
	v_add_co_ci_u32_e64 v5, null, s1, v5, vcc_lo
	global_load_dword v4, v[4:5], off
	s_clause 0x2
	s_load_dwordx2 s[14:15], s[4:5], 0x30
	s_load_dwordx2 s[12:13], s[4:5], 0x10
	s_load_dwordx4 s[8:11], s[4:5], 0x3c
	v_mov_b32_e32 v5, v3
	s_waitcnt lgkmcnt(0)
	s_cmp_lt_i32 s15, 32
	s_cbranch_scc1 .LBB225_13
; %bb.3:
	s_load_dwordx4 s[0:3], s[4:5], 0x0
	s_ashr_i32 s4, s15, 31
	s_ashr_i32 s5, s9, 31
	s_lshr_b32 s4, s4, 27
	s_lshr_b32 s5, s5, 27
	s_add_i32 s4, s15, s4
	s_mul_i32 s14, s7, s14
	s_ashr_i32 s7, s4, 5
	s_add_i32 s4, s9, s5
	s_mul_i32 s5, s7, s6
	s_ashr_i32 s16, s14, 31
	s_ashr_i32 s9, s4, 5
	s_mul_hi_i32 s4, s5, 34
	s_mul_i32 s5, s5, 34
	v_mul_lo_u32 v9, s7, v1
	v_lshlrev_b32_e32 v3, 2, v0
	v_lshlrev_b32_e32 v10, 3, v1
	v_lshrrev_b32_e32 v15, 2, v0
	s_waitcnt vmcnt(0)
	v_sub_nc_u32_e32 v22, 0, v4
	v_lshl_add_u32 v8, v1, 7, 0x4a40
	s_waitcnt lgkmcnt(0)
	s_add_u32 s0, s0, s14
	s_addc_u32 s14, s1, s16
	s_add_u32 s1, s0, s5
	s_addc_u32 s14, s14, s4
	s_abs_i32 s4, s11
	s_lshl_b32 s5, s7, 3
	v_cvt_f32_u32_e32 v2, s4
	s_sub_i32 s16, 0, s4
	v_add_nc_u32_e32 v11, s5, v9
	v_lshlrev_b32_e32 v18, 4, v1
	v_xor_b32_e32 v17, s11, v4
	v_rcp_iflag_f32_e32 v2, v2
	v_mad_u32_u24 v14, 0x84, v1, v3
	v_add_nc_u32_e32 v13, s5, v11
	v_add_nc_u32_e32 v1, v15, v10
	v_add_nc_u16 v10, v15, v10
	v_max_i32_e32 v37, v4, v22
	v_add_nc_u32_e32 v19, 32, v0
	v_add_nc_u32_e32 v15, s5, v13
	v_ashrrev_i32_e32 v44, 31, v17
	v_add_nc_u32_e32 v21, 0x60, v0
	v_mul_f32_e32 v2, 0x4f7ffffe, v2
	v_lshrrev_b32_e32 v43, 1, v19
	v_add_nc_u32_e32 v17, s5, v15
	v_add_nc_u32_e32 v20, 64, v0
	v_lshrrev_b32_e32 v41, 1, v21
	v_cvt_u32_f32_e32 v2, v2
	v_lshlrev_b32_e32 v52, 4, v1
	v_add_nc_u32_e32 v19, s5, v17
	v_and_b32_e32 v7, 3, v0
	v_lshrrev_b32_e32 v42, 1, v20
	v_mul_lo_u32 v23, s16, v2
	v_lshrrev_b16 v10, 1, v10
	v_add_nc_u32_e32 v22, s5, v19
	v_and_b32_e32 v48, 0xfc, v41
	v_and_b32_e32 v53, 0xfc, v43
	v_lshrrev_b32_e32 v6, 3, v0
	v_lshlrev_b32_e32 v45, 2, v7
	v_add_nc_u32_e32 v27, s5, v22
	v_mul_hi_u32 v23, v2, v23
	v_and_b32_e32 v49, 0xfc, v42
	v_and_b32_e32 v10, 0x7fc, v10
	;; [unrolled: 1-line block ×3, first 2 shown]
	v_add_nc_u32_e32 v31, s5, v27
	v_and_b32_e32 v16, 31, v0
	v_lshlrev_b32_e32 v50, 4, v0
	v_add_nc_u32_e32 v3, 0x4e40, v3
	v_add_nc_u32_e32 v2, v2, v23
	;; [unrolled: 1-line block ×3, first 2 shown]
	v_lshlrev_b32_e32 v51, 2, v6
	v_add3_u32 v10, v10, v45, 0x4200
	v_cmp_gt_u32_e64 s0, 4, v0
	v_mul_hi_u32 v2, v37, v2
	v_add_nc_u32_e32 v39, s5, v36
	v_mov_b32_e32 v5, 0
	v_lshl_add_u32 v16, v16, 2, v8
	v_add_nc_u32_e32 v20, 0x840, v14
	v_add_nc_u32_e32 v21, 0xc60, v14
	;; [unrolled: 1-line block ×4, first 2 shown]
	v_mul_lo_u32 v38, v2, s4
	v_add_nc_u32_e32 v40, 1, v2
	v_add_nc_u32_e32 v25, 0x18c0, v14
	;; [unrolled: 1-line block ×7, first 2 shown]
	v_sub_nc_u32_e32 v46, v37, v38
	v_mul_lo_u32 v38, s7, v1
	v_add_nc_u32_e32 v1, 64, v1
	v_add_nc_u32_e32 v33, 0x3180, v14
	;; [unrolled: 1-line block ×3, first 2 shown]
	v_subrev_nc_u32_e32 v47, s4, v46
	v_cmp_le_u32_e32 vcc_lo, s4, v46
	v_lshrrev_b32_e32 v43, 1, v1
	v_lshlrev_b32_e32 v54, 4, v1
	v_add_nc_u32_e32 v35, 0x39c0, v14
	v_add_nc_u32_e32 v37, 0x3de0, v14
	v_cndmask_b32_e32 v2, v2, v40, vcc_lo
	v_cndmask_b32_e32 v46, v46, v47, vcc_lo
	v_add_nc_u32_e32 v40, s5, v39
	v_and_b32_e32 v1, 0xffc, v43
	v_add_nc_u32_e32 v52, v10, v52
	v_add_nc_u32_e32 v47, 1, v2
	v_cmp_le_u32_e32 vcc_lo, s4, v46
	v_add_nc_u32_e32 v41, s5, v40
	v_add3_u32 v55, v1, v45, 0x4200
	v_add_co_u32 v1, s4, s2, v12
	v_cndmask_b32_e32 v2, v2, v47, vcc_lo
	v_add_nc_u32_e32 v42, s5, v41
	v_add3_u32 v47, v50, v48, 0x4800
	v_add3_u32 v48, v50, v49, 0x4600
	;; [unrolled: 1-line block ×3, first 2 shown]
	v_xor_b32_e32 v2, v2, v44
	v_add_nc_u32_e32 v43, s5, v42
	v_add3_u32 v50, v50, v51, 0x4200
	v_add_nc_u32_e32 v51, 0x4e40, v18
	v_add_nc_u32_e32 v53, v55, v54
	v_sub_nc_u32_e32 v2, v2, v44
	v_lshl_add_u32 v44, s7, 6, v38
	v_add_nc_u32_e32 v45, s5, v43
	v_add_nc_u32_e32 v54, v3, v18
	v_mov_b32_e32 v18, 0
	v_mul_lo_u32 v46, v2, s9
	v_cmp_gt_i32_e32 vcc_lo, s8, v2
	v_add_co_ci_u32_e64 v2, null, s3, 0, s4
	v_mov_b32_e32 v10, 0
	v_mov_b32_e32 v3, 0
	s_mov_b32 s16, 0
	s_and_b32 s17, s0, vcc_lo
	s_branch .LBB225_5
.LBB225_4:                              ;   in Loop: Header=BB225_5 Depth=1
	s_add_i32 s16, s16, 4
	s_cmp_ge_i32 s16, s7
	s_cbranch_scc1 .LBB225_13
.LBB225_5:                              ; =>This Loop Header: Depth=1
                                        ;     Child Loop BB225_11 Depth 2
	s_mul_i32 s0, s16, 34
	s_mul_hi_u32 s5, s16, 34
	s_add_u32 s4, s1, s0
	s_addc_u32 s5, s14, s5
	v_mad_u64_u32 v[55:56], null, v6, 34, s[4:5]
	v_mad_u64_u32 v[57:58], null, v9, 34, v[55:56]
	;; [unrolled: 1-line block ×5, first 2 shown]
	v_add_co_u32 v57, s0, v57, v12
	v_mad_u64_u32 v[65:66], null, v17, 34, v[55:56]
	v_add_co_ci_u32_e64 v58, null, 0, v58, s0
	v_add_co_u32 v59, s0, v59, v12
	v_mad_u64_u32 v[67:68], null, v19, 34, v[55:56]
	v_add_co_ci_u32_e64 v60, null, 0, v60, s0
	;; [unrolled: 3-line block ×4, first 2 shown]
	v_add_co_u32 v65, s0, v65, v12
	v_add_co_ci_u32_e64 v66, null, 0, v66, s0
	v_add_co_u32 v67, s0, v67, v12
	v_add_co_ci_u32_e64 v68, null, 0, v68, s0
	;; [unrolled: 2-line block ×3, first 2 shown]
	v_add_co_u32 v71, s0, v71, v12
	v_mad_u64_u32 v[73:74], null, v31, 34, v[55:56]
	v_add_co_ci_u32_e64 v72, null, 0, v72, s0
	s_clause 0x7
	global_load_dword v75, v[57:58], off offset:2
	global_load_dword v76, v[59:60], off offset:2
	;; [unrolled: 1-line block ×8, first 2 shown]
	v_mad_u64_u32 v[57:58], null, v36, 34, v[55:56]
	v_mad_u64_u32 v[61:62], null, v39, 34, v[55:56]
	;; [unrolled: 1-line block ×4, first 2 shown]
	v_add_co_u32 v59, s0, v73, v12
	v_mad_u64_u32 v[65:66], null, v41, 34, v[55:56]
	v_add_co_ci_u32_e64 v60, null, 0, v74, s0
	v_add_co_u32 v57, s0, v57, v12
	v_mad_u64_u32 v[69:70], null, v42, 34, v[55:56]
	v_add_co_ci_u32_e64 v58, null, 0, v58, s0
	v_add_co_u32 v61, s0, v61, v12
	v_mad_u64_u32 v[71:72], null, v43, 34, v[55:56]
	v_mad_u64_u32 v[73:74], null, v38, 34, v[67:68]
	;; [unrolled: 1-line block ×3, first 2 shown]
	v_add_co_ci_u32_e64 v62, null, 0, v62, s0
	v_add_co_u32 v63, s0, v63, v12
	v_mad_u64_u32 v[55:56], null, v45, 34, v[55:56]
	v_add_co_ci_u32_e64 v64, null, 0, v64, s0
	v_add_co_u32 v65, s0, v65, v12
	v_add_co_ci_u32_e64 v66, null, 0, v66, s0
	v_add_co_u32 v69, s0, v69, v12
	v_add_co_ci_u32_e64 v70, null, 0, v70, s0
	s_clause 0x1
	global_load_ushort v73, v[73:74], off
	global_load_ushort v74, v[67:68], off
	v_add_co_u32 v67, s0, v71, v12
	v_add_co_ci_u32_e64 v68, null, 0, v72, s0
	v_add_co_u32 v55, s0, v55, v12
	v_add_co_ci_u32_e64 v56, null, 0, v56, s0
	s_clause 0x7
	global_load_dword v59, v[59:60], off offset:2
	global_load_dword v57, v[57:58], off offset:2
	;; [unrolled: 1-line block ×8, first 2 shown]
	s_lshl_b32 s0, s16, 5
	v_add_nc_u32_e32 v56, 0x420, v14
	s_cmp_ge_i32 s0, s15
	s_waitcnt vmcnt(9)
	v_cvt_f32_f16_e32 v64, v73
	s_waitcnt vmcnt(8)
	v_cvt_f32_f16_e32 v65, v74
	ds_write_b32 v14, v75
	ds_write_b32 v56, v76
	;; [unrolled: 1-line block ×8, first 2 shown]
	s_waitcnt vmcnt(7)
	ds_write_b32 v28, v59
	s_waitcnt vmcnt(6)
	ds_write_b32 v29, v57
	;; [unrolled: 2-line block ×8, first 2 shown]
	ds_write_b32 v52, v64
	ds_write_b32 v53, v65
	s_cbranch_scc1 .LBB225_4
; %bb.6:                                ;   in Loop: Header=BB225_5 Depth=1
	v_add_nc_u32_e32 v55, s16, v6
	v_cmp_gt_i32_e64 s0, s9, v55
	s_and_b32 s4, vcc_lo, s0
	s_and_saveexec_b32 s0, s4
	s_cbranch_execz .LBB225_8
; %bb.7:                                ;   in Loop: Header=BB225_5 Depth=1
	v_add_nc_u32_e32 v55, v46, v55
	v_mad_i64_i32 v[55:56], null, v55, 36, v[1:2]
	global_load_dword v55, v[55:56], off offset:4
	s_waitcnt vmcnt(0)
	ds_write_b32 v16, v55
.LBB225_8:                              ;   in Loop: Header=BB225_5 Depth=1
	s_or_b32 exec_lo, exec_lo, s0
	v_or_b32_e32 v55, s16, v0
	v_cmp_gt_i32_e64 s0, s9, v55
	s_and_b32 s4, s17, s0
	s_and_saveexec_b32 s0, s4
	s_cbranch_execz .LBB225_10
; %bb.9:                                ;   in Loop: Header=BB225_5 Depth=1
	v_add_nc_u32_e32 v55, v46, v55
	v_mad_i64_i32 v[55:56], null, v55, 36, s[2:3]
	global_load_dword v55, v[55:56], off
	s_waitcnt vmcnt(0)
	v_cvt_f32_f16_e32 v55, v55
	ds_write_b32 v54, v55
.LBB225_10:                             ;   in Loop: Header=BB225_5 Depth=1
	s_or_b32 exec_lo, exec_lo, s0
	v_mov_b32_e32 v55, v8
	v_mov_b32_e32 v56, v51
	v_mul_u32_u24_e32 v61, 0x84, v0
	v_mov_b32_e32 v57, v50
	v_mov_b32_e32 v58, v49
	;; [unrolled: 1-line block ×4, first 2 shown]
	s_mov_b32 s0, -8
	s_waitcnt lgkmcnt(0)
	s_barrier
	buffer_gl0_inv
.LBB225_11:                             ;   Parent Loop BB225_5 Depth=1
                                        ; =>  This Inner Loop Header: Depth=2
	v_add_nc_u32_e32 v78, 0x1080, v61
	v_add_nc_u32_e32 v80, 0x2100, v61
	;; [unrolled: 1-line block ×3, first 2 shown]
	ds_read_b128 v[62:65], v55
	ds_read_b128 v[66:69], v55 offset:16
	ds_read2_b32 v[70:71], v61 offset0:2 offset1:3
	ds_read2_b32 v[72:73], v61 offset0:4 offset1:5
	;; [unrolled: 1-line block ×3, first 2 shown]
	ds_read_b32 v105, v56
	ds_read_b32 v106, v57
	ds_read2_b32 v[76:77], v61 offset1:1
	ds_read_b32 v107, v58
	ds_read_b32 v108, v59
	;; [unrolled: 1-line block ×3, first 2 shown]
	ds_read2_b32 v[78:79], v78 offset1:1
	ds_read2_b32 v[80:81], v80 offset1:1
	;; [unrolled: 1-line block ×3, first 2 shown]
	v_add_nc_u32_e32 v84, 0x1088, v61
	v_add_nc_u32_e32 v86, 0x2108, v61
	;; [unrolled: 1-line block ×4, first 2 shown]
	v_mov_b32_e32 v102, 0
	v_mov_b32_e32 v103, 0
	v_add_nc_u32_e32 v92, 0x1098, v61
	v_mov_b32_e32 v104, 0
	v_add_nc_u32_e32 v94, 0x2110, v61
	v_add_nc_u32_e32 v96, 0x2118, v61
	v_mov_b32_e32 v110, 0
	v_add_nc_u32_e32 v98, 0x3190, v61
	v_add_nc_u32_e32 v100, 0x3198, v61
	ds_read2_b32 v[84:85], v84 offset1:1
	ds_read2_b32 v[86:87], v86 offset1:1
	;; [unrolled: 1-line block ×9, first 2 shown]
	v_add_nc_u32_e32 v61, 32, v61
	v_add_nc_u32_e32 v60, 4, v60
	s_waitcnt lgkmcnt(15)
	v_dot4c_i32_i8 v102, v76, v62
	s_waitcnt lgkmcnt(11)
	v_dot4c_i32_i8 v103, v78, v62
	;; [unrolled: 2-line block ×4, first 2 shown]
	v_mul_f32_e32 v62, v105, v106
	v_dot4c_i32_i8 v102, v77, v63
	v_dot4c_i32_i8 v103, v79, v63
	;; [unrolled: 1-line block ×4, first 2 shown]
	v_mul_f32_e32 v63, v105, v107
	v_dot4c_i32_i8 v102, v70, v64
	s_waitcnt lgkmcnt(8)
	v_dot4c_i32_i8 v103, v84, v64
	s_waitcnt lgkmcnt(7)
	v_dot4c_i32_i8 v104, v86, v64
	s_waitcnt lgkmcnt(6)
	v_dot4c_i32_i8 v110, v88, v64
	v_mul_f32_e32 v64, v105, v108
	v_dot4c_i32_i8 v102, v71, v65
	v_dot4c_i32_i8 v103, v85, v65
	;; [unrolled: 1-line block ×4, first 2 shown]
	v_mul_f32_e32 v65, v105, v109
	v_dot4c_i32_i8 v102, v72, v66
	s_waitcnt lgkmcnt(5)
	v_dot4c_i32_i8 v103, v90, v66
	s_waitcnt lgkmcnt(3)
	;; [unrolled: 2-line block ×3, first 2 shown]
	v_dot4c_i32_i8 v110, v98, v66
	v_add_nc_u32_e32 v59, 4, v59
	v_dot4c_i32_i8 v102, v73, v67
	v_dot4c_i32_i8 v103, v91, v67
	;; [unrolled: 1-line block ×4, first 2 shown]
	v_add_nc_u32_e32 v58, 4, v58
	v_dot4c_i32_i8 v102, v74, v68
	v_dot4c_i32_i8 v103, v92, v68
	;; [unrolled: 1-line block ×3, first 2 shown]
	s_waitcnt lgkmcnt(0)
	v_dot4c_i32_i8 v110, v100, v68
	v_add_nc_u32_e32 v57, 4, v57
	v_dot4c_i32_i8 v102, v75, v69
	v_dot4c_i32_i8 v103, v93, v69
	;; [unrolled: 1-line block ×4, first 2 shown]
	v_add_nc_u32_e32 v56, 4, v56
	v_cvt_f32_i32_e32 v66, v102
	v_cvt_f32_i32_e32 v67, v103
	;; [unrolled: 1-line block ×4, first 2 shown]
	v_add_nc_u32_e32 v55, 32, v55
	v_fmac_f32_e32 v5, v62, v66
	v_fmac_f32_e32 v18, v63, v67
	;; [unrolled: 1-line block ×4, first 2 shown]
	s_add_i32 s0, s0, 8
	s_cmp_lt_u32 s0, 24
	s_cbranch_scc1 .LBB225_11
; %bb.12:                               ;   in Loop: Header=BB225_5 Depth=1
	s_barrier
	buffer_gl0_inv
	s_branch .LBB225_4
.LBB225_13:
	s_mul_i32 s0, s11, s8
	s_waitcnt vmcnt(0)
	v_cmp_gt_i32_e32 vcc_lo, s0, v4
	s_and_saveexec_b32 s0, vcc_lo
	s_cbranch_execz .LBB225_22
; %bb.14:
	v_add_nc_u32_e32 v1, s6, v0
	v_mul_lo_u32 v0, v4, s10
	s_mov_b32 s0, exec_lo
	v_cmpx_gt_u32_e64 s10, v1
	s_cbranch_execz .LBB225_16
; %bb.15:
	v_bfe_u32 v2, v5, 16, 1
	v_add_nc_u32_e32 v6, v0, v1
	v_mov_b32_e32 v7, 0
	v_cmp_o_f32_e32 vcc_lo, v5, v5
	v_mov_b32_e32 v8, 0x7fc0
	v_add3_u32 v2, v5, v2, 0x7fff
	v_lshlrev_b64 v[4:5], 1, v[6:7]
	v_cndmask_b32_sdwa v2, v8, v2, vcc_lo dst_sel:DWORD dst_unused:UNUSED_PAD src0_sel:DWORD src1_sel:WORD_1
	v_add_co_u32 v4, vcc_lo, s12, v4
	v_add_co_ci_u32_e64 v5, null, s13, v5, vcc_lo
	global_store_short v[4:5], v2, off
.LBB225_16:
	s_or_b32 exec_lo, exec_lo, s0
	v_add_nc_u32_e32 v2, 32, v1
	s_mov_b32 s0, exec_lo
	v_cmpx_gt_u32_e64 s10, v2
	s_cbranch_execz .LBB225_18
; %bb.17:
	v_add_nc_u32_e32 v4, v0, v2
	v_mov_b32_e32 v5, 0
	v_bfe_u32 v6, v18, 16, 1
	v_cmp_o_f32_e32 vcc_lo, v18, v18
	v_mov_b32_e32 v2, 0x7fc0
	v_lshlrev_b64 v[4:5], 1, v[4:5]
	v_add3_u32 v6, v18, v6, 0x7fff
	v_cndmask_b32_sdwa v2, v2, v6, vcc_lo dst_sel:DWORD dst_unused:UNUSED_PAD src0_sel:DWORD src1_sel:WORD_1
	v_add_co_u32 v4, vcc_lo, s12, v4
	v_add_co_ci_u32_e64 v5, null, s13, v5, vcc_lo
	global_store_short v[4:5], v2, off
.LBB225_18:
	s_or_b32 exec_lo, exec_lo, s0
	v_add_nc_u32_e32 v2, 64, v1
	s_mov_b32 s0, exec_lo
	v_cmpx_gt_u32_e64 s10, v2
	s_cbranch_execz .LBB225_20
; %bb.19:
	v_add_nc_u32_e32 v4, v0, v2
	v_mov_b32_e32 v5, 0
	v_bfe_u32 v6, v10, 16, 1
	v_cmp_o_f32_e32 vcc_lo, v10, v10
	v_mov_b32_e32 v2, 0x7fc0
	v_lshlrev_b64 v[4:5], 1, v[4:5]
	v_add3_u32 v6, v10, v6, 0x7fff
	v_cndmask_b32_sdwa v2, v2, v6, vcc_lo dst_sel:DWORD dst_unused:UNUSED_PAD src0_sel:DWORD src1_sel:WORD_1
	v_add_co_u32 v4, vcc_lo, s12, v4
	v_add_co_ci_u32_e64 v5, null, s13, v5, vcc_lo
	global_store_short v[4:5], v2, off
.LBB225_20:
	s_or_b32 exec_lo, exec_lo, s0
	v_add_nc_u32_e32 v1, 0x60, v1
	v_cmp_gt_u32_e32 vcc_lo, s10, v1
	s_and_b32 exec_lo, exec_lo, vcc_lo
	s_cbranch_execz .LBB225_22
; %bb.21:
	v_add_nc_u32_e32 v0, v0, v1
	v_mov_b32_e32 v1, 0
	v_bfe_u32 v2, v3, 16, 1
	v_cmp_o_f32_e32 vcc_lo, v3, v3
	v_mov_b32_e32 v4, 0x7fc0
	v_lshlrev_b64 v[0:1], 1, v[0:1]
	v_add3_u32 v2, v3, v2, 0x7fff
	v_cndmask_b32_sdwa v2, v4, v2, vcc_lo dst_sel:DWORD dst_unused:UNUSED_PAD src0_sel:DWORD src1_sel:WORD_1
	v_add_co_u32 v0, vcc_lo, s12, v0
	v_add_co_ci_u32_e64 v1, null, s13, v1, vcc_lo
	global_store_short v[0:1], v2, off
.LBB225_22:
	s_endpgm
	.section	.rodata,"a",@progbits
	.p2align	6, 0x0
	.amdhsa_kernel _ZL8moe_q8_0IN3c108BFloat16ELb0EEvPKvS3_PT_PKiS7_S7_iiiiiii
		.amdhsa_group_segment_fixed_size 20160
		.amdhsa_private_segment_fixed_size 0
		.amdhsa_kernarg_size 76
		.amdhsa_user_sgpr_count 6
		.amdhsa_user_sgpr_private_segment_buffer 1
		.amdhsa_user_sgpr_dispatch_ptr 0
		.amdhsa_user_sgpr_queue_ptr 0
		.amdhsa_user_sgpr_kernarg_segment_ptr 1
		.amdhsa_user_sgpr_dispatch_id 0
		.amdhsa_user_sgpr_flat_scratch_init 0
		.amdhsa_user_sgpr_private_segment_size 0
		.amdhsa_wavefront_size32 1
		.amdhsa_uses_dynamic_stack 0
		.amdhsa_system_sgpr_private_segment_wavefront_offset 0
		.amdhsa_system_sgpr_workgroup_id_x 1
		.amdhsa_system_sgpr_workgroup_id_y 1
		.amdhsa_system_sgpr_workgroup_id_z 0
		.amdhsa_system_sgpr_workgroup_info 0
		.amdhsa_system_vgpr_workitem_id 1
		.amdhsa_next_free_vgpr 111
		.amdhsa_next_free_sgpr 18
		.amdhsa_reserve_vcc 1
		.amdhsa_reserve_flat_scratch 0
		.amdhsa_float_round_mode_32 0
		.amdhsa_float_round_mode_16_64 0
		.amdhsa_float_denorm_mode_32 3
		.amdhsa_float_denorm_mode_16_64 3
		.amdhsa_dx10_clamp 1
		.amdhsa_ieee_mode 1
		.amdhsa_fp16_overflow 0
		.amdhsa_workgroup_processor_mode 1
		.amdhsa_memory_ordered 1
		.amdhsa_forward_progress 1
		.amdhsa_shared_vgpr_count 0
		.amdhsa_exception_fp_ieee_invalid_op 0
		.amdhsa_exception_fp_denorm_src 0
		.amdhsa_exception_fp_ieee_div_zero 0
		.amdhsa_exception_fp_ieee_overflow 0
		.amdhsa_exception_fp_ieee_underflow 0
		.amdhsa_exception_fp_ieee_inexact 0
		.amdhsa_exception_int_div_zero 0
	.end_amdhsa_kernel
	.section	.text._ZL8moe_q8_0IN3c108BFloat16ELb0EEvPKvS3_PT_PKiS7_S7_iiiiiii,"axG",@progbits,_ZL8moe_q8_0IN3c108BFloat16ELb0EEvPKvS3_PT_PKiS7_S7_iiiiiii,comdat
.Lfunc_end225:
	.size	_ZL8moe_q8_0IN3c108BFloat16ELb0EEvPKvS3_PT_PKiS7_S7_iiiiiii, .Lfunc_end225-_ZL8moe_q8_0IN3c108BFloat16ELb0EEvPKvS3_PT_PKiS7_S7_iiiiiii
                                        ; -- End function
	.set _ZL8moe_q8_0IN3c108BFloat16ELb0EEvPKvS3_PT_PKiS7_S7_iiiiiii.num_vgpr, 111
	.set _ZL8moe_q8_0IN3c108BFloat16ELb0EEvPKvS3_PT_PKiS7_S7_iiiiiii.num_agpr, 0
	.set _ZL8moe_q8_0IN3c108BFloat16ELb0EEvPKvS3_PT_PKiS7_S7_iiiiiii.numbered_sgpr, 18
	.set _ZL8moe_q8_0IN3c108BFloat16ELb0EEvPKvS3_PT_PKiS7_S7_iiiiiii.num_named_barrier, 0
	.set _ZL8moe_q8_0IN3c108BFloat16ELb0EEvPKvS3_PT_PKiS7_S7_iiiiiii.private_seg_size, 0
	.set _ZL8moe_q8_0IN3c108BFloat16ELb0EEvPKvS3_PT_PKiS7_S7_iiiiiii.uses_vcc, 1
	.set _ZL8moe_q8_0IN3c108BFloat16ELb0EEvPKvS3_PT_PKiS7_S7_iiiiiii.uses_flat_scratch, 0
	.set _ZL8moe_q8_0IN3c108BFloat16ELb0EEvPKvS3_PT_PKiS7_S7_iiiiiii.has_dyn_sized_stack, 0
	.set _ZL8moe_q8_0IN3c108BFloat16ELb0EEvPKvS3_PT_PKiS7_S7_iiiiiii.has_recursion, 0
	.set _ZL8moe_q8_0IN3c108BFloat16ELb0EEvPKvS3_PT_PKiS7_S7_iiiiiii.has_indirect_call, 0
	.section	.AMDGPU.csdata,"",@progbits
; Kernel info:
; codeLenInByte = 2940
; TotalNumSgprs: 20
; NumVgprs: 111
; ScratchSize: 0
; MemoryBound: 0
; FloatMode: 240
; IeeeMode: 1
; LDSByteSize: 20160 bytes/workgroup (compile time only)
; SGPRBlocks: 0
; VGPRBlocks: 13
; NumSGPRsForWavesPerEU: 20
; NumVGPRsForWavesPerEU: 111
; Occupancy: 9
; WaveLimiterHint : 1
; COMPUTE_PGM_RSRC2:SCRATCH_EN: 0
; COMPUTE_PGM_RSRC2:USER_SGPR: 6
; COMPUTE_PGM_RSRC2:TRAP_HANDLER: 0
; COMPUTE_PGM_RSRC2:TGID_X_EN: 1
; COMPUTE_PGM_RSRC2:TGID_Y_EN: 1
; COMPUTE_PGM_RSRC2:TGID_Z_EN: 0
; COMPUTE_PGM_RSRC2:TIDIG_COMP_CNT: 1
	.section	.text._ZL8moe_q8_0IN3c108BFloat16ELb1EEvPKvS3_PT_PKiS7_S7_iiiiiii,"axG",@progbits,_ZL8moe_q8_0IN3c108BFloat16ELb1EEvPKvS3_PT_PKiS7_S7_iiiiiii,comdat
	.globl	_ZL8moe_q8_0IN3c108BFloat16ELb1EEvPKvS3_PT_PKiS7_S7_iiiiiii ; -- Begin function _ZL8moe_q8_0IN3c108BFloat16ELb1EEvPKvS3_PT_PKiS7_S7_iiiiiii
	.p2align	8
	.type	_ZL8moe_q8_0IN3c108BFloat16ELb1EEvPKvS3_PT_PKiS7_S7_iiiiiii,@function
_ZL8moe_q8_0IN3c108BFloat16ELb1EEvPKvS3_PT_PKiS7_S7_iiiiiii: ; @_ZL8moe_q8_0IN3c108BFloat16ELb1EEvPKvS3_PT_PKiS7_S7_iiiiiii
; %bb.0:
	s_load_dwordx4 s[0:3], s[4:5], 0x18
	s_mov_b32 s8, s7
	s_mov_b32 s9, 0
	s_lshl_b64 s[10:11], s[8:9], 2
	s_waitcnt lgkmcnt(0)
	s_add_u32 s2, s2, s10
	s_addc_u32 s3, s3, s11
	s_load_dword s7, s[2:3], 0x0
	s_waitcnt lgkmcnt(0)
	s_cmpk_gt_u32 s7, 0xff
	s_cbranch_scc1 .LBB226_22
; %bb.1:
	s_load_dwordx2 s[2:3], s[4:5], 0x28
	s_waitcnt lgkmcnt(0)
	s_load_dword s3, s[2:3], 0x0
	s_lshl_b32 s2, s8, 3
	s_waitcnt lgkmcnt(0)
	s_cmp_gt_u32 s2, s3
	s_cbranch_scc1 .LBB226_22
; %bb.2:
	v_add_nc_u32_e32 v8, s2, v1
	v_mov_b32_e32 v9, 0
	s_lshl_b32 s6, s6, 7
	v_lshlrev_b64 v[2:3], 2, v[8:9]
	v_mov_b32_e32 v36, v9
	v_mov_b32_e32 v41, v9
	;; [unrolled: 1-line block ×3, first 2 shown]
	v_add_co_u32 v2, vcc_lo, s0, v2
	v_add_co_ci_u32_e64 v3, null, s1, v3, vcc_lo
	global_load_dword v21, v[2:3], off
	s_clause 0x1
	s_load_dwordx8 s[8:15], s[4:5], 0x30
	s_load_dwordx2 s[16:17], s[4:5], 0x10
	s_waitcnt lgkmcnt(0)
	s_cmp_lt_i32 s9, 32
	s_cbranch_scc1 .LBB226_13
; %bb.3:
	s_load_dwordx4 s[0:3], s[4:5], 0x0
	s_ashr_i32 s4, s9, 31
	s_ashr_i32 s5, s12, 31
	s_lshr_b32 s4, s4, 27
	s_lshr_b32 s5, s5, 27
	s_add_i32 s4, s9, s4
	s_mul_i32 s15, s7, s8
	s_ashr_i32 s7, s4, 5
	s_add_i32 s4, s12, s5
	s_mul_i32 s5, s7, s6
	s_ashr_i32 s18, s15, 31
	s_ashr_i32 s8, s4, 5
	s_mul_hi_i32 s4, s5, 34
	s_mul_i32 s5, s5, 34
	v_add_nc_u32_e32 v2, 8, v1
	v_add_nc_u32_e32 v3, 16, v1
	;; [unrolled: 1-line block ×4, first 2 shown]
	v_lshlrev_b32_e32 v20, 2, v0
	v_add_nc_u32_e32 v9, 40, v1
	s_waitcnt lgkmcnt(0)
	s_add_u32 s0, s0, s15
	s_addc_u32 s12, s1, s18
	s_add_u32 s1, s0, s5
	s_addc_u32 s12, s12, s4
	s_abs_i32 s4, s14
	s_not_b32 s0, s6
	v_cvt_f32_u32_e32 v13, s4
	s_add_i32 s0, s10, s0
	v_add_nc_u32_e32 v10, 48, v1
	v_min_i32_e32 v4, s0, v1
	v_min_i32_e32 v5, s0, v2
	v_rcp_iflag_f32_e32 v16, v13
	v_min_i32_e32 v6, s0, v3
	v_min_i32_e32 v7, s0, v7
	;; [unrolled: 1-line block ×3, first 2 shown]
	s_waitcnt vmcnt(0)
	v_mad_u64_u32 v[2:3], null, 0x84, v4, v[20:21]
	v_min_i32_e32 v9, s0, v9
	v_mul_lo_u32 v25, v4, s7
	v_mad_u64_u32 v[3:4], null, 0x84, v5, v[20:21]
	v_min_i32_e32 v10, s0, v10
	v_mul_lo_u32 v26, v5, s7
	v_mad_u64_u32 v[4:5], null, 0x84, v6, v[20:21]
	v_add_nc_u32_e32 v11, 56, v1
	v_add_nc_u32_e32 v12, 64, v1
	v_mul_f32_e32 v16, 0x4f7ffffe, v16
	v_mul_lo_u32 v27, v6, s7
	v_mad_u64_u32 v[5:6], null, 0x84, v7, v[20:21]
	v_mul_lo_u32 v28, v7, s7
	v_mad_u64_u32 v[6:7], null, 0x84, v8, v[20:21]
	;; [unrolled: 2-line block ×4, first 2 shown]
	v_min_i32_e32 v11, s0, v11
	v_min_i32_e32 v9, s0, v12
	v_add_nc_u32_e32 v12, 0x48, v1
	v_cvt_u32_f32_e32 v18, v16
	v_add_nc_u32_e32 v14, 0x50, v1
	s_sub_i32 s5, 0, s4
	v_mul_lo_u32 v31, v10, s7
	v_mul_lo_u32 v32, v11, s7
	v_mad_u64_u32 v[10:11], null, 0x84, v11, v[20:21]
	v_min_i32_e32 v15, s0, v12
	v_mul_lo_u32 v19, s5, v18
	v_mul_lo_u32 v33, v9, s7
	v_mad_u64_u32 v[11:12], null, 0x84, v9, v[20:21]
	v_min_i32_e32 v9, s0, v14
	v_add_nc_u32_e32 v14, 0x58, v1
	v_add_nc_u32_e32 v17, 0x60, v1
	v_lshrrev_b32_e32 v16, 2, v0
	v_mad_u64_u32 v[12:13], null, 0x84, v15, v[20:21]
	v_mul_lo_u32 v34, v15, s7
	v_mul_lo_u32 v35, v9, s7
	v_min_i32_e32 v15, s0, v14
	v_mad_u64_u32 v[13:14], null, 0x84, v9, v[20:21]
	v_min_i32_e32 v9, s0, v17
	v_add_nc_u32_e32 v17, 0x68, v1
	v_lshl_add_u32 v36, v1, 3, v16
	v_mul_hi_u32 v19, v18, v19
	v_mul_lo_u32 v37, v15, s7
	v_mad_u64_u32 v[14:15], null, 0x84, v15, v[20:21]
	v_min_i32_e32 v17, s0, v17
	v_sub_nc_u32_e32 v41, 0, v21
	v_mul_lo_u32 v38, v9, s7
	v_mad_u64_u32 v[15:16], null, 0x84, v9, v[20:21]
	v_min_i32_e32 v9, s0, v36
	v_mul_lo_u32 v39, v17, s7
	v_mad_u64_u32 v[16:17], null, 0x84, v17, v[20:21]
	v_max_i32_e32 v41, v21, v41
	v_add_nc_u32_e32 v18, v18, v19
	v_ashrrev_i32_e32 v17, 31, v9
	v_add_nc_u32_e32 v36, 64, v36
	v_add_nc_u32_e32 v40, 0x70, v1
	;; [unrolled: 1-line block ×3, first 2 shown]
	v_mul_hi_u32 v45, v41, v18
	v_lshrrev_b32_e32 v17, 29, v17
	v_min_i32_e32 v36, s0, v36
	v_min_i32_e32 v42, s0, v40
	;; [unrolled: 1-line block ×3, first 2 shown]
	v_xor_b32_e32 v49, s14, v21
	v_add_nc_u32_e32 v43, v9, v17
	v_ashrrev_i32_e32 v47, 31, v36
	v_mul_lo_u32 v46, v45, s4
	v_mad_u64_u32 v[17:18], null, 0x84, v42, v[20:21]
	v_ashrrev_i32_e32 v44, 3, v43
	v_and_b32_e32 v43, 3, v0
	v_mul_lo_u32 v40, v42, s7
	v_mul_lo_u32 v42, v19, s7
	v_mad_u64_u32 v[18:19], null, 0x84, v19, v[20:21]
	v_lshlrev_b32_e32 v19, 2, v44
	v_lshlrev_b32_e32 v48, 2, v43
	v_lshrrev_b32_e32 v47, 29, v47
	v_sub_nc_u32_e32 v41, v41, v46
	v_add_nc_u32_e32 v46, 1, v45
	v_ashrrev_i32_e32 v49, 31, v49
	v_add3_u32 v54, v19, v48, 0x4200
	v_add_nc_u32_e32 v19, v36, v47
	v_subrev_nc_u32_e32 v47, s4, v41
	v_cmp_le_u32_e32 vcc_lo, s4, v41
	v_and_b32_e32 v24, 28, v20
	v_lshrrev_b32_e32 v23, 3, v0
	v_ashrrev_i32_e32 v19, 3, v19
	v_mul_lo_u32 v44, v9, s7
	v_cndmask_b32_e32 v46, v45, v46, vcc_lo
	v_cndmask_b32_e32 v41, v41, v47, vcc_lo
	v_lshlrev_b32_e32 v9, 4, v9
	v_lshlrev_b32_e32 v19, 2, v19
	v_mul_lo_u32 v45, v36, s7
	v_add_nc_u32_e32 v47, 1, v46
	v_cmp_le_u32_e32 vcc_lo, s4, v41
	v_lshlrev_b32_e32 v36, 4, v36
	v_add3_u32 v55, v19, v48, 0x4200
	v_add_nc_u32_e32 v48, 64, v0
	v_lshlrev_b32_e32 v56, 4, v1
	v_cndmask_b32_e32 v41, v46, v47, vcc_lo
	v_and_b32_e32 v47, 31, v0
	v_lshl_add_u32 v46, v1, 7, 0x4a40
	v_lshrrev_b32_e32 v50, 1, v48
	v_lshlrev_b32_e32 v52, 4, v0
	v_xor_b32_e32 v19, v41, v49
	v_add_nc_u32_e32 v41, 0x4e40, v20
	v_add_nc_u32_e32 v20, 0x60, v0
	v_and_b32_e32 v50, 0xfc, v50
	v_lshlrev_b32_e32 v57, 2, v23
	v_sub_nc_u32_e32 v19, v19, v49
	v_add_nc_u32_e32 v49, 32, v0
	v_lshrrev_b32_e32 v20, 1, v20
	v_cmp_gt_u32_e64 s0, 4, v0
	v_mov_b32_e32 v22, 0
	v_mul_lo_u32 v48, v19, s8
	v_lshrrev_b32_e32 v49, 1, v49
	v_and_b32_e32 v51, 0xfc, v20
	v_cmp_gt_i32_e32 vcc_lo, s11, v19
	v_add_co_u32 v19, s4, s2, v24
	v_and_b32_e32 v53, 0xfc, v49
	v_lshl_add_u32 v47, v47, 2, v46
	v_mul_u32_u24_e32 v1, 0x84, v0
	v_add_co_ci_u32_e64 v20, null, s3, 0, s4
	v_add3_u32 v49, v52, v51, 0x4800
	v_add3_u32 v50, v52, v50, 0x4600
	;; [unrolled: 1-line block ×4, first 2 shown]
	v_add_nc_u32_e32 v53, 0x4e40, v56
	v_add_nc_u32_e32 v54, v54, v9
	;; [unrolled: 1-line block ×4, first 2 shown]
	v_mov_b32_e32 v41, 0
	v_mov_b32_e32 v36, 0
	;; [unrolled: 1-line block ×3, first 2 shown]
	s_mov_b32 s10, 0
	s_and_b32 s15, s0, vcc_lo
	s_branch .LBB226_5
.LBB226_4:                              ;   in Loop: Header=BB226_5 Depth=1
	s_add_i32 s10, s10, 4
	s_cmp_ge_i32 s10, s7
	s_cbranch_scc1 .LBB226_13
.LBB226_5:                              ; =>This Loop Header: Depth=1
                                        ;     Child Loop BB226_11 Depth 2
	s_mul_i32 s0, s10, 34
	s_mul_hi_u32 s5, s10, 34
	s_add_u32 s4, s1, s0
	s_addc_u32 s5, s12, s5
	v_mad_u64_u32 v[57:58], null, v23, 34, s[4:5]
	v_mad_u64_u32 v[87:88], null, v43, 34, s[4:5]
	v_mad_i64_i32 v[59:60], null, v25, 34, v[57:58]
	v_mad_i64_i32 v[61:62], null, v26, 34, v[57:58]
	;; [unrolled: 1-line block ×4, first 2 shown]
	v_add_co_u32 v59, s0, v59, v24
	v_mad_i64_i32 v[67:68], null, v29, 34, v[57:58]
	v_add_co_ci_u32_e64 v60, null, 0, v60, s0
	v_add_co_u32 v61, s0, v61, v24
	v_mad_i64_i32 v[69:70], null, v30, 34, v[57:58]
	v_add_co_ci_u32_e64 v62, null, 0, v62, s0
	;; [unrolled: 3-line block ×12, first 2 shown]
	v_add_co_u32 v83, s0, v83, v24
	v_mad_i64_i32 v[91:92], null, v44, 34, v[87:88]
	v_mad_i64_i32 v[87:88], null, v45, 34, v[87:88]
	v_add_co_ci_u32_e64 v84, null, 0, v84, s0
	v_add_co_u32 v85, s0, v85, v24
	v_add_co_ci_u32_e64 v86, null, 0, v86, s0
	v_add_co_u32 v89, s0, v89, v24
	;; [unrolled: 2-line block ×3, first 2 shown]
	v_add_co_ci_u32_e64 v58, null, 0, v58, s0
	s_clause 0x11
	global_load_ushort v91, v[91:92], off
	global_load_ushort v87, v[87:88], off
	global_load_dword v59, v[59:60], off offset:2
	global_load_dword v60, v[61:62], off offset:2
	;; [unrolled: 1-line block ×16, first 2 shown]
	s_lshl_b32 s0, s10, 5
	s_cmp_ge_i32 s0, s9
	s_waitcnt vmcnt(17)
	v_cvt_f32_f16_e32 v58, v91
	s_waitcnt vmcnt(16)
	v_cvt_f32_f16_e32 v74, v87
	s_waitcnt vmcnt(15)
	ds_write_b32 v2, v59
	s_waitcnt vmcnt(14)
	ds_write_b32 v3, v60
	;; [unrolled: 2-line block ×16, first 2 shown]
	ds_write_b32 v54, v58
	ds_write_b32 v55, v74
	s_cbranch_scc1 .LBB226_4
; %bb.6:                                ;   in Loop: Header=BB226_5 Depth=1
	v_add_nc_u32_e32 v57, s10, v23
	v_cmp_gt_i32_e64 s0, s8, v57
	s_and_b32 s4, vcc_lo, s0
	s_and_saveexec_b32 s0, s4
	s_cbranch_execz .LBB226_8
; %bb.7:                                ;   in Loop: Header=BB226_5 Depth=1
	v_add_nc_u32_e32 v57, v48, v57
	v_mad_i64_i32 v[57:58], null, v57, 36, v[19:20]
	global_load_dword v57, v[57:58], off offset:4
	s_waitcnt vmcnt(0)
	ds_write_b32 v47, v57
.LBB226_8:                              ;   in Loop: Header=BB226_5 Depth=1
	s_or_b32 exec_lo, exec_lo, s0
	v_or_b32_e32 v57, s10, v0
	v_cmp_gt_i32_e64 s0, s8, v57
	s_and_b32 s4, s15, s0
	s_and_saveexec_b32 s0, s4
	s_cbranch_execz .LBB226_10
; %bb.9:                                ;   in Loop: Header=BB226_5 Depth=1
	v_add_nc_u32_e32 v57, v48, v57
	v_mad_i64_i32 v[57:58], null, v57, 36, s[2:3]
	global_load_dword v57, v[57:58], off
	s_waitcnt vmcnt(0)
	v_cvt_f32_f16_e32 v57, v57
	ds_write_b32 v56, v57
.LBB226_10:                             ;   in Loop: Header=BB226_5 Depth=1
	s_or_b32 exec_lo, exec_lo, s0
	v_mov_b32_e32 v57, v46
	v_mov_b32_e32 v58, v53
	;; [unrolled: 1-line block ×7, first 2 shown]
	s_mov_b32 s0, -8
	s_waitcnt lgkmcnt(0)
	s_barrier
	buffer_gl0_inv
.LBB226_11:                             ;   Parent Loop BB226_5 Depth=1
                                        ; =>  This Inner Loop Header: Depth=2
	v_add_nc_u32_e32 v80, 0x1080, v63
	v_add_nc_u32_e32 v82, 0x2100, v63
	;; [unrolled: 1-line block ×3, first 2 shown]
	ds_read_b128 v[64:67], v57
	ds_read_b128 v[68:71], v57 offset:16
	ds_read2_b32 v[72:73], v63 offset0:2 offset1:3
	ds_read2_b32 v[74:75], v63 offset0:4 offset1:5
	;; [unrolled: 1-line block ×3, first 2 shown]
	ds_read_b32 v105, v58
	ds_read_b32 v106, v59
	ds_read2_b32 v[78:79], v63 offset1:1
	ds_read_b32 v107, v60
	ds_read_b32 v108, v61
	;; [unrolled: 1-line block ×3, first 2 shown]
	ds_read2_b32 v[80:81], v80 offset1:1
	ds_read2_b32 v[82:83], v82 offset1:1
	ds_read2_b32 v[84:85], v84 offset1:1
	v_add_nc_u32_e32 v86, 0x1088, v63
	v_add_nc_u32_e32 v88, 0x2108, v63
	;; [unrolled: 1-line block ×3, first 2 shown]
	ds_read2_b32 v[86:87], v86 offset1:1
	ds_read2_b32 v[88:89], v88 offset1:1
	;; [unrolled: 1-line block ×3, first 2 shown]
	v_mov_b32_e32 v102, 0
	v_mov_b32_e32 v103, 0
	v_add_nc_u32_e32 v92, 0x1090, v63
	v_mov_b32_e32 v104, 0
	v_mov_b32_e32 v110, 0
	v_add_nc_u32_e32 v94, 0x1098, v63
	v_add_nc_u32_e32 v96, 0x2110, v63
	;; [unrolled: 1-line block ×3, first 2 shown]
	ds_read2_b32 v[92:93], v92 offset1:1
	ds_read2_b32 v[94:95], v94 offset1:1
	;; [unrolled: 1-line block ×4, first 2 shown]
	s_waitcnt lgkmcnt(13)
	v_dot4c_i32_i8 v102, v78, v64
	s_waitcnt lgkmcnt(9)
	v_dot4c_i32_i8 v103, v80, v64
	;; [unrolled: 2-line block ×4, first 2 shown]
	v_add_nc_u32_e32 v100, 0x2118, v63
	v_add_nc_u32_e32 v111, 0x3198, v63
	v_dot4c_i32_i8 v102, v79, v65
	v_dot4c_i32_i8 v103, v81, v65
	;; [unrolled: 1-line block ×4, first 2 shown]
	ds_read2_b32 v[100:101], v100 offset1:1
	ds_read2_b32 v[64:65], v111 offset1:1
	v_dot4c_i32_i8 v102, v72, v66
	s_waitcnt lgkmcnt(8)
	v_dot4c_i32_i8 v103, v86, v66
	s_waitcnt lgkmcnt(7)
	;; [unrolled: 2-line block ×3, first 2 shown]
	v_dot4c_i32_i8 v110, v90, v66
	v_mul_f32_e32 v66, v105, v106
	v_dot4c_i32_i8 v102, v73, v67
	v_dot4c_i32_i8 v103, v87, v67
	;; [unrolled: 1-line block ×4, first 2 shown]
	v_mul_f32_e32 v67, v105, v107
	v_dot4c_i32_i8 v102, v74, v68
	s_waitcnt lgkmcnt(5)
	v_dot4c_i32_i8 v103, v92, v68
	s_waitcnt lgkmcnt(3)
	;; [unrolled: 2-line block ×3, first 2 shown]
	v_dot4c_i32_i8 v110, v98, v68
	v_add_nc_u32_e32 v63, 32, v63
	v_dot4c_i32_i8 v102, v75, v69
	v_dot4c_i32_i8 v103, v93, v69
	;; [unrolled: 1-line block ×4, first 2 shown]
	v_add_nc_u32_e32 v62, 4, v62
	v_dot4c_i32_i8 v102, v76, v70
	v_dot4c_i32_i8 v103, v94, v70
	s_waitcnt lgkmcnt(1)
	v_dot4c_i32_i8 v104, v100, v70
	s_waitcnt lgkmcnt(0)
	v_dot4c_i32_i8 v110, v64, v70
	v_mul_f32_e32 v64, v105, v108
	v_dot4c_i32_i8 v102, v77, v71
	v_dot4c_i32_i8 v103, v95, v71
	v_dot4c_i32_i8 v104, v101, v71
	v_dot4c_i32_i8 v110, v65, v71
	v_mul_f32_e32 v65, v105, v109
	v_cvt_f32_i32_e32 v68, v102
	v_cvt_f32_i32_e32 v69, v103
	;; [unrolled: 1-line block ×4, first 2 shown]
	v_add_nc_u32_e32 v61, 4, v61
	v_add_nc_u32_e32 v60, 4, v60
	;; [unrolled: 1-line block ×5, first 2 shown]
	v_fmac_f32_e32 v22, v66, v68
	v_fmac_f32_e32 v41, v67, v69
	;; [unrolled: 1-line block ×4, first 2 shown]
	s_add_i32 s0, s0, 8
	s_cmp_lt_u32 s0, 24
	s_cbranch_scc1 .LBB226_11
; %bb.12:                               ;   in Loop: Header=BB226_5 Depth=1
	s_barrier
	buffer_gl0_inv
	s_branch .LBB226_4
.LBB226_13:
	s_mul_i32 s0, s14, s11
	s_waitcnt vmcnt(0)
	v_cmp_gt_i32_e32 vcc_lo, s0, v21
	s_and_saveexec_b32 s0, vcc_lo
	s_cbranch_execz .LBB226_22
; %bb.14:
	v_add_nc_u32_e32 v1, s6, v0
	v_mul_lo_u32 v0, v21, s13
	s_mov_b32 s0, exec_lo
	v_cmpx_gt_u32_e64 s13, v1
	s_cbranch_execz .LBB226_16
; %bb.15:
	v_add_nc_u32_e32 v2, v0, v1
	v_mov_b32_e32 v3, 0
	v_bfe_u32 v4, v22, 16, 1
	v_cmp_o_f32_e32 vcc_lo, v22, v22
	v_mov_b32_e32 v5, 0x7fc0
	v_lshlrev_b64 v[2:3], 1, v[2:3]
	v_add3_u32 v4, v22, v4, 0x7fff
	v_cndmask_b32_sdwa v4, v5, v4, vcc_lo dst_sel:DWORD dst_unused:UNUSED_PAD src0_sel:DWORD src1_sel:WORD_1
	v_add_co_u32 v2, vcc_lo, s16, v2
	v_add_co_ci_u32_e64 v3, null, s17, v3, vcc_lo
	global_store_short v[2:3], v4, off
.LBB226_16:
	s_or_b32 exec_lo, exec_lo, s0
	v_add_nc_u32_e32 v2, 32, v1
	s_mov_b32 s0, exec_lo
	v_cmpx_gt_u32_e64 s13, v2
	s_cbranch_execz .LBB226_18
; %bb.17:
	v_add_nc_u32_e32 v2, v0, v2
	v_mov_b32_e32 v3, 0
	v_bfe_u32 v4, v41, 16, 1
	v_cmp_o_f32_e32 vcc_lo, v41, v41
	v_mov_b32_e32 v5, 0x7fc0
	v_lshlrev_b64 v[2:3], 1, v[2:3]
	v_add3_u32 v4, v41, v4, 0x7fff
	v_cndmask_b32_sdwa v4, v5, v4, vcc_lo dst_sel:DWORD dst_unused:UNUSED_PAD src0_sel:DWORD src1_sel:WORD_1
	v_add_co_u32 v2, vcc_lo, s16, v2
	v_add_co_ci_u32_e64 v3, null, s17, v3, vcc_lo
	global_store_short v[2:3], v4, off
.LBB226_18:
	s_or_b32 exec_lo, exec_lo, s0
	v_add_nc_u32_e32 v2, 64, v1
	;; [unrolled: 18-line block ×3, first 2 shown]
	v_cmp_gt_u32_e32 vcc_lo, s13, v1
	s_and_b32 exec_lo, exec_lo, vcc_lo
	s_cbranch_execz .LBB226_22
; %bb.21:
	v_add_nc_u32_e32 v0, v0, v1
	v_mov_b32_e32 v1, 0
	v_bfe_u32 v2, v9, 16, 1
	v_cmp_o_f32_e32 vcc_lo, v9, v9
	v_mov_b32_e32 v3, 0x7fc0
	v_lshlrev_b64 v[0:1], 1, v[0:1]
	v_add3_u32 v2, v9, v2, 0x7fff
	v_cndmask_b32_sdwa v2, v3, v2, vcc_lo dst_sel:DWORD dst_unused:UNUSED_PAD src0_sel:DWORD src1_sel:WORD_1
	v_add_co_u32 v0, vcc_lo, s16, v0
	v_add_co_ci_u32_e64 v1, null, s17, v1, vcc_lo
	global_store_short v[0:1], v2, off
.LBB226_22:
	s_endpgm
	.section	.rodata,"a",@progbits
	.p2align	6, 0x0
	.amdhsa_kernel _ZL8moe_q8_0IN3c108BFloat16ELb1EEvPKvS3_PT_PKiS7_S7_iiiiiii
		.amdhsa_group_segment_fixed_size 20160
		.amdhsa_private_segment_fixed_size 0
		.amdhsa_kernarg_size 76
		.amdhsa_user_sgpr_count 6
		.amdhsa_user_sgpr_private_segment_buffer 1
		.amdhsa_user_sgpr_dispatch_ptr 0
		.amdhsa_user_sgpr_queue_ptr 0
		.amdhsa_user_sgpr_kernarg_segment_ptr 1
		.amdhsa_user_sgpr_dispatch_id 0
		.amdhsa_user_sgpr_flat_scratch_init 0
		.amdhsa_user_sgpr_private_segment_size 0
		.amdhsa_wavefront_size32 1
		.amdhsa_uses_dynamic_stack 0
		.amdhsa_system_sgpr_private_segment_wavefront_offset 0
		.amdhsa_system_sgpr_workgroup_id_x 1
		.amdhsa_system_sgpr_workgroup_id_y 1
		.amdhsa_system_sgpr_workgroup_id_z 0
		.amdhsa_system_sgpr_workgroup_info 0
		.amdhsa_system_vgpr_workitem_id 1
		.amdhsa_next_free_vgpr 112
		.amdhsa_next_free_sgpr 19
		.amdhsa_reserve_vcc 1
		.amdhsa_reserve_flat_scratch 0
		.amdhsa_float_round_mode_32 0
		.amdhsa_float_round_mode_16_64 0
		.amdhsa_float_denorm_mode_32 3
		.amdhsa_float_denorm_mode_16_64 3
		.amdhsa_dx10_clamp 1
		.amdhsa_ieee_mode 1
		.amdhsa_fp16_overflow 0
		.amdhsa_workgroup_processor_mode 1
		.amdhsa_memory_ordered 1
		.amdhsa_forward_progress 1
		.amdhsa_shared_vgpr_count 0
		.amdhsa_exception_fp_ieee_invalid_op 0
		.amdhsa_exception_fp_denorm_src 0
		.amdhsa_exception_fp_ieee_div_zero 0
		.amdhsa_exception_fp_ieee_overflow 0
		.amdhsa_exception_fp_ieee_underflow 0
		.amdhsa_exception_fp_ieee_inexact 0
		.amdhsa_exception_int_div_zero 0
	.end_amdhsa_kernel
	.section	.text._ZL8moe_q8_0IN3c108BFloat16ELb1EEvPKvS3_PT_PKiS7_S7_iiiiiii,"axG",@progbits,_ZL8moe_q8_0IN3c108BFloat16ELb1EEvPKvS3_PT_PKiS7_S7_iiiiiii,comdat
.Lfunc_end226:
	.size	_ZL8moe_q8_0IN3c108BFloat16ELb1EEvPKvS3_PT_PKiS7_S7_iiiiiii, .Lfunc_end226-_ZL8moe_q8_0IN3c108BFloat16ELb1EEvPKvS3_PT_PKiS7_S7_iiiiiii
                                        ; -- End function
	.set _ZL8moe_q8_0IN3c108BFloat16ELb1EEvPKvS3_PT_PKiS7_S7_iiiiiii.num_vgpr, 112
	.set _ZL8moe_q8_0IN3c108BFloat16ELb1EEvPKvS3_PT_PKiS7_S7_iiiiiii.num_agpr, 0
	.set _ZL8moe_q8_0IN3c108BFloat16ELb1EEvPKvS3_PT_PKiS7_S7_iiiiiii.numbered_sgpr, 19
	.set _ZL8moe_q8_0IN3c108BFloat16ELb1EEvPKvS3_PT_PKiS7_S7_iiiiiii.num_named_barrier, 0
	.set _ZL8moe_q8_0IN3c108BFloat16ELb1EEvPKvS3_PT_PKiS7_S7_iiiiiii.private_seg_size, 0
	.set _ZL8moe_q8_0IN3c108BFloat16ELb1EEvPKvS3_PT_PKiS7_S7_iiiiiii.uses_vcc, 1
	.set _ZL8moe_q8_0IN3c108BFloat16ELb1EEvPKvS3_PT_PKiS7_S7_iiiiiii.uses_flat_scratch, 0
	.set _ZL8moe_q8_0IN3c108BFloat16ELb1EEvPKvS3_PT_PKiS7_S7_iiiiiii.has_dyn_sized_stack, 0
	.set _ZL8moe_q8_0IN3c108BFloat16ELb1EEvPKvS3_PT_PKiS7_S7_iiiiiii.has_recursion, 0
	.set _ZL8moe_q8_0IN3c108BFloat16ELb1EEvPKvS3_PT_PKiS7_S7_iiiiiii.has_indirect_call, 0
	.section	.AMDGPU.csdata,"",@progbits
; Kernel info:
; codeLenInByte = 3252
; TotalNumSgprs: 21
; NumVgprs: 112
; ScratchSize: 0
; MemoryBound: 0
; FloatMode: 240
; IeeeMode: 1
; LDSByteSize: 20160 bytes/workgroup (compile time only)
; SGPRBlocks: 0
; VGPRBlocks: 13
; NumSGPRsForWavesPerEU: 21
; NumVGPRsForWavesPerEU: 112
; Occupancy: 9
; WaveLimiterHint : 1
; COMPUTE_PGM_RSRC2:SCRATCH_EN: 0
; COMPUTE_PGM_RSRC2:USER_SGPR: 6
; COMPUTE_PGM_RSRC2:TRAP_HANDLER: 0
; COMPUTE_PGM_RSRC2:TGID_X_EN: 1
; COMPUTE_PGM_RSRC2:TGID_Y_EN: 1
; COMPUTE_PGM_RSRC2:TGID_Z_EN: 0
; COMPUTE_PGM_RSRC2:TIDIG_COMP_CNT: 1
	.section	.text._ZL8moe_q2_KIN3c108BFloat16ELb0EEvPKvS3_PT_PKiS7_S7_iiiiiii,"axG",@progbits,_ZL8moe_q2_KIN3c108BFloat16ELb0EEvPKvS3_PT_PKiS7_S7_iiiiiii,comdat
	.globl	_ZL8moe_q2_KIN3c108BFloat16ELb0EEvPKvS3_PT_PKiS7_S7_iiiiiii ; -- Begin function _ZL8moe_q2_KIN3c108BFloat16ELb0EEvPKvS3_PT_PKiS7_S7_iiiiiii
	.p2align	8
	.type	_ZL8moe_q2_KIN3c108BFloat16ELb0EEvPKvS3_PT_PKiS7_S7_iiiiiii,@function
_ZL8moe_q2_KIN3c108BFloat16ELb0EEvPKvS3_PT_PKiS7_S7_iiiiiii: ; @_ZL8moe_q2_KIN3c108BFloat16ELb0EEvPKvS3_PT_PKiS7_S7_iiiiiii
; %bb.0:
	s_load_dwordx4 s[0:3], s[4:5], 0x18
	s_mov_b32 s8, s7
	s_mov_b32 s9, 0
	s_lshl_b64 s[10:11], s[8:9], 2
	s_waitcnt lgkmcnt(0)
	s_add_u32 s2, s2, s10
	s_addc_u32 s3, s3, s11
	s_load_dword s7, s[2:3], 0x0
	s_waitcnt lgkmcnt(0)
	s_cmpk_gt_u32 s7, 0xff
	s_cbranch_scc1 .LBB227_46
; %bb.1:
	s_load_dwordx2 s[2:3], s[4:5], 0x28
	s_waitcnt lgkmcnt(0)
	s_load_dword s3, s[2:3], 0x0
	s_lshl_b32 s2, s8, 3
	s_waitcnt lgkmcnt(0)
	s_cmp_gt_u32 s2, s3
	s_cbranch_scc1 .LBB227_46
; %bb.2:
	v_add_nc_u32_e32 v4, s2, v1
	v_mov_b32_e32 v5, 0
	s_lshl_b32 s6, s6, 7
	v_lshlrev_b64 v[2:3], 2, v[4:5]
	v_mov_b32_e32 v31, v5
	v_mov_b32_e32 v44, v5
	;; [unrolled: 1-line block ×3, first 2 shown]
	v_add_co_u32 v2, vcc_lo, s0, v2
	v_add_co_ci_u32_e64 v3, null, s1, v3, vcc_lo
	global_load_dword v8, v[2:3], off
	s_clause 0x2
	s_load_dwordx2 s[14:15], s[4:5], 0x30
	s_load_dwordx2 s[12:13], s[4:5], 0x10
	s_load_dwordx4 s[8:11], s[4:5], 0x3c
	s_waitcnt lgkmcnt(0)
	s_cmpk_lt_i32 s15, 0x100
	s_cbranch_scc1 .LBB227_37
; %bb.3:
	s_load_dwordx4 s[0:3], s[4:5], 0x0
	s_ashr_i32 s4, s15, 31
	s_ashr_i32 s5, s9, 31
	s_lshr_b32 s4, s4, 24
	s_lshr_b32 s5, s5, 27
	s_add_i32 s4, s15, s4
	s_mul_i32 s14, s7, s14
	s_ashr_i32 s7, s4, 8
	s_add_i32 s4, s9, s5
	s_mul_i32 s5, s7, s6
	s_ashr_i32 s16, s14, 31
	s_ashr_i32 s9, s4, 5
	s_mul_hi_i32 s4, s5, 0x54
	s_mulk_i32 s5, 0x54
	v_lshlrev_b32_e32 v2, 2, v0
	v_lshrrev_b32_e32 v13, 3, v0
	v_lshlrev_b32_e32 v3, 4, v1
	v_lshl_add_u32 v15, v1, 7, 0x56a0
	v_mul_i32_i24_e32 v24, s7, v1
	v_mad_u32_u24 v18, 0x84, v1, v2
	s_waitcnt lgkmcnt(0)
	s_add_u32 s0, s0, s14
	s_addc_u32 s1, s1, s16
	s_add_u32 s14, s0, s5
	s_addc_u32 s16, s1, s4
	s_lshl_b32 s0, s7, 3
	s_abs_i32 s1, s11
	v_mad_i32_i24 v12, s7, v1, s0
	v_cvt_f32_u32_e32 v6, s1
	s_sub_i32 s4, 0, s1
	v_lshl_add_u32 v34, v1, 2, v13
	v_lshrrev_b32_e32 v4, 1, v0
	v_add_nc_u32_e32 v14, s0, v12
	v_rcp_iflag_f32_e32 v6, v6
	v_and_b32_e32 v11, 1, v0
	s_waitcnt vmcnt(0)
	v_sub_nc_u32_e32 v7, 0, v8
	v_add_nc_u32_e32 v4, v4, v3
	v_add_nc_u32_e32 v16, s0, v14
	v_and_b32_e32 v5, 7, v0
	v_lshlrev_b32_e32 v30, 2, v11
	v_max_i32_e32 v7, v8, v7
	v_and_b32_e32 v32, 0x7f, v4
	v_add_nc_u32_e32 v19, s0, v16
	v_mul_f32_e32 v6, 0x4f7ffffe, v6
	v_cmp_lt_u32_e32 vcc_lo, 3, v5
	v_lshlrev_b32_e32 v5, 2, v5
	v_lshl_or_b32 v38, v32, 3, v30
	v_add_nc_u32_e32 v21, s0, v19
	v_cvt_u32_f32_e32 v6, v6
	v_and_b32_e32 v33, 0x7fc, v34
	v_mul_i32_i24_e32 v29, s7, v32
	v_lshrrev_b32_e32 v4, 2, v4
	v_add_nc_u32_e32 v23, s0, v21
	v_mul_lo_u32 v1, s4, v6
	v_add_nc_u32_e32 v35, 32, v34
	v_add3_u32 v57, v33, v5, 0x4200
	v_add_nc_u32_e32 v36, 64, v34
	v_add_nc_u32_e32 v25, s0, v23
	;; [unrolled: 1-line block ×3, first 2 shown]
	v_and_b32_e32 v4, 28, v4
	v_lshlrev_b32_e32 v58, 5, v35
	v_mul_hi_u32 v1, v6, v1
	v_add_nc_u32_e32 v27, s0, v25
	v_and_b32_e32 v39, 0xffc, v36
	v_and_b32_e32 v40, 0xffc, v37
	v_lshlrev_b32_e32 v59, 5, v36
	v_add3_u32 v36, v38, v4, 0x5280
	v_add_nc_u32_e32 v28, s0, v27
	v_add3_u32 v61, v39, v5, 0x4200
	v_add_nc_u32_e32 v1, v6, v1
	v_and_b32_e32 v6, 0xffc, v35
	v_add_nc_u32_e32 v42, 0x5aa0, v3
	v_add_nc_u32_e32 v30, s0, v28
	v_and_b32_e32 v17, 60, v2
	v_mul_hi_u32 v1, v7, v1
	v_add3_u32 v4, v6, v5, 0x4200
	v_add3_u32 v5, v40, v5, 0x4200
	v_add_nc_u32_e32 v32, s0, v30
	v_and_b32_e32 v22, 12, v2
	v_and_b32_e32 v44, 28, v2
	v_add_nc_u32_e32 v43, v42, v2
	v_xor_b32_e32 v2, s11, v8
	v_add_nc_u32_e32 v33, s0, v32
	v_mul_lo_u32 v41, v1, s1
	v_and_b32_e32 v31, 31, v0
	s_lshl_b32 s4, s7, 5
	v_ashrrev_i32_e32 v2, 31, v2
	v_add_nc_u32_e32 v35, s0, v33
	v_mul_i32_i24_e32 v26, s7, v34
	v_lshlrev_b32_e32 v56, 5, v34
	v_mad_i32_i24 v34, s7, v34, s4
	v_sub_nc_u32_e32 v6, v7, v41
	v_add_nc_u32_e32 v38, s0, v35
	v_add_nc_u32_e32 v7, 1, v1
	v_lshl_add_u32 v41, v31, 2, v15
	v_mul_u32_u24_e32 v31, 33, v0
	v_subrev_nc_u32_e32 v3, s1, v6
	v_add_nc_u32_e32 v40, s0, v38
	v_cmp_le_u32_e64 s0, s1, v6
	v_add_nc_u32_e32 v51, 32, v0
	v_add_nc_u32_e32 v52, 64, v0
	;; [unrolled: 1-line block ×3, first 2 shown]
	v_and_b32_e32 v53, 0xfc, v0
	v_cndmask_b32_e64 v1, v1, v7, s0
	v_cndmask_b32_e64 v3, v6, v3, s0
	v_lshrrev_b32_e32 v10, 4, v0
	v_lshlrev_b32_e32 v60, 5, v37
	v_add_nc_u32_e32 v37, s4, v34
	v_add_nc_u32_e32 v6, 1, v1
	v_cmp_le_u32_e64 s0, s1, v3
	v_lshlrev_b32_e32 v3, 1, v0
	v_lshlrev_b32_e32 v63, 1, v51
	v_lshrrev_b32_e32 v62, 4, v51
	v_lshlrev_b32_e32 v65, 1, v52
	v_cndmask_b32_e64 v1, v1, v6, s0
	v_lshrrev_b32_e32 v64, 4, v52
	v_lshlrev_b32_e32 v67, 1, v50
	v_lshrrev_b32_e32 v47, 3, v50
	v_add_co_u32 v6, s1, s2, v44
	v_xor_b32_e32 v1, v1, v2
	v_lshlrev_b32_e32 v49, 2, v31
	v_and_b32_e32 v31, 0x1fc, v50
	v_and_b32_e32 v44, 0x1fc, v51
	;; [unrolled: 1-line block ×3, first 2 shown]
	v_sub_nc_u32_e32 v1, v1, v2
	v_lshrrev_b32_e32 v2, 4, v50
	v_cndmask_b32_e64 v20, 0, 1, vcc_lo
	v_cmp_gt_u32_e32 vcc_lo, 4, v0
	v_mov_b32_e32 v9, 0
	v_cmp_gt_i32_e64 s0, s8, v1
	v_mul_lo_u32 v48, v1, s9
	v_lshlrev_b32_e32 v1, 5, v0
	v_add_nc_u32_e32 v39, s4, v37
	v_lshrrev_b32_e32 v45, 3, v51
	v_lshrrev_b32_e32 v46, 3, v52
	v_add_co_ci_u32_e64 v7, null, s3, 0, s1
	v_add_nc_u32_e32 v50, v1, v53
	v_ashrrev_i32_e32 v51, 31, v48
	v_add_nc_u32_e32 v52, v1, v31
	v_add_nc_u32_e32 v54, v1, v44
	;; [unrolled: 1-line block ×8, first 2 shown]
	v_lshlrev_b32_e32 v60, 2, v10
	v_lshlrev_b32_e32 v61, 2, v3
	;; [unrolled: 1-line block ×8, first 2 shown]
	v_mov_b32_e32 v68, 0xffff
	v_mov_b32_e32 v44, 0
	v_mov_b32_e32 v31, 0
	v_mov_b32_e32 v5, 0
	s_mov_b32 s17, 0
	s_and_b32 s18, vcc_lo, s0
	s_branch .LBB227_5
.LBB227_4:                              ;   in Loop: Header=BB227_5 Depth=1
	s_add_i32 s17, s17, 2
	s_cmp_ge_i32 s17, s7
	s_cbranch_scc1 .LBB227_37
.LBB227_5:                              ; =>This Loop Header: Depth=1
                                        ;     Child Loop BB227_11 Depth 2
                                        ;     Child Loop BB227_19 Depth 2
	;; [unrolled: 1-line block ×4, first 2 shown]
	s_mul_i32 s1, s17, 0x54
	s_mul_hi_u32 s5, s17, 0x54
	s_add_u32 s4, s14, s1
	s_addc_u32 s5, s16, s5
	v_add_nc_u32_e32 v99, 0x39c0, v18
	v_mad_u64_u32 v[1:2], null, 0x54, v10, s[4:5]
	v_add_nc_u32_e32 v100, 0x3de0, v18
	v_mad_u64_u32 v[3:4], null, 0x54, v24, v[1:2]
	v_mad_u64_u32 v[69:70], null, 0x54, v12, v[1:2]
	;; [unrolled: 1-line block ×4, first 2 shown]
	v_add_co_u32 v3, s1, v3, v17
	v_mad_u64_u32 v[75:76], null, 0x54, v19, v[1:2]
	v_add_co_ci_u32_e64 v4, null, 0, v4, s1
	v_add_co_u32 v69, s1, v69, v17
	v_mad_u64_u32 v[77:78], null, 0x54, v21, v[1:2]
	v_add_co_ci_u32_e64 v70, null, 0, v70, s1
	;; [unrolled: 3-line block ×4, first 2 shown]
	v_add_co_u32 v75, s1, v75, v17
	v_add_co_ci_u32_e64 v76, null, 0, v76, s1
	v_add_co_u32 v77, s1, v77, v17
	v_add_co_ci_u32_e64 v78, null, 0, v78, s1
	;; [unrolled: 2-line block ×3, first 2 shown]
	v_add_co_u32 v81, s1, v81, v17
	v_mad_u64_u32 v[83:84], null, 0x54, v27, v[1:2]
	v_add_co_ci_u32_e64 v82, null, 0, v82, s1
	s_clause 0x7
	global_load_dword v91, v[3:4], off offset:16
	global_load_dword v92, v[69:70], off offset:16
	;; [unrolled: 1-line block ×8, first 2 shown]
	v_mad_u64_u32 v[3:4], null, 0x54, v28, v[1:2]
	v_mad_u64_u32 v[71:72], null, 0x54, v30, v[1:2]
	;; [unrolled: 1-line block ×3, first 2 shown]
	v_add_co_u32 v69, s1, v83, v17
	v_mad_u64_u32 v[75:76], null, 0x54, v33, v[1:2]
	v_add_co_ci_u32_e64 v70, null, 0, v84, s1
	v_add_co_u32 v3, s1, v3, v17
	v_mad_u64_u32 v[77:78], null, 0x54, v35, v[1:2]
	v_add_co_ci_u32_e64 v4, null, 0, v4, s1
	;; [unrolled: 3-line block ×4, first 2 shown]
	v_add_co_u32 v75, s1, v75, v17
	v_add_co_ci_u32_e64 v76, null, 0, v76, s1
	v_add_co_u32 v77, s1, v77, v17
	v_mad_u64_u32 v[1:2], null, 0x54, v40, v[1:2]
	v_add_co_ci_u32_e64 v78, null, 0, v78, s1
	v_add_co_u32 v79, s1, v79, v17
	v_mad_u64_u32 v[83:84], null, 0x54, v29, s[4:5]
	v_add_co_ci_u32_e64 v80, null, 0, v80, s1
	v_add_co_u32 v81, s1, v81, v22
	v_add_co_ci_u32_e64 v82, null, 0, v82, s1
	v_add_co_u32 v1, s1, v1, v17
	v_add_co_ci_u32_e64 v2, null, 0, v2, s1
	v_mad_u64_u32 v[83:84], null, 0x54, v11, v[83:84]
	v_mad_u64_u32 v[85:86], null, 0x54, v26, v[81:82]
	;; [unrolled: 1-line block ×5, first 2 shown]
	s_clause 0xc
	global_load_dword v69, v[69:70], off offset:16
	global_load_dword v3, v[3:4], off offset:16
	;; [unrolled: 1-line block ×9, first 2 shown]
	global_load_dword v74, v[85:86], off
	global_load_dword v75, v[87:88], off
	global_load_dword v76, v[89:90], off
	global_load_dword v77, v[81:82], off
	v_add_nc_u32_e32 v78, 0x420, v18
	s_lshl_b32 s4, s17, 8
	v_add_nc_u32_e32 v79, 0x840, v18
	v_add_nc_u32_e32 v80, 0xc60, v18
	s_cmp_lt_i32 s4, s15
	v_add_nc_u32_e32 v81, 0x1080, v18
	v_add_nc_u32_e32 v82, 0x14a0, v18
	;; [unrolled: 1-line block ×10, first 2 shown]
	s_waitcnt vmcnt(20)
	ds_write_b32 v18, v91
	s_waitcnt vmcnt(19)
	ds_write_b32 v78, v92
	;; [unrolled: 2-line block ×21, first 2 shown]
	s_cbranch_scc0 .LBB227_4
; %bb.6:                                ;   in Loop: Header=BB227_5 Depth=1
	s_lshl_b32 s5, s17, 3
	v_add_nc_u32_e32 v1, s5, v13
	v_cmp_gt_i32_e64 s1, s9, v1
	s_and_b32 s19, s0, s1
	s_and_saveexec_b32 s1, s19
	s_cbranch_execz .LBB227_8
; %bb.7:                                ;   in Loop: Header=BB227_5 Depth=1
	v_add_nc_u32_e32 v1, v48, v1
	v_mad_i64_i32 v[1:2], null, v1, 36, v[6:7]
	global_load_dword v1, v[1:2], off offset:4
	s_waitcnt vmcnt(0)
	ds_write_b32 v41, v1
.LBB227_8:                              ;   in Loop: Header=BB227_5 Depth=1
	s_or_b32 exec_lo, exec_lo, s1
	v_add_nc_u32_e32 v69, s5, v0
	v_cmp_gt_i32_e64 s1, s9, v69
	s_and_b32 s19, s18, s1
	s_and_saveexec_b32 s1, s19
	s_cbranch_execz .LBB227_10
; %bb.9:                                ;   in Loop: Header=BB227_5 Depth=1
	v_add_nc_u32_e32 v1, v48, v69
	v_mad_i64_i32 v[1:2], null, v1, 36, s[2:3]
	global_load_dword v1, v[1:2], off
	s_waitcnt vmcnt(0)
	v_cvt_f32_f16_e32 v1, v1
	ds_write_b32 v43, v1
.LBB227_10:                             ;   in Loop: Header=BB227_5 Depth=1
	s_or_b32 exec_lo, exec_lo, s1
	v_mov_b32_e32 v70, v42
	v_mov_b32_e32 v71, v15
	s_mov_b32 s1, 0
	s_waitcnt lgkmcnt(0)
	s_barrier
	buffer_gl0_inv
.LBB227_11:                             ;   Parent Loop BB227_5 Depth=1
                                        ; =>  This Inner Loop Header: Depth=2
	s_and_b32 s20, s1, 0x3ffffff8
	s_lshr_b32 s21, s1, 2
	v_lshl_add_u32 v85, s20, 2, v49
	s_and_b32 s20, s21, 0x3ffffffc
	s_and_b32 s19, s1, -16
	s_addk_i32 s20, 0x5280
	ds_read_b32 v72, v70
	ds_read_b128 v[73:76], v71
	ds_read_b128 v[1:4], v71 offset:16
	v_add3_u32 v87, s20, v62, v63
	v_add3_u32 v88, s20, v64, v65
	ds_read2_b32 v[77:78], v85 offset1:1
	ds_read2_b32 v[79:80], v85 offset0:2 offset1:3
	ds_read2_b32 v[81:82], v85 offset0:4 offset1:5
	;; [unrolled: 1-line block ×3, first 2 shown]
	s_add_i32 s19, s1, s19
	v_add3_u32 v90, s20, v66, v67
	v_add3_u32 v86, s20, v60, v61
	v_add_nc_u32_e32 v89, s19, v53
	v_add_nc_u32_e32 v93, s19, v54
	;; [unrolled: 1-line block ×16, first 2 shown]
	ds_read_b32 v122, v87
	ds_read_b32 v123, v88
	;; [unrolled: 1-line block ×4, first 2 shown]
	ds_read2_b32 v[85:86], v91 offset1:1
	ds_read2_b32 v[87:88], v92 offset1:1
	ds_read_u16 v126, v89
	ds_read2_b32 v[89:90], v94 offset1:1
	ds_read2_b32 v[91:92], v95 offset1:1
	ds_read_u16 v127, v93 offset:17920
	ds_read2_b32 v[93:94], v96 offset1:1
	ds_read2_b32 v[95:96], v97 offset1:1
	;; [unrolled: 1-line block ×6, first 2 shown]
	ds_read_u16 v128, v105 offset:18944
	ds_read2_b32 v[105:106], v106 offset1:1
	ds_read2_b32 v[107:108], v107 offset1:1
	ds_read_u16 v121, v121 offset:19968
	s_waitcnt lgkmcnt(23)
	v_ashrrev_i32_e32 v77, s1, v77
	s_waitcnt lgkmcnt(21)
	v_ashrrev_i32_e32 v81, s1, v81
	v_mov_b32_e32 v109, 0
	v_mov_b32_e32 v111, 0
	s_waitcnt lgkmcnt(15)
	v_ashrrev_i32_e32 v85, s1, v85
	v_and_b32_e32 v77, 0x3030303, v77
	v_and_b32_e32 v81, 0x3030303, v81
	s_waitcnt lgkmcnt(13)
	v_bfe_u32 v133, v126, 4, 4
	v_and_b32_e32 v134, 15, v126
	v_and_b32_sdwa v126, v68, v126 dst_sel:DWORD dst_unused:UNUSED_PAD src0_sel:DWORD src1_sel:BYTE_1
	s_waitcnt lgkmcnt(10)
	v_bfe_u32 v135, v127, 4, 4
	v_dot4c_i32_i8 v109, v77, v73
	v_mul_lo_u32 v133, 0x1010101, v133
	v_dot4c_i32_i8 v111, v81, v1
	v_lshrrev_b32_e32 v77, 4, v126
	v_and_b32_e32 v81, 15, v126
	s_waitcnt lgkmcnt(3)
	v_bfe_u32 v137, v128, 4, 4
	v_mul_lo_u32 v126, 0x1010101, v135
	v_ashrrev_i32_e32 v93, s1, v93
	s_waitcnt lgkmcnt(0)
	v_bfe_u32 v139, v121, 4, 4
	v_ashrrev_i32_e32 v101, s1, v101
	v_mul_lo_u32 v137, 0x1010101, v137
	v_mov_b32_e32 v110, 0
	v_mov_b32_e32 v113, 0
	v_mul_lo_u32 v139, 0x1010101, v139
	v_mov_b32_e32 v116, 0
	v_mov_b32_e32 v119, 0
	;; [unrolled: 1-line block ×3, first 2 shown]
	v_ashrrev_i32_e32 v78, s1, v78
	v_ashrrev_i32_e32 v86, s1, v86
	v_and_b32_e32 v85, 0x3030303, v85
	v_mov_b32_e32 v115, 0
	v_ashrrev_i32_e32 v94, s1, v94
	v_and_b32_e32 v93, 0x3030303, v93
	v_mov_b32_e32 v118, 0
	v_ashrrev_i32_e32 v102, s1, v102
	v_and_b32_e32 v101, 0x3030303, v101
	v_dot4c_i32_i8 v110, v133, v73
	v_dot4c_i32_i8 v113, v126, v73
	;; [unrolled: 1-line block ×4, first 2 shown]
	v_ashrrev_i32_e32 v79, s1, v79
	v_and_b32_e32 v78, 0x3030303, v78
	v_ashrrev_i32_e32 v87, s1, v87
	v_ashrrev_i32_e32 v89, s1, v89
	v_and_b32_e32 v86, 0x3030303, v86
	v_dot4c_i32_i8 v112, v85, v73
	v_ashrrev_i32_e32 v82, s1, v82
	v_and_b32_e32 v136, 15, v127
	v_and_b32_sdwa v127, v68, v127 dst_sel:DWORD dst_unused:UNUSED_PAD src0_sel:DWORD src1_sel:BYTE_1
	v_ashrrev_i32_e32 v97, s1, v97
	v_and_b32_e32 v138, 15, v128
	v_and_b32_sdwa v128, v68, v128 dst_sel:DWORD dst_unused:UNUSED_PAD src0_sel:DWORD src1_sel:BYTE_1
	v_and_b32_e32 v140, 15, v121
	v_and_b32_sdwa v121, v68, v121 dst_sel:DWORD dst_unused:UNUSED_PAD src0_sel:DWORD src1_sel:BYTE_1
	v_ashrrev_i32_e32 v95, s1, v95
	v_and_b32_e32 v94, 0x3030303, v94
	v_dot4c_i32_i8 v115, v93, v73
	v_ashrrev_i32_e32 v103, s1, v103
	v_and_b32_e32 v102, 0x3030303, v102
	v_dot4c_i32_i8 v118, v101, v73
	v_dot4c_i32_i8 v110, v133, v74
	;; [unrolled: 1-line block ×5, first 2 shown]
	v_mov_b32_e32 v114, 0
	v_ashrrev_i32_e32 v80, s1, v80
	v_and_b32_e32 v79, 0x3030303, v79
	v_ashrrev_i32_e32 v88, s1, v88
	v_ashrrev_i32_e32 v90, s1, v90
	v_and_b32_e32 v87, 0x3030303, v87
	v_and_b32_e32 v89, 0x3030303, v89
	v_dot4c_i32_i8 v109, v78, v74
	v_dot4c_i32_i8 v112, v86, v74
	v_mov_b32_e32 v117, 0
	v_and_b32_e32 v82, 0x3030303, v82
	v_ashrrev_i32_e32 v98, s1, v98
	v_ashrrev_i32_e32 v105, s1, v105
	v_lshrrev_b32_e32 v135, 4, v127
	v_and_b32_e32 v97, 0x3030303, v97
	v_lshrrev_b32_e32 v141, 4, v128
	v_lshrrev_b32_e32 v142, 4, v121
	v_ashrrev_i32_e32 v96, s1, v96
	v_and_b32_e32 v95, 0x3030303, v95
	v_dot4c_i32_i8 v115, v94, v74
	v_ashrrev_i32_e32 v83, s1, v83
	v_ashrrev_i32_e32 v104, s1, v104
	v_and_b32_e32 v103, 0x3030303, v103
	v_dot4c_i32_i8 v118, v102, v74
	v_dot4c_i32_i8 v110, v133, v75
	;; [unrolled: 1-line block ×5, first 2 shown]
	v_and_b32_e32 v80, 0x3030303, v80
	v_ashrrev_i32_e32 v91, s1, v91
	v_and_b32_e32 v88, 0x3030303, v88
	v_and_b32_e32 v90, 0x3030303, v90
	v_dot4c_i32_i8 v114, v89, v1
	v_dot4c_i32_i8 v109, v79, v75
	;; [unrolled: 1-line block ×3, first 2 shown]
	v_mov_b32_e32 v120, 0
	v_ashrrev_i32_e32 v99, s1, v99
	v_ashrrev_i32_e32 v106, s1, v106
	v_and_b32_e32 v98, 0x3030303, v98
	v_and_b32_e32 v105, 0x3030303, v105
	v_mul_lo_u32 v143, 0x1010101, v77
	v_dot4c_i32_i8 v111, v82, v2
	v_mul_lo_u32 v82, 0x1010101, v135
	v_mul_lo_u32 v85, 0x1010101, v141
	v_dot4c_i32_i8 v117, v97, v1
	v_mul_lo_u32 v89, 0x1010101, v142
	v_and_b32_e32 v96, 0x3030303, v96
	v_dot4c_i32_i8 v115, v95, v75
	v_ashrrev_i32_e32 v84, s1, v84
	v_and_b32_e32 v83, 0x3030303, v83
	v_and_b32_e32 v104, 0x3030303, v104
	v_dot4c_i32_i8 v118, v103, v75
	v_dot4c_i32_i8 v110, v133, v76
	;; [unrolled: 1-line block ×5, first 2 shown]
	v_ashrrev_i32_e32 v92, s1, v92
	v_and_b32_e32 v91, 0x3030303, v91
	v_dot4c_i32_i8 v114, v90, v2
	v_dot4c_i32_i8 v109, v80, v76
	;; [unrolled: 1-line block ×3, first 2 shown]
	v_ashrrev_i32_e32 v100, s1, v100
	v_ashrrev_i32_e32 v107, s1, v107
	v_and_b32_e32 v99, 0x3030303, v99
	v_and_b32_e32 v106, 0x3030303, v106
	v_dot4c_i32_i8 v120, v105, v1
	v_dot4c_i32_i8 v117, v98, v2
	;; [unrolled: 1-line block ×3, first 2 shown]
	v_and_b32_e32 v84, 0x3030303, v84
	v_dot4c_i32_i8 v111, v83, v3
	v_dot4c_i32_i8 v118, v104, v76
	;; [unrolled: 1-line block ×6, first 2 shown]
	v_and_b32_e32 v92, 0x3030303, v92
	v_dot4c_i32_i8 v114, v91, v3
	v_mul_lo_u32 v73, v134, v109
	v_mul_lo_u32 v74, v136, v112
	v_ashrrev_i32_e32 v108, s1, v108
	v_and_b32_e32 v100, 0x3030303, v100
	v_and_b32_e32 v107, 0x3030303, v107
	v_dot4c_i32_i8 v120, v106, v2
	v_dot4c_i32_i8 v117, v99, v3
	v_mul_lo_u32 v75, v138, v115
	v_dot4c_i32_i8 v111, v84, v4
	v_mul_lo_u32 v76, v140, v118
	v_dot4c_i32_i8 v110, v143, v2
	v_dot4c_i32_i8 v113, v82, v2
	;; [unrolled: 1-line block ×4, first 2 shown]
	v_and_b32_e32 v127, 15, v127
	v_dot4c_i32_i8 v114, v92, v4
	v_and_b32_e32 v128, 15, v128
	v_and_b32_e32 v108, 0x3030303, v108
	v_dot4c_i32_i8 v120, v107, v3
	v_dot4c_i32_i8 v117, v100, v4
	v_mad_u64_u32 v[77:78], null, v81, v111, v[73:74]
	v_dot4c_i32_i8 v110, v143, v3
	v_dot4c_i32_i8 v113, v82, v3
	;; [unrolled: 1-line block ×4, first 2 shown]
	v_mad_u64_u32 v[73:74], null, v127, v114, v[74:75]
	v_and_b32_e32 v121, 15, v121
	v_dot4c_i32_i8 v120, v108, v4
	v_mad_u64_u32 v[74:75], null, v128, v117, v[75:76]
	v_dot4c_i32_i8 v110, v143, v4
	v_dot4c_i32_i8 v113, v82, v4
	;; [unrolled: 1-line block ×4, first 2 shown]
	v_mad_u64_u32 v[1:2], null, v121, v120, v[76:77]
	v_cvt_f32_f16_sdwa v129, v125 dst_sel:DWORD dst_unused:UNUSED_PAD src0_sel:WORD_1
	v_cvt_f32_f16_sdwa v130, v122 dst_sel:DWORD dst_unused:UNUSED_PAD src0_sel:WORD_1
	;; [unrolled: 1-line block ×4, first 2 shown]
	v_cvt_f32_i32_e32 v3, v73
	v_cvt_f32_i32_e32 v4, v74
	;; [unrolled: 1-line block ×8, first 2 shown]
	v_mul_f32_e32 v73, v129, v73
	v_mul_f32_e32 v74, v130, v74
	;; [unrolled: 1-line block ×4, first 2 shown]
	v_add_nc_u32_e32 v71, 32, v71
	v_fma_mix_f32 v2, v125, v2, -v73 op_sel_hi:[1,0,0]
	v_fma_mix_f32 v3, v122, v3, -v74 op_sel_hi:[1,0,0]
	v_fma_mix_f32 v4, v123, v4, -v75 op_sel_hi:[1,0,0]
	v_fma_mix_f32 v1, v124, v1, -v76 op_sel_hi:[1,0,0]
	v_add_nc_u32_e32 v70, 4, v70
	v_fmac_f32_e32 v9, v72, v2
	v_fmac_f32_e32 v44, v72, v3
	;; [unrolled: 1-line block ×4, first 2 shown]
	s_add_i32 s19, s1, 2
	s_cmp_lt_u32 s1, 6
	s_mov_b32 s1, s19
	s_cbranch_scc1 .LBB227_11
; %bb.12:                               ;   in Loop: Header=BB227_5 Depth=1
	s_or_b32 s1, s4, 0x80
	s_cmp_ge_i32 s1, s15
	s_barrier
	buffer_gl0_inv
	s_cbranch_scc1 .LBB227_4
; %bb.13:                               ;   in Loop: Header=BB227_5 Depth=1
	v_add_nc_u32_e32 v1, s5, v45
	v_cmp_gt_i32_e64 s1, s9, v1
	s_and_b32 s19, s0, s1
	s_and_saveexec_b32 s1, s19
	s_cbranch_execz .LBB227_15
; %bb.14:                               ;   in Loop: Header=BB227_5 Depth=1
	v_add_nc_u32_e32 v1, v48, v1
	v_mad_i64_i32 v[1:2], null, v1, 36, v[6:7]
	global_load_dword v1, v[1:2], off offset:4
	s_waitcnt vmcnt(0)
	ds_write_b32 v41, v1
.LBB227_15:                             ;   in Loop: Header=BB227_5 Depth=1
	s_or_b32 exec_lo, exec_lo, s1
	s_and_saveexec_b32 s19, vcc_lo
	s_cbranch_execz .LBB227_18
; %bb.16:                               ;   in Loop: Header=BB227_5 Depth=1
	v_or_b32_e32 v1, 4, v69
	v_cmp_gt_i32_e64 s1, s9, v1
	s_and_b32 s1, s0, s1
	s_and_b32 exec_lo, exec_lo, s1
	s_cbranch_execz .LBB227_18
; %bb.17:                               ;   in Loop: Header=BB227_5 Depth=1
	v_ashrrev_i32_e32 v1, 31, v69
	v_add_co_u32 v2, s1, v48, v69
	v_add_co_ci_u32_e64 v3, null, v51, v1, s1
	v_mad_u64_u32 v[1:2], null, v2, 36, s[2:3]
	v_mad_i32_i24 v2, v3, 36, v2
	global_load_dword v1, v[1:2], off offset:144
	s_waitcnt vmcnt(0)
	v_cvt_f32_f16_e32 v1, v1
	ds_write_b32 v43, v1
.LBB227_18:                             ;   in Loop: Header=BB227_5 Depth=1
	s_or_b32 exec_lo, exec_lo, s19
	v_mov_b32_e32 v70, v15
	v_mov_b32_e32 v71, v42
	s_mov_b32 s1, 8
	s_waitcnt lgkmcnt(0)
	s_barrier
	buffer_gl0_inv
.LBB227_19:                             ;   Parent Loop BB227_5 Depth=1
                                        ; =>  This Inner Loop Header: Depth=2
	s_and_b32 s21, s1, 0x3ffffff8
	s_lshr_b32 s22, s1, 2
	v_lshl_add_u32 v85, s21, 2, v49
	s_and_b32 s21, s22, 0x3ffffffc
	s_and_b32 s20, s1, -16
	s_addk_i32 s21, 0x5280
	ds_read_b32 v72, v71
	ds_read_b128 v[73:76], v70
	ds_read_b128 v[1:4], v70 offset:16
	v_add3_u32 v87, s21, v62, v63
	v_add3_u32 v88, s21, v64, v65
	ds_read2_b32 v[77:78], v85 offset1:1
	ds_read2_b32 v[79:80], v85 offset0:2 offset1:3
	ds_read2_b32 v[81:82], v85 offset0:4 offset1:5
	;; [unrolled: 1-line block ×3, first 2 shown]
	s_add_i32 s20, s1, s20
	v_add3_u32 v90, s21, v66, v67
	v_add3_u32 v86, s21, v60, v61
	v_add_nc_u32_e32 v89, s20, v50
	v_add_nc_u32_e32 v93, s20, v54
	;; [unrolled: 1-line block ×16, first 2 shown]
	ds_read_b32 v122, v87
	ds_read_b32 v123, v88
	ds_read_b32 v124, v90
	ds_read_b32 v125, v86
	ds_read2_b32 v[85:86], v91 offset1:1
	ds_read2_b32 v[87:88], v92 offset1:1
	ds_read_u16 v126, v89 offset:16896
	ds_read2_b32 v[89:90], v94 offset1:1
	ds_read2_b32 v[91:92], v95 offset1:1
	ds_read_u16 v127, v93 offset:17920
	ds_read2_b32 v[93:94], v96 offset1:1
	ds_read2_b32 v[95:96], v97 offset1:1
	;; [unrolled: 1-line block ×6, first 2 shown]
	ds_read_u16 v128, v105 offset:18944
	ds_read2_b32 v[105:106], v106 offset1:1
	ds_read2_b32 v[107:108], v107 offset1:1
	ds_read_u16 v121, v121 offset:19968
	s_add_i32 s19, s1, -8
	v_mov_b32_e32 v109, 0
	s_waitcnt lgkmcnt(23)
	v_ashrrev_i32_e32 v77, s19, v77
	s_waitcnt lgkmcnt(21)
	v_ashrrev_i32_e32 v81, s19, v81
	v_mov_b32_e32 v111, 0
	s_waitcnt lgkmcnt(15)
	v_ashrrev_i32_e32 v85, s19, v85
	s_waitcnt lgkmcnt(13)
	v_bfe_u32 v133, v126, 4, 4
	v_and_b32_e32 v77, 0x3030303, v77
	v_and_b32_e32 v81, 0x3030303, v81
	v_and_b32_e32 v134, 15, v126
	v_and_b32_sdwa v126, v68, v126 dst_sel:DWORD dst_unused:UNUSED_PAD src0_sel:DWORD src1_sel:BYTE_1
	s_waitcnt lgkmcnt(10)
	v_bfe_u32 v135, v127, 4, 4
	v_mul_lo_u32 v133, 0x1010101, v133
	v_dot4c_i32_i8 v109, v77, v73
	v_dot4c_i32_i8 v111, v81, v1
	v_lshrrev_b32_e32 v77, 4, v126
	s_waitcnt lgkmcnt(3)
	v_bfe_u32 v137, v128, 4, 4
	v_and_b32_e32 v81, 15, v126
	v_mul_lo_u32 v126, 0x1010101, v135
	s_waitcnt lgkmcnt(0)
	v_bfe_u32 v139, v121, 4, 4
	v_ashrrev_i32_e32 v93, s19, v93
	v_mul_lo_u32 v137, 0x1010101, v137
	v_ashrrev_i32_e32 v101, s19, v101
	v_mov_b32_e32 v110, 0
	v_mul_lo_u32 v139, 0x1010101, v139
	v_mov_b32_e32 v113, 0
	v_mov_b32_e32 v116, 0
	;; [unrolled: 1-line block ×4, first 2 shown]
	v_ashrrev_i32_e32 v78, s19, v78
	v_ashrrev_i32_e32 v86, s19, v86
	v_and_b32_e32 v85, 0x3030303, v85
	v_mov_b32_e32 v115, 0
	v_ashrrev_i32_e32 v94, s19, v94
	v_and_b32_e32 v93, 0x3030303, v93
	v_mov_b32_e32 v118, 0
	v_ashrrev_i32_e32 v102, s19, v102
	v_and_b32_e32 v101, 0x3030303, v101
	v_dot4c_i32_i8 v110, v133, v73
	v_dot4c_i32_i8 v113, v126, v73
	;; [unrolled: 1-line block ×4, first 2 shown]
	v_ashrrev_i32_e32 v79, s19, v79
	v_and_b32_e32 v78, 0x3030303, v78
	v_ashrrev_i32_e32 v87, s19, v87
	v_ashrrev_i32_e32 v89, s19, v89
	v_and_b32_e32 v86, 0x3030303, v86
	v_dot4c_i32_i8 v112, v85, v73
	v_ashrrev_i32_e32 v82, s19, v82
	v_and_b32_e32 v136, 15, v127
	v_and_b32_sdwa v127, v68, v127 dst_sel:DWORD dst_unused:UNUSED_PAD src0_sel:DWORD src1_sel:BYTE_1
	v_ashrrev_i32_e32 v97, s19, v97
	v_and_b32_e32 v138, 15, v128
	v_and_b32_sdwa v128, v68, v128 dst_sel:DWORD dst_unused:UNUSED_PAD src0_sel:DWORD src1_sel:BYTE_1
	v_and_b32_e32 v140, 15, v121
	v_and_b32_sdwa v121, v68, v121 dst_sel:DWORD dst_unused:UNUSED_PAD src0_sel:DWORD src1_sel:BYTE_1
	v_ashrrev_i32_e32 v95, s19, v95
	v_and_b32_e32 v94, 0x3030303, v94
	v_dot4c_i32_i8 v115, v93, v73
	v_ashrrev_i32_e32 v103, s19, v103
	v_and_b32_e32 v102, 0x3030303, v102
	v_dot4c_i32_i8 v118, v101, v73
	v_dot4c_i32_i8 v110, v133, v74
	v_dot4c_i32_i8 v113, v126, v74
	v_dot4c_i32_i8 v116, v137, v74
	v_dot4c_i32_i8 v119, v139, v74
	v_mov_b32_e32 v114, 0
	v_ashrrev_i32_e32 v80, s19, v80
	v_and_b32_e32 v79, 0x3030303, v79
	v_ashrrev_i32_e32 v88, s19, v88
	v_ashrrev_i32_e32 v90, s19, v90
	v_and_b32_e32 v87, 0x3030303, v87
	v_and_b32_e32 v89, 0x3030303, v89
	v_dot4c_i32_i8 v109, v78, v74
	v_dot4c_i32_i8 v112, v86, v74
	v_mov_b32_e32 v117, 0
	v_and_b32_e32 v82, 0x3030303, v82
	v_ashrrev_i32_e32 v98, s19, v98
	v_ashrrev_i32_e32 v105, s19, v105
	v_lshrrev_b32_e32 v135, 4, v127
	v_and_b32_e32 v97, 0x3030303, v97
	v_lshrrev_b32_e32 v141, 4, v128
	v_lshrrev_b32_e32 v142, 4, v121
	v_ashrrev_i32_e32 v96, s19, v96
	v_and_b32_e32 v95, 0x3030303, v95
	v_dot4c_i32_i8 v115, v94, v74
	v_ashrrev_i32_e32 v83, s19, v83
	v_ashrrev_i32_e32 v104, s19, v104
	v_and_b32_e32 v103, 0x3030303, v103
	v_dot4c_i32_i8 v118, v102, v74
	v_dot4c_i32_i8 v110, v133, v75
	;; [unrolled: 1-line block ×5, first 2 shown]
	v_and_b32_e32 v80, 0x3030303, v80
	v_ashrrev_i32_e32 v91, s19, v91
	v_and_b32_e32 v88, 0x3030303, v88
	v_and_b32_e32 v90, 0x3030303, v90
	v_dot4c_i32_i8 v114, v89, v1
	v_dot4c_i32_i8 v109, v79, v75
	;; [unrolled: 1-line block ×3, first 2 shown]
	v_mov_b32_e32 v120, 0
	v_ashrrev_i32_e32 v99, s19, v99
	v_ashrrev_i32_e32 v106, s19, v106
	v_and_b32_e32 v98, 0x3030303, v98
	v_and_b32_e32 v105, 0x3030303, v105
	v_mul_lo_u32 v143, 0x1010101, v77
	v_dot4c_i32_i8 v111, v82, v2
	v_mul_lo_u32 v82, 0x1010101, v135
	v_mul_lo_u32 v85, 0x1010101, v141
	v_dot4c_i32_i8 v117, v97, v1
	v_mul_lo_u32 v89, 0x1010101, v142
	v_and_b32_e32 v96, 0x3030303, v96
	v_dot4c_i32_i8 v115, v95, v75
	v_ashrrev_i32_e32 v84, s19, v84
	v_and_b32_e32 v83, 0x3030303, v83
	v_and_b32_e32 v104, 0x3030303, v104
	v_dot4c_i32_i8 v118, v103, v75
	v_dot4c_i32_i8 v110, v133, v76
	;; [unrolled: 1-line block ×5, first 2 shown]
	v_ashrrev_i32_e32 v92, s19, v92
	v_and_b32_e32 v91, 0x3030303, v91
	v_dot4c_i32_i8 v114, v90, v2
	v_dot4c_i32_i8 v109, v80, v76
	;; [unrolled: 1-line block ×3, first 2 shown]
	v_ashrrev_i32_e32 v100, s19, v100
	v_ashrrev_i32_e32 v107, s19, v107
	v_and_b32_e32 v99, 0x3030303, v99
	v_and_b32_e32 v106, 0x3030303, v106
	v_dot4c_i32_i8 v120, v105, v1
	v_dot4c_i32_i8 v117, v98, v2
	;; [unrolled: 1-line block ×3, first 2 shown]
	v_and_b32_e32 v84, 0x3030303, v84
	v_dot4c_i32_i8 v111, v83, v3
	v_dot4c_i32_i8 v118, v104, v76
	;; [unrolled: 1-line block ×6, first 2 shown]
	v_and_b32_e32 v92, 0x3030303, v92
	v_dot4c_i32_i8 v114, v91, v3
	v_mul_lo_u32 v73, v134, v109
	v_mul_lo_u32 v74, v136, v112
	v_ashrrev_i32_e32 v108, s19, v108
	v_and_b32_e32 v100, 0x3030303, v100
	v_and_b32_e32 v107, 0x3030303, v107
	v_dot4c_i32_i8 v120, v106, v2
	v_dot4c_i32_i8 v117, v99, v3
	v_mul_lo_u32 v75, v138, v115
	v_dot4c_i32_i8 v111, v84, v4
	v_mul_lo_u32 v76, v140, v118
	v_dot4c_i32_i8 v110, v143, v2
	v_dot4c_i32_i8 v113, v82, v2
	;; [unrolled: 1-line block ×4, first 2 shown]
	v_and_b32_e32 v127, 15, v127
	v_dot4c_i32_i8 v114, v92, v4
	v_and_b32_e32 v128, 15, v128
	v_and_b32_e32 v108, 0x3030303, v108
	v_dot4c_i32_i8 v120, v107, v3
	v_dot4c_i32_i8 v117, v100, v4
	v_mad_u64_u32 v[77:78], null, v81, v111, v[73:74]
	v_dot4c_i32_i8 v110, v143, v3
	v_dot4c_i32_i8 v113, v82, v3
	;; [unrolled: 1-line block ×4, first 2 shown]
	v_mad_u64_u32 v[73:74], null, v127, v114, v[74:75]
	v_and_b32_e32 v121, 15, v121
	v_dot4c_i32_i8 v120, v108, v4
	v_mad_u64_u32 v[74:75], null, v128, v117, v[75:76]
	v_dot4c_i32_i8 v110, v143, v4
	v_dot4c_i32_i8 v113, v82, v4
	;; [unrolled: 1-line block ×4, first 2 shown]
	v_mad_u64_u32 v[1:2], null, v121, v120, v[76:77]
	v_cvt_f32_f16_sdwa v129, v125 dst_sel:DWORD dst_unused:UNUSED_PAD src0_sel:WORD_1
	v_cvt_f32_f16_sdwa v130, v122 dst_sel:DWORD dst_unused:UNUSED_PAD src0_sel:WORD_1
	v_cvt_f32_f16_sdwa v131, v123 dst_sel:DWORD dst_unused:UNUSED_PAD src0_sel:WORD_1
	v_cvt_f32_f16_sdwa v132, v124 dst_sel:DWORD dst_unused:UNUSED_PAD src0_sel:WORD_1
	v_cvt_f32_i32_e32 v3, v73
	v_cvt_f32_i32_e32 v4, v74
	;; [unrolled: 1-line block ×8, first 2 shown]
	v_mul_f32_e32 v73, v129, v73
	v_mul_f32_e32 v74, v130, v74
	;; [unrolled: 1-line block ×4, first 2 shown]
	v_add_nc_u32_e32 v71, 4, v71
	v_fma_mix_f32 v2, v125, v2, -v73 op_sel_hi:[1,0,0]
	v_fma_mix_f32 v3, v122, v3, -v74 op_sel_hi:[1,0,0]
	;; [unrolled: 1-line block ×4, first 2 shown]
	v_add_nc_u32_e32 v70, 32, v70
	v_fmac_f32_e32 v9, v72, v2
	v_fmac_f32_e32 v44, v72, v3
	;; [unrolled: 1-line block ×4, first 2 shown]
	s_add_i32 s19, s1, 2
	s_cmp_lt_u32 s1, 14
	s_mov_b32 s1, s19
	s_cbranch_scc1 .LBB227_19
; %bb.20:                               ;   in Loop: Header=BB227_5 Depth=1
	s_or_b32 s1, s4, 0x100
	s_cmp_ge_i32 s1, s15
	s_barrier
	buffer_gl0_inv
	s_cbranch_scc1 .LBB227_4
; %bb.21:                               ;   in Loop: Header=BB227_5 Depth=1
	v_add_nc_u32_e32 v1, s5, v46
	v_cmp_gt_i32_e64 s1, s9, v1
	s_and_b32 s19, s0, s1
	s_and_saveexec_b32 s1, s19
	s_cbranch_execz .LBB227_23
; %bb.22:                               ;   in Loop: Header=BB227_5 Depth=1
	v_add_nc_u32_e32 v1, v48, v1
	v_mad_i64_i32 v[1:2], null, v1, 36, v[6:7]
	global_load_dword v1, v[1:2], off offset:4
	s_waitcnt vmcnt(0)
	ds_write_b32 v41, v1
.LBB227_23:                             ;   in Loop: Header=BB227_5 Depth=1
	s_or_b32 exec_lo, exec_lo, s1
	s_and_saveexec_b32 s19, vcc_lo
	s_cbranch_execz .LBB227_26
; %bb.24:                               ;   in Loop: Header=BB227_5 Depth=1
	v_or_b32_e32 v1, 8, v69
	v_cmp_gt_i32_e64 s1, s9, v1
	s_and_b32 s1, s0, s1
	s_and_b32 exec_lo, exec_lo, s1
	s_cbranch_execz .LBB227_26
; %bb.25:                               ;   in Loop: Header=BB227_5 Depth=1
	v_ashrrev_i32_e32 v1, 31, v69
	v_add_co_u32 v2, s1, v48, v69
	v_add_co_ci_u32_e64 v3, null, v51, v1, s1
	v_mad_u64_u32 v[1:2], null, v2, 36, s[2:3]
	v_mad_i32_i24 v2, v3, 36, v2
	global_load_dword v1, v[1:2], off offset:288
	s_waitcnt vmcnt(0)
	v_cvt_f32_f16_e32 v1, v1
	ds_write_b32 v43, v1
.LBB227_26:                             ;   in Loop: Header=BB227_5 Depth=1
	s_or_b32 exec_lo, exec_lo, s19
	v_mov_b32_e32 v70, v15
	v_mov_b32_e32 v71, v42
	s_mov_b32 s1, 16
	s_waitcnt lgkmcnt(0)
	s_barrier
	buffer_gl0_inv
.LBB227_27:                             ;   Parent Loop BB227_5 Depth=1
                                        ; =>  This Inner Loop Header: Depth=2
	s_and_b32 s21, s1, 0x3ffffff8
	s_lshr_b32 s22, s1, 2
	v_lshl_add_u32 v85, s21, 2, v49
	s_and_b32 s21, s22, 0x3ffffffc
	s_and_b32 s20, s1, -16
	s_addk_i32 s21, 0x5280
	ds_read_b32 v72, v71
	ds_read_b128 v[73:76], v70
	ds_read_b128 v[1:4], v70 offset:16
	v_add3_u32 v87, s21, v62, v63
	v_add3_u32 v88, s21, v64, v65
	ds_read2_b32 v[77:78], v85 offset1:1
	ds_read2_b32 v[79:80], v85 offset0:2 offset1:3
	ds_read2_b32 v[81:82], v85 offset0:4 offset1:5
	;; [unrolled: 1-line block ×3, first 2 shown]
	s_add_i32 s20, s1, s20
	v_add3_u32 v90, s21, v66, v67
	v_add3_u32 v86, s21, v60, v61
	v_add_nc_u32_e32 v89, s20, v50
	v_add_nc_u32_e32 v93, s20, v54
	;; [unrolled: 1-line block ×16, first 2 shown]
	ds_read_b32 v122, v87
	ds_read_b32 v123, v88
	;; [unrolled: 1-line block ×4, first 2 shown]
	ds_read2_b32 v[85:86], v91 offset1:1
	ds_read2_b32 v[87:88], v92 offset1:1
	ds_read_u16 v126, v89 offset:16880
	ds_read2_b32 v[89:90], v94 offset1:1
	ds_read2_b32 v[91:92], v95 offset1:1
	ds_read_u16 v127, v93 offset:17904
	ds_read2_b32 v[93:94], v96 offset1:1
	ds_read2_b32 v[95:96], v97 offset1:1
	;; [unrolled: 1-line block ×6, first 2 shown]
	ds_read_u16 v128, v105 offset:18928
	ds_read2_b32 v[105:106], v106 offset1:1
	ds_read2_b32 v[107:108], v107 offset1:1
	ds_read_u16 v121, v121 offset:19952
	s_add_i32 s19, s1, -16
	v_mov_b32_e32 v109, 0
	s_waitcnt lgkmcnt(23)
	v_ashrrev_i32_e32 v77, s19, v77
	s_waitcnt lgkmcnt(21)
	v_ashrrev_i32_e32 v81, s19, v81
	v_mov_b32_e32 v111, 0
	s_waitcnt lgkmcnt(15)
	v_ashrrev_i32_e32 v85, s19, v85
	s_waitcnt lgkmcnt(13)
	v_bfe_u32 v133, v126, 4, 4
	v_and_b32_e32 v77, 0x3030303, v77
	v_and_b32_e32 v81, 0x3030303, v81
	;; [unrolled: 1-line block ×3, first 2 shown]
	v_and_b32_sdwa v126, v68, v126 dst_sel:DWORD dst_unused:UNUSED_PAD src0_sel:DWORD src1_sel:BYTE_1
	s_waitcnt lgkmcnt(10)
	v_bfe_u32 v135, v127, 4, 4
	v_mul_lo_u32 v133, 0x1010101, v133
	v_dot4c_i32_i8 v109, v77, v73
	v_dot4c_i32_i8 v111, v81, v1
	v_lshrrev_b32_e32 v77, 4, v126
	s_waitcnt lgkmcnt(3)
	v_bfe_u32 v137, v128, 4, 4
	v_and_b32_e32 v81, 15, v126
	v_mul_lo_u32 v126, 0x1010101, v135
	s_waitcnt lgkmcnt(0)
	v_bfe_u32 v139, v121, 4, 4
	v_ashrrev_i32_e32 v93, s19, v93
	v_mul_lo_u32 v137, 0x1010101, v137
	v_ashrrev_i32_e32 v101, s19, v101
	v_mov_b32_e32 v110, 0
	v_mul_lo_u32 v139, 0x1010101, v139
	v_mov_b32_e32 v113, 0
	v_mov_b32_e32 v116, 0
	;; [unrolled: 1-line block ×4, first 2 shown]
	v_ashrrev_i32_e32 v78, s19, v78
	v_ashrrev_i32_e32 v86, s19, v86
	v_and_b32_e32 v85, 0x3030303, v85
	v_mov_b32_e32 v115, 0
	v_ashrrev_i32_e32 v94, s19, v94
	v_and_b32_e32 v93, 0x3030303, v93
	v_mov_b32_e32 v118, 0
	v_ashrrev_i32_e32 v102, s19, v102
	v_and_b32_e32 v101, 0x3030303, v101
	v_dot4c_i32_i8 v110, v133, v73
	v_dot4c_i32_i8 v113, v126, v73
	;; [unrolled: 1-line block ×4, first 2 shown]
	v_ashrrev_i32_e32 v79, s19, v79
	v_and_b32_e32 v78, 0x3030303, v78
	v_ashrrev_i32_e32 v87, s19, v87
	v_ashrrev_i32_e32 v89, s19, v89
	v_and_b32_e32 v86, 0x3030303, v86
	v_dot4c_i32_i8 v112, v85, v73
	v_ashrrev_i32_e32 v82, s19, v82
	v_and_b32_e32 v136, 15, v127
	v_and_b32_sdwa v127, v68, v127 dst_sel:DWORD dst_unused:UNUSED_PAD src0_sel:DWORD src1_sel:BYTE_1
	v_ashrrev_i32_e32 v97, s19, v97
	v_and_b32_e32 v138, 15, v128
	v_and_b32_sdwa v128, v68, v128 dst_sel:DWORD dst_unused:UNUSED_PAD src0_sel:DWORD src1_sel:BYTE_1
	v_and_b32_e32 v140, 15, v121
	v_and_b32_sdwa v121, v68, v121 dst_sel:DWORD dst_unused:UNUSED_PAD src0_sel:DWORD src1_sel:BYTE_1
	v_ashrrev_i32_e32 v95, s19, v95
	v_and_b32_e32 v94, 0x3030303, v94
	v_dot4c_i32_i8 v115, v93, v73
	v_ashrrev_i32_e32 v103, s19, v103
	v_and_b32_e32 v102, 0x3030303, v102
	v_dot4c_i32_i8 v118, v101, v73
	v_dot4c_i32_i8 v110, v133, v74
	;; [unrolled: 1-line block ×5, first 2 shown]
	v_mov_b32_e32 v114, 0
	v_ashrrev_i32_e32 v80, s19, v80
	v_and_b32_e32 v79, 0x3030303, v79
	v_ashrrev_i32_e32 v88, s19, v88
	v_ashrrev_i32_e32 v90, s19, v90
	v_and_b32_e32 v87, 0x3030303, v87
	v_and_b32_e32 v89, 0x3030303, v89
	v_dot4c_i32_i8 v109, v78, v74
	v_dot4c_i32_i8 v112, v86, v74
	v_mov_b32_e32 v117, 0
	v_and_b32_e32 v82, 0x3030303, v82
	v_ashrrev_i32_e32 v98, s19, v98
	v_ashrrev_i32_e32 v105, s19, v105
	v_lshrrev_b32_e32 v135, 4, v127
	v_and_b32_e32 v97, 0x3030303, v97
	v_lshrrev_b32_e32 v141, 4, v128
	v_lshrrev_b32_e32 v142, 4, v121
	v_ashrrev_i32_e32 v96, s19, v96
	v_and_b32_e32 v95, 0x3030303, v95
	v_dot4c_i32_i8 v115, v94, v74
	v_ashrrev_i32_e32 v83, s19, v83
	v_ashrrev_i32_e32 v104, s19, v104
	v_and_b32_e32 v103, 0x3030303, v103
	v_dot4c_i32_i8 v118, v102, v74
	v_dot4c_i32_i8 v110, v133, v75
	;; [unrolled: 1-line block ×5, first 2 shown]
	v_and_b32_e32 v80, 0x3030303, v80
	v_ashrrev_i32_e32 v91, s19, v91
	v_and_b32_e32 v88, 0x3030303, v88
	v_and_b32_e32 v90, 0x3030303, v90
	v_dot4c_i32_i8 v114, v89, v1
	v_dot4c_i32_i8 v109, v79, v75
	;; [unrolled: 1-line block ×3, first 2 shown]
	v_mov_b32_e32 v120, 0
	v_ashrrev_i32_e32 v99, s19, v99
	v_ashrrev_i32_e32 v106, s19, v106
	v_and_b32_e32 v98, 0x3030303, v98
	v_and_b32_e32 v105, 0x3030303, v105
	v_mul_lo_u32 v143, 0x1010101, v77
	v_dot4c_i32_i8 v111, v82, v2
	v_mul_lo_u32 v82, 0x1010101, v135
	v_mul_lo_u32 v85, 0x1010101, v141
	v_dot4c_i32_i8 v117, v97, v1
	v_mul_lo_u32 v89, 0x1010101, v142
	v_and_b32_e32 v96, 0x3030303, v96
	v_dot4c_i32_i8 v115, v95, v75
	v_ashrrev_i32_e32 v84, s19, v84
	v_and_b32_e32 v83, 0x3030303, v83
	v_and_b32_e32 v104, 0x3030303, v104
	v_dot4c_i32_i8 v118, v103, v75
	v_dot4c_i32_i8 v110, v133, v76
	;; [unrolled: 1-line block ×5, first 2 shown]
	v_ashrrev_i32_e32 v92, s19, v92
	v_and_b32_e32 v91, 0x3030303, v91
	v_dot4c_i32_i8 v114, v90, v2
	v_dot4c_i32_i8 v109, v80, v76
	;; [unrolled: 1-line block ×3, first 2 shown]
	v_ashrrev_i32_e32 v100, s19, v100
	v_ashrrev_i32_e32 v107, s19, v107
	v_and_b32_e32 v99, 0x3030303, v99
	v_and_b32_e32 v106, 0x3030303, v106
	v_dot4c_i32_i8 v120, v105, v1
	v_dot4c_i32_i8 v117, v98, v2
	;; [unrolled: 1-line block ×3, first 2 shown]
	v_and_b32_e32 v84, 0x3030303, v84
	v_dot4c_i32_i8 v111, v83, v3
	v_dot4c_i32_i8 v118, v104, v76
	;; [unrolled: 1-line block ×6, first 2 shown]
	v_and_b32_e32 v92, 0x3030303, v92
	v_dot4c_i32_i8 v114, v91, v3
	v_mul_lo_u32 v73, v134, v109
	v_mul_lo_u32 v74, v136, v112
	v_ashrrev_i32_e32 v108, s19, v108
	v_and_b32_e32 v100, 0x3030303, v100
	v_and_b32_e32 v107, 0x3030303, v107
	v_dot4c_i32_i8 v120, v106, v2
	v_dot4c_i32_i8 v117, v99, v3
	v_mul_lo_u32 v75, v138, v115
	v_dot4c_i32_i8 v111, v84, v4
	v_mul_lo_u32 v76, v140, v118
	v_dot4c_i32_i8 v110, v143, v2
	v_dot4c_i32_i8 v113, v82, v2
	;; [unrolled: 1-line block ×4, first 2 shown]
	v_and_b32_e32 v127, 15, v127
	v_dot4c_i32_i8 v114, v92, v4
	v_and_b32_e32 v128, 15, v128
	v_and_b32_e32 v108, 0x3030303, v108
	v_dot4c_i32_i8 v120, v107, v3
	v_dot4c_i32_i8 v117, v100, v4
	v_mad_u64_u32 v[77:78], null, v81, v111, v[73:74]
	v_dot4c_i32_i8 v110, v143, v3
	v_dot4c_i32_i8 v113, v82, v3
	;; [unrolled: 1-line block ×4, first 2 shown]
	v_mad_u64_u32 v[73:74], null, v127, v114, v[74:75]
	v_and_b32_e32 v121, 15, v121
	v_dot4c_i32_i8 v120, v108, v4
	v_mad_u64_u32 v[74:75], null, v128, v117, v[75:76]
	v_dot4c_i32_i8 v110, v143, v4
	v_dot4c_i32_i8 v113, v82, v4
	;; [unrolled: 1-line block ×4, first 2 shown]
	v_mad_u64_u32 v[1:2], null, v121, v120, v[76:77]
	v_cvt_f32_f16_sdwa v129, v125 dst_sel:DWORD dst_unused:UNUSED_PAD src0_sel:WORD_1
	v_cvt_f32_f16_sdwa v130, v122 dst_sel:DWORD dst_unused:UNUSED_PAD src0_sel:WORD_1
	;; [unrolled: 1-line block ×4, first 2 shown]
	v_cvt_f32_i32_e32 v3, v73
	v_cvt_f32_i32_e32 v4, v74
	;; [unrolled: 1-line block ×8, first 2 shown]
	v_mul_f32_e32 v73, v129, v73
	v_mul_f32_e32 v74, v130, v74
	;; [unrolled: 1-line block ×4, first 2 shown]
	v_add_nc_u32_e32 v71, 4, v71
	v_fma_mix_f32 v2, v125, v2, -v73 op_sel_hi:[1,0,0]
	v_fma_mix_f32 v3, v122, v3, -v74 op_sel_hi:[1,0,0]
	;; [unrolled: 1-line block ×4, first 2 shown]
	v_add_nc_u32_e32 v70, 32, v70
	v_fmac_f32_e32 v9, v72, v2
	v_fmac_f32_e32 v44, v72, v3
	v_fmac_f32_e32 v31, v72, v4
	v_fmac_f32_e32 v5, v72, v1
	s_add_i32 s19, s1, 2
	s_cmp_lt_u32 s1, 22
	s_mov_b32 s1, s19
	s_cbranch_scc1 .LBB227_27
; %bb.28:                               ;   in Loop: Header=BB227_5 Depth=1
	s_or_b32 s1, s4, 0x180
	s_cmp_ge_i32 s1, s15
	s_barrier
	buffer_gl0_inv
	s_cbranch_scc1 .LBB227_4
; %bb.29:                               ;   in Loop: Header=BB227_5 Depth=1
	v_add_nc_u32_e32 v1, s5, v47
	v_cmp_gt_i32_e64 s1, s9, v1
	s_and_b32 s4, s0, s1
	s_and_saveexec_b32 s1, s4
	s_cbranch_execz .LBB227_31
; %bb.30:                               ;   in Loop: Header=BB227_5 Depth=1
	v_add_nc_u32_e32 v1, v48, v1
	v_mad_i64_i32 v[1:2], null, v1, 36, v[6:7]
	global_load_dword v1, v[1:2], off offset:4
	s_waitcnt vmcnt(0)
	ds_write_b32 v41, v1
.LBB227_31:                             ;   in Loop: Header=BB227_5 Depth=1
	s_or_b32 exec_lo, exec_lo, s1
	s_and_saveexec_b32 s4, vcc_lo
	s_cbranch_execz .LBB227_34
; %bb.32:                               ;   in Loop: Header=BB227_5 Depth=1
	v_or_b32_e32 v1, 12, v69
	v_cmp_gt_i32_e64 s1, s9, v1
	s_and_b32 s1, s0, s1
	s_and_b32 exec_lo, exec_lo, s1
	s_cbranch_execz .LBB227_34
; %bb.33:                               ;   in Loop: Header=BB227_5 Depth=1
	v_ashrrev_i32_e32 v1, 31, v69
	v_add_co_u32 v2, s1, v48, v69
	v_add_co_ci_u32_e64 v3, null, v51, v1, s1
	v_mad_u64_u32 v[1:2], null, v2, 36, s[2:3]
	v_mad_i32_i24 v2, v3, 36, v2
	global_load_dword v1, v[1:2], off offset:432
	s_waitcnt vmcnt(0)
	v_cvt_f32_f16_e32 v1, v1
	ds_write_b32 v43, v1
.LBB227_34:                             ;   in Loop: Header=BB227_5 Depth=1
	s_or_b32 exec_lo, exec_lo, s4
	v_mov_b32_e32 v69, v15
	v_mov_b32_e32 v70, v42
	s_mov_b32 s1, 24
	s_waitcnt lgkmcnt(0)
	s_barrier
	buffer_gl0_inv
.LBB227_35:                             ;   Parent Loop BB227_5 Depth=1
                                        ; =>  This Inner Loop Header: Depth=2
	s_and_b32 s19, s1, 0x3ffffff8
	s_lshr_b32 s20, s1, 2
	v_lshl_add_u32 v84, s19, 2, v49
	s_and_b32 s19, s20, 0x3ffffffc
	s_and_b32 s5, s1, -16
	s_addk_i32 s19, 0x5280
	ds_read_b32 v71, v70
	ds_read_b128 v[72:75], v69
	ds_read_b128 v[1:4], v69 offset:16
	v_add3_u32 v86, s19, v62, v63
	v_add3_u32 v87, s19, v64, v65
	ds_read2_b32 v[76:77], v84 offset1:1
	ds_read2_b32 v[78:79], v84 offset0:2 offset1:3
	ds_read2_b32 v[80:81], v84 offset0:4 offset1:5
	;; [unrolled: 1-line block ×3, first 2 shown]
	s_add_i32 s5, s1, s5
	v_add3_u32 v89, s19, v66, v67
	v_add3_u32 v85, s19, v60, v61
	v_add_nc_u32_e32 v88, s5, v50
	v_add_nc_u32_e32 v92, s5, v54
	;; [unrolled: 1-line block ×16, first 2 shown]
	ds_read_b32 v121, v86
	ds_read_b32 v122, v87
	;; [unrolled: 1-line block ×4, first 2 shown]
	ds_read2_b32 v[84:85], v90 offset1:1
	ds_read2_b32 v[86:87], v91 offset1:1
	ds_read_u16 v125, v88 offset:16880
	ds_read2_b32 v[88:89], v93 offset1:1
	ds_read2_b32 v[90:91], v94 offset1:1
	ds_read_u16 v126, v92 offset:17904
	ds_read2_b32 v[92:93], v95 offset1:1
	ds_read2_b32 v[94:95], v96 offset1:1
	;; [unrolled: 1-line block ×6, first 2 shown]
	ds_read_u16 v127, v104 offset:18928
	ds_read2_b32 v[104:105], v105 offset1:1
	ds_read2_b32 v[106:107], v106 offset1:1
	ds_read_u16 v120, v120 offset:19952
	s_sub_i32 s4, s1, 24
	v_mov_b32_e32 v108, 0
	s_waitcnt lgkmcnt(23)
	v_ashrrev_i32_e32 v76, s4, v76
	s_waitcnt lgkmcnt(21)
	v_ashrrev_i32_e32 v80, s4, v80
	v_mov_b32_e32 v110, 0
	s_waitcnt lgkmcnt(15)
	v_ashrrev_i32_e32 v84, s4, v84
	s_waitcnt lgkmcnt(13)
	v_bfe_u32 v132, v125, 4, 4
	v_and_b32_e32 v76, 0x3030303, v76
	v_and_b32_e32 v80, 0x3030303, v80
	;; [unrolled: 1-line block ×3, first 2 shown]
	v_and_b32_sdwa v125, v68, v125 dst_sel:DWORD dst_unused:UNUSED_PAD src0_sel:DWORD src1_sel:BYTE_1
	s_waitcnt lgkmcnt(10)
	v_bfe_u32 v134, v126, 4, 4
	v_mul_lo_u32 v132, 0x1010101, v132
	v_dot4c_i32_i8 v108, v76, v72
	v_dot4c_i32_i8 v110, v80, v1
	v_lshrrev_b32_e32 v76, 4, v125
	s_waitcnt lgkmcnt(3)
	v_bfe_u32 v136, v127, 4, 4
	v_and_b32_e32 v80, 15, v125
	v_mul_lo_u32 v125, 0x1010101, v134
	s_waitcnt lgkmcnt(0)
	v_bfe_u32 v138, v120, 4, 4
	v_ashrrev_i32_e32 v92, s4, v92
	v_mul_lo_u32 v136, 0x1010101, v136
	v_ashrrev_i32_e32 v100, s4, v100
	v_mov_b32_e32 v109, 0
	v_mul_lo_u32 v138, 0x1010101, v138
	v_mov_b32_e32 v112, 0
	v_mov_b32_e32 v115, 0
	;; [unrolled: 1-line block ×4, first 2 shown]
	v_ashrrev_i32_e32 v77, s4, v77
	v_ashrrev_i32_e32 v85, s4, v85
	v_and_b32_e32 v84, 0x3030303, v84
	v_mov_b32_e32 v114, 0
	v_ashrrev_i32_e32 v93, s4, v93
	v_and_b32_e32 v92, 0x3030303, v92
	v_mov_b32_e32 v117, 0
	v_ashrrev_i32_e32 v101, s4, v101
	v_and_b32_e32 v100, 0x3030303, v100
	v_dot4c_i32_i8 v109, v132, v72
	v_dot4c_i32_i8 v112, v125, v72
	;; [unrolled: 1-line block ×4, first 2 shown]
	v_ashrrev_i32_e32 v78, s4, v78
	v_and_b32_e32 v77, 0x3030303, v77
	v_ashrrev_i32_e32 v86, s4, v86
	v_ashrrev_i32_e32 v88, s4, v88
	v_and_b32_e32 v85, 0x3030303, v85
	v_dot4c_i32_i8 v111, v84, v72
	v_ashrrev_i32_e32 v81, s4, v81
	v_and_b32_e32 v135, 15, v126
	v_and_b32_sdwa v126, v68, v126 dst_sel:DWORD dst_unused:UNUSED_PAD src0_sel:DWORD src1_sel:BYTE_1
	v_ashrrev_i32_e32 v96, s4, v96
	v_and_b32_e32 v137, 15, v127
	v_and_b32_sdwa v127, v68, v127 dst_sel:DWORD dst_unused:UNUSED_PAD src0_sel:DWORD src1_sel:BYTE_1
	v_and_b32_e32 v139, 15, v120
	v_and_b32_sdwa v120, v68, v120 dst_sel:DWORD dst_unused:UNUSED_PAD src0_sel:DWORD src1_sel:BYTE_1
	v_ashrrev_i32_e32 v94, s4, v94
	v_and_b32_e32 v93, 0x3030303, v93
	v_dot4c_i32_i8 v114, v92, v72
	v_ashrrev_i32_e32 v102, s4, v102
	v_and_b32_e32 v101, 0x3030303, v101
	v_dot4c_i32_i8 v117, v100, v72
	v_dot4c_i32_i8 v109, v132, v73
	;; [unrolled: 1-line block ×5, first 2 shown]
	v_mov_b32_e32 v113, 0
	v_ashrrev_i32_e32 v79, s4, v79
	v_and_b32_e32 v78, 0x3030303, v78
	v_ashrrev_i32_e32 v87, s4, v87
	v_ashrrev_i32_e32 v89, s4, v89
	v_and_b32_e32 v86, 0x3030303, v86
	v_and_b32_e32 v88, 0x3030303, v88
	v_dot4c_i32_i8 v108, v77, v73
	v_dot4c_i32_i8 v111, v85, v73
	v_mov_b32_e32 v116, 0
	v_and_b32_e32 v81, 0x3030303, v81
	v_ashrrev_i32_e32 v97, s4, v97
	v_ashrrev_i32_e32 v104, s4, v104
	v_lshrrev_b32_e32 v134, 4, v126
	v_and_b32_e32 v96, 0x3030303, v96
	v_lshrrev_b32_e32 v140, 4, v127
	v_lshrrev_b32_e32 v141, 4, v120
	v_ashrrev_i32_e32 v95, s4, v95
	v_and_b32_e32 v94, 0x3030303, v94
	v_dot4c_i32_i8 v114, v93, v73
	v_ashrrev_i32_e32 v82, s4, v82
	v_ashrrev_i32_e32 v103, s4, v103
	v_and_b32_e32 v102, 0x3030303, v102
	v_dot4c_i32_i8 v117, v101, v73
	v_dot4c_i32_i8 v109, v132, v74
	;; [unrolled: 1-line block ×5, first 2 shown]
	v_and_b32_e32 v79, 0x3030303, v79
	v_ashrrev_i32_e32 v90, s4, v90
	v_and_b32_e32 v87, 0x3030303, v87
	v_and_b32_e32 v89, 0x3030303, v89
	v_dot4c_i32_i8 v113, v88, v1
	v_dot4c_i32_i8 v108, v78, v74
	;; [unrolled: 1-line block ×3, first 2 shown]
	v_mov_b32_e32 v119, 0
	v_ashrrev_i32_e32 v98, s4, v98
	v_ashrrev_i32_e32 v105, s4, v105
	v_and_b32_e32 v97, 0x3030303, v97
	v_and_b32_e32 v104, 0x3030303, v104
	v_mul_lo_u32 v142, 0x1010101, v76
	v_dot4c_i32_i8 v110, v81, v2
	v_mul_lo_u32 v81, 0x1010101, v134
	v_mul_lo_u32 v84, 0x1010101, v140
	v_dot4c_i32_i8 v116, v96, v1
	v_mul_lo_u32 v88, 0x1010101, v141
	v_and_b32_e32 v95, 0x3030303, v95
	v_dot4c_i32_i8 v114, v94, v74
	v_ashrrev_i32_e32 v83, s4, v83
	v_and_b32_e32 v82, 0x3030303, v82
	v_and_b32_e32 v103, 0x3030303, v103
	v_dot4c_i32_i8 v117, v102, v74
	v_dot4c_i32_i8 v109, v132, v75
	;; [unrolled: 1-line block ×5, first 2 shown]
	v_ashrrev_i32_e32 v91, s4, v91
	v_and_b32_e32 v90, 0x3030303, v90
	v_dot4c_i32_i8 v113, v89, v2
	v_dot4c_i32_i8 v108, v79, v75
	;; [unrolled: 1-line block ×3, first 2 shown]
	v_ashrrev_i32_e32 v99, s4, v99
	v_ashrrev_i32_e32 v106, s4, v106
	v_and_b32_e32 v98, 0x3030303, v98
	v_and_b32_e32 v105, 0x3030303, v105
	v_dot4c_i32_i8 v119, v104, v1
	v_dot4c_i32_i8 v116, v97, v2
	;; [unrolled: 1-line block ×3, first 2 shown]
	v_and_b32_e32 v83, 0x3030303, v83
	v_dot4c_i32_i8 v110, v82, v3
	v_dot4c_i32_i8 v117, v103, v75
	;; [unrolled: 1-line block ×6, first 2 shown]
	v_and_b32_e32 v91, 0x3030303, v91
	v_dot4c_i32_i8 v113, v90, v3
	v_mul_lo_u32 v72, v133, v108
	v_mul_lo_u32 v73, v135, v111
	v_ashrrev_i32_e32 v107, s4, v107
	v_and_b32_e32 v99, 0x3030303, v99
	v_and_b32_e32 v106, 0x3030303, v106
	v_dot4c_i32_i8 v119, v105, v2
	v_dot4c_i32_i8 v116, v98, v3
	v_mul_lo_u32 v74, v137, v114
	v_dot4c_i32_i8 v110, v83, v4
	v_mul_lo_u32 v75, v139, v117
	v_dot4c_i32_i8 v109, v142, v2
	v_dot4c_i32_i8 v112, v81, v2
	v_dot4c_i32_i8 v115, v84, v2
	v_dot4c_i32_i8 v118, v88, v2
	v_and_b32_e32 v126, 15, v126
	v_dot4c_i32_i8 v113, v91, v4
	v_and_b32_e32 v127, 15, v127
	v_and_b32_e32 v107, 0x3030303, v107
	v_dot4c_i32_i8 v119, v106, v3
	v_dot4c_i32_i8 v116, v99, v4
	v_mad_u64_u32 v[76:77], null, v80, v110, v[72:73]
	v_dot4c_i32_i8 v109, v142, v3
	v_dot4c_i32_i8 v112, v81, v3
	;; [unrolled: 1-line block ×4, first 2 shown]
	v_mad_u64_u32 v[72:73], null, v126, v113, v[73:74]
	v_and_b32_e32 v120, 15, v120
	v_dot4c_i32_i8 v119, v107, v4
	v_mad_u64_u32 v[73:74], null, v127, v116, v[74:75]
	v_dot4c_i32_i8 v109, v142, v4
	v_dot4c_i32_i8 v112, v81, v4
	;; [unrolled: 1-line block ×4, first 2 shown]
	v_mad_u64_u32 v[1:2], null, v120, v119, v[75:76]
	v_cvt_f32_f16_sdwa v128, v124 dst_sel:DWORD dst_unused:UNUSED_PAD src0_sel:WORD_1
	v_cvt_f32_f16_sdwa v129, v121 dst_sel:DWORD dst_unused:UNUSED_PAD src0_sel:WORD_1
	;; [unrolled: 1-line block ×4, first 2 shown]
	v_cvt_f32_i32_e32 v3, v72
	v_cvt_f32_i32_e32 v4, v73
	;; [unrolled: 1-line block ×8, first 2 shown]
	v_mul_f32_e32 v72, v128, v72
	v_mul_f32_e32 v73, v129, v73
	;; [unrolled: 1-line block ×4, first 2 shown]
	v_add_nc_u32_e32 v70, 4, v70
	v_fma_mix_f32 v2, v124, v2, -v72 op_sel_hi:[1,0,0]
	v_fma_mix_f32 v3, v121, v3, -v73 op_sel_hi:[1,0,0]
	;; [unrolled: 1-line block ×4, first 2 shown]
	v_add_nc_u32_e32 v69, 32, v69
	v_fmac_f32_e32 v9, v71, v2
	v_fmac_f32_e32 v44, v71, v3
	;; [unrolled: 1-line block ×4, first 2 shown]
	s_add_i32 s4, s1, 2
	s_cmp_lt_u32 s1, 30
	s_mov_b32 s1, s4
	s_cbranch_scc1 .LBB227_35
; %bb.36:                               ;   in Loop: Header=BB227_5 Depth=1
	s_barrier
	buffer_gl0_inv
	s_branch .LBB227_4
.LBB227_37:
	s_mul_i32 s0, s11, s8
	s_waitcnt vmcnt(0)
	v_cmp_gt_i32_e32 vcc_lo, s0, v8
	s_and_saveexec_b32 s0, vcc_lo
	s_cbranch_execz .LBB227_46
; %bb.38:
	v_add_nc_u32_e32 v1, s6, v0
	v_mul_lo_u32 v0, v8, s10
	s_mov_b32 s0, exec_lo
	v_cmpx_gt_u32_e64 s10, v1
	s_cbranch_execz .LBB227_40
; %bb.39:
	v_add_nc_u32_e32 v2, v0, v1
	v_mov_b32_e32 v3, 0
	v_bfe_u32 v4, v9, 16, 1
	v_cmp_o_f32_e32 vcc_lo, v9, v9
	v_mov_b32_e32 v6, 0x7fc0
	v_lshlrev_b64 v[2:3], 1, v[2:3]
	v_add3_u32 v4, v9, v4, 0x7fff
	v_cndmask_b32_sdwa v4, v6, v4, vcc_lo dst_sel:DWORD dst_unused:UNUSED_PAD src0_sel:DWORD src1_sel:WORD_1
	v_add_co_u32 v2, vcc_lo, s12, v2
	v_add_co_ci_u32_e64 v3, null, s13, v3, vcc_lo
	global_store_short v[2:3], v4, off
.LBB227_40:
	s_or_b32 exec_lo, exec_lo, s0
	v_add_nc_u32_e32 v2, 32, v1
	s_mov_b32 s0, exec_lo
	v_cmpx_gt_u32_e64 s10, v2
	s_cbranch_execz .LBB227_42
; %bb.41:
	v_add_nc_u32_e32 v2, v0, v2
	v_mov_b32_e32 v3, 0
	v_bfe_u32 v4, v44, 16, 1
	v_cmp_o_f32_e32 vcc_lo, v44, v44
	v_mov_b32_e32 v6, 0x7fc0
	v_lshlrev_b64 v[2:3], 1, v[2:3]
	v_add3_u32 v4, v44, v4, 0x7fff
	v_cndmask_b32_sdwa v4, v6, v4, vcc_lo dst_sel:DWORD dst_unused:UNUSED_PAD src0_sel:DWORD src1_sel:WORD_1
	v_add_co_u32 v2, vcc_lo, s12, v2
	v_add_co_ci_u32_e64 v3, null, s13, v3, vcc_lo
	global_store_short v[2:3], v4, off
.LBB227_42:
	s_or_b32 exec_lo, exec_lo, s0
	v_add_nc_u32_e32 v2, 64, v1
	;; [unrolled: 18-line block ×3, first 2 shown]
	v_cmp_gt_u32_e32 vcc_lo, s10, v1
	s_and_b32 exec_lo, exec_lo, vcc_lo
	s_cbranch_execz .LBB227_46
; %bb.45:
	v_add_nc_u32_e32 v0, v0, v1
	v_mov_b32_e32 v1, 0
	v_bfe_u32 v2, v5, 16, 1
	v_cmp_o_f32_e32 vcc_lo, v5, v5
	v_mov_b32_e32 v3, 0x7fc0
	v_lshlrev_b64 v[0:1], 1, v[0:1]
	v_add3_u32 v2, v5, v2, 0x7fff
	v_cndmask_b32_sdwa v2, v3, v2, vcc_lo dst_sel:DWORD dst_unused:UNUSED_PAD src0_sel:DWORD src1_sel:WORD_1
	v_add_co_u32 v0, vcc_lo, s12, v0
	v_add_co_ci_u32_e64 v1, null, s13, v1, vcc_lo
	global_store_short v[0:1], v2, off
.LBB227_46:
	s_endpgm
	.section	.rodata,"a",@progbits
	.p2align	6, 0x0
	.amdhsa_kernel _ZL8moe_q2_KIN3c108BFloat16ELb0EEvPKvS3_PT_PKiS7_S7_iiiiiii
		.amdhsa_group_segment_fixed_size 23328
		.amdhsa_private_segment_fixed_size 0
		.amdhsa_kernarg_size 76
		.amdhsa_user_sgpr_count 6
		.amdhsa_user_sgpr_private_segment_buffer 1
		.amdhsa_user_sgpr_dispatch_ptr 0
		.amdhsa_user_sgpr_queue_ptr 0
		.amdhsa_user_sgpr_kernarg_segment_ptr 1
		.amdhsa_user_sgpr_dispatch_id 0
		.amdhsa_user_sgpr_flat_scratch_init 0
		.amdhsa_user_sgpr_private_segment_size 0
		.amdhsa_wavefront_size32 1
		.amdhsa_uses_dynamic_stack 0
		.amdhsa_system_sgpr_private_segment_wavefront_offset 0
		.amdhsa_system_sgpr_workgroup_id_x 1
		.amdhsa_system_sgpr_workgroup_id_y 1
		.amdhsa_system_sgpr_workgroup_id_z 0
		.amdhsa_system_sgpr_workgroup_info 0
		.amdhsa_system_vgpr_workitem_id 1
		.amdhsa_next_free_vgpr 144
		.amdhsa_next_free_sgpr 23
		.amdhsa_reserve_vcc 1
		.amdhsa_reserve_flat_scratch 0
		.amdhsa_float_round_mode_32 0
		.amdhsa_float_round_mode_16_64 0
		.amdhsa_float_denorm_mode_32 3
		.amdhsa_float_denorm_mode_16_64 3
		.amdhsa_dx10_clamp 1
		.amdhsa_ieee_mode 1
		.amdhsa_fp16_overflow 0
		.amdhsa_workgroup_processor_mode 1
		.amdhsa_memory_ordered 1
		.amdhsa_forward_progress 1
		.amdhsa_shared_vgpr_count 0
		.amdhsa_exception_fp_ieee_invalid_op 0
		.amdhsa_exception_fp_denorm_src 0
		.amdhsa_exception_fp_ieee_div_zero 0
		.amdhsa_exception_fp_ieee_overflow 0
		.amdhsa_exception_fp_ieee_underflow 0
		.amdhsa_exception_fp_ieee_inexact 0
		.amdhsa_exception_int_div_zero 0
	.end_amdhsa_kernel
	.section	.text._ZL8moe_q2_KIN3c108BFloat16ELb0EEvPKvS3_PT_PKiS7_S7_iiiiiii,"axG",@progbits,_ZL8moe_q2_KIN3c108BFloat16ELb0EEvPKvS3_PT_PKiS7_S7_iiiiiii,comdat
.Lfunc_end227:
	.size	_ZL8moe_q2_KIN3c108BFloat16ELb0EEvPKvS3_PT_PKiS7_S7_iiiiiii, .Lfunc_end227-_ZL8moe_q2_KIN3c108BFloat16ELb0EEvPKvS3_PT_PKiS7_S7_iiiiiii
                                        ; -- End function
	.set _ZL8moe_q2_KIN3c108BFloat16ELb0EEvPKvS3_PT_PKiS7_S7_iiiiiii.num_vgpr, 144
	.set _ZL8moe_q2_KIN3c108BFloat16ELb0EEvPKvS3_PT_PKiS7_S7_iiiiiii.num_agpr, 0
	.set _ZL8moe_q2_KIN3c108BFloat16ELb0EEvPKvS3_PT_PKiS7_S7_iiiiiii.numbered_sgpr, 23
	.set _ZL8moe_q2_KIN3c108BFloat16ELb0EEvPKvS3_PT_PKiS7_S7_iiiiiii.num_named_barrier, 0
	.set _ZL8moe_q2_KIN3c108BFloat16ELb0EEvPKvS3_PT_PKiS7_S7_iiiiiii.private_seg_size, 0
	.set _ZL8moe_q2_KIN3c108BFloat16ELb0EEvPKvS3_PT_PKiS7_S7_iiiiiii.uses_vcc, 1
	.set _ZL8moe_q2_KIN3c108BFloat16ELb0EEvPKvS3_PT_PKiS7_S7_iiiiiii.uses_flat_scratch, 0
	.set _ZL8moe_q2_KIN3c108BFloat16ELb0EEvPKvS3_PT_PKiS7_S7_iiiiiii.has_dyn_sized_stack, 0
	.set _ZL8moe_q2_KIN3c108BFloat16ELb0EEvPKvS3_PT_PKiS7_S7_iiiiiii.has_recursion, 0
	.set _ZL8moe_q2_KIN3c108BFloat16ELb0EEvPKvS3_PT_PKiS7_S7_iiiiiii.has_indirect_call, 0
	.section	.AMDGPU.csdata,"",@progbits
; Kernel info:
; codeLenInByte = 9612
; TotalNumSgprs: 25
; NumVgprs: 144
; ScratchSize: 0
; MemoryBound: 0
; FloatMode: 240
; IeeeMode: 1
; LDSByteSize: 23328 bytes/workgroup (compile time only)
; SGPRBlocks: 0
; VGPRBlocks: 17
; NumSGPRsForWavesPerEU: 25
; NumVGPRsForWavesPerEU: 144
; Occupancy: 7
; WaveLimiterHint : 1
; COMPUTE_PGM_RSRC2:SCRATCH_EN: 0
; COMPUTE_PGM_RSRC2:USER_SGPR: 6
; COMPUTE_PGM_RSRC2:TRAP_HANDLER: 0
; COMPUTE_PGM_RSRC2:TGID_X_EN: 1
; COMPUTE_PGM_RSRC2:TGID_Y_EN: 1
; COMPUTE_PGM_RSRC2:TGID_Z_EN: 0
; COMPUTE_PGM_RSRC2:TIDIG_COMP_CNT: 1
	.section	.text._ZL8moe_q2_KIN3c108BFloat16ELb1EEvPKvS3_PT_PKiS7_S7_iiiiiii,"axG",@progbits,_ZL8moe_q2_KIN3c108BFloat16ELb1EEvPKvS3_PT_PKiS7_S7_iiiiiii,comdat
	.globl	_ZL8moe_q2_KIN3c108BFloat16ELb1EEvPKvS3_PT_PKiS7_S7_iiiiiii ; -- Begin function _ZL8moe_q2_KIN3c108BFloat16ELb1EEvPKvS3_PT_PKiS7_S7_iiiiiii
	.p2align	8
	.type	_ZL8moe_q2_KIN3c108BFloat16ELb1EEvPKvS3_PT_PKiS7_S7_iiiiiii,@function
_ZL8moe_q2_KIN3c108BFloat16ELb1EEvPKvS3_PT_PKiS7_S7_iiiiiii: ; @_ZL8moe_q2_KIN3c108BFloat16ELb1EEvPKvS3_PT_PKiS7_S7_iiiiiii
; %bb.0:
	s_load_dwordx4 s[0:3], s[4:5], 0x18
	s_mov_b32 s8, s7
	s_mov_b32 s9, 0
	s_lshl_b64 s[10:11], s[8:9], 2
	s_waitcnt lgkmcnt(0)
	s_add_u32 s2, s2, s10
	s_addc_u32 s3, s3, s11
	s_load_dword s7, s[2:3], 0x0
	s_waitcnt lgkmcnt(0)
	s_cmpk_gt_u32 s7, 0xff
	s_cbranch_scc1 .LBB228_46
; %bb.1:
	s_load_dwordx2 s[2:3], s[4:5], 0x28
	s_waitcnt lgkmcnt(0)
	s_load_dword s3, s[2:3], 0x0
	s_lshl_b32 s2, s8, 3
	s_waitcnt lgkmcnt(0)
	s_cmp_gt_u32 s2, s3
	s_cbranch_scc1 .LBB228_46
; %bb.2:
	v_add_nc_u32_e32 v23, s2, v1
	v_mov_b32_e32 v24, 0
	s_lshl_b32 s6, s6, 7
	v_lshlrev_b64 v[2:3], 2, v[23:24]
	v_mov_b32_e32 v54, v24
	v_mov_b32_e32 v61, v24
	;; [unrolled: 1-line block ×3, first 2 shown]
	v_add_co_u32 v2, vcc_lo, s0, v2
	v_add_co_ci_u32_e64 v3, null, s1, v3, vcc_lo
	global_load_dword v28, v[2:3], off
	s_clause 0x1
	s_load_dwordx8 s[8:15], s[4:5], 0x30
	s_load_dwordx2 s[16:17], s[4:5], 0x10
	s_waitcnt lgkmcnt(0)
	s_cmpk_lt_i32 s9, 0x100
	s_cbranch_scc1 .LBB228_37
; %bb.3:
	s_load_dwordx4 s[0:3], s[4:5], 0x0
	s_ashr_i32 s4, s9, 31
	s_ashr_i32 s5, s12, 31
	s_lshr_b32 s4, s4, 24
	s_lshr_b32 s5, s5, 27
	s_add_i32 s4, s9, s4
	s_mul_i32 s15, s7, s8
	s_ashr_i32 s7, s4, 8
	s_add_i32 s4, s12, s5
	s_mul_i32 s5, s7, s6
	s_ashr_i32 s18, s15, 31
	s_ashr_i32 s8, s4, 5
	s_mul_hi_i32 s4, s5, 0x54
	s_mulk_i32 s5, 0x54
	v_add_nc_u32_e32 v3, 8, v1
	v_lshlrev_b32_e32 v2, 2, v0
	v_add_nc_u32_e32 v4, 16, v1
	v_lshlrev_b32_e32 v6, 4, v1
	v_lshrrev_b32_e32 v7, 1, v0
	v_add_nc_u32_e32 v8, 0x70, v1
	s_waitcnt lgkmcnt(0)
	s_add_u32 s0, s0, s15
	s_addc_u32 s1, s1, s18
	s_add_u32 s12, s0, s5
	s_addc_u32 s15, s1, s4
	s_not_b32 s0, s6
	v_add_nc_u32_e32 v7, v7, v6
	s_add_i32 s0, s10, s0
	s_abs_i32 s1, s14
	v_min_i32_e32 v5, s0, v1
	v_min_i32_e32 v3, s0, v3
	;; [unrolled: 1-line block ×3, first 2 shown]
	v_and_b32_e32 v7, 0x7f, v7
	v_lshrrev_b32_e32 v47, 3, v0
	v_mul_lo_u32 v32, v5, s7
	v_mad_u64_u32 v[9:10], null, 0x84, v5, v[2:3]
	v_add_nc_u32_e32 v5, 24, v1
	v_mul_lo_u32 v33, v3, s7
	v_mad_u64_u32 v[10:11], null, 0x84, v3, v[2:3]
	v_mul_lo_u32 v34, v4, s7
	v_min_i32_e32 v3, s0, v5
	v_add_nc_u32_e32 v5, 32, v1
	v_min_i32_e32 v7, s0, v7
	s_sub_i32 s4, 0, s1
	v_and_b32_e32 v48, 1, v0
	v_mad_u64_u32 v[11:12], null, 0x84, v4, v[2:3]
	v_add_nc_u32_e32 v4, 40, v1
	v_mul_lo_u32 v35, v3, s7
	v_min_i32_e32 v5, s0, v5
	v_mad_u64_u32 v[12:13], null, 0x84, v3, v[2:3]
	v_min_i32_e32 v3, s0, v4
	v_add_nc_u32_e32 v4, 48, v1
	v_mul_lo_u32 v36, v5, s7
	v_and_b32_e32 v31, 60, v2
	v_and_b32_e32 v52, 12, v2
	v_mad_u64_u32 v[13:14], null, 0x84, v5, v[2:3]
	v_mul_lo_u32 v37, v3, s7
	v_min_i32_e32 v4, s0, v4
	v_add_nc_u32_e32 v5, 56, v1
	v_mad_u64_u32 v[14:15], null, 0x84, v3, v[2:3]
	v_add_nc_u32_e32 v3, 64, v1
	v_mul_lo_u32 v38, v4, s7
	v_min_i32_e32 v5, s0, v5
	v_add_nc_u32_e32 v70, 0x60, v0
	v_mul_lo_u32 v50, v7, s7
	v_mad_u64_u32 v[15:16], null, 0x84, v4, v[2:3]
	v_min_i32_e32 v3, s0, v3
	v_add_nc_u32_e32 v4, 0x48, v1
	v_mul_lo_u32 v39, v5, s7
	v_and_b32_e32 v64, 0xfc, v0
	v_lshrrev_b32_e32 v30, 4, v0
	v_mad_u64_u32 v[16:17], null, 0x84, v5, v[2:3]
	v_add_nc_u32_e32 v5, 0x50, v1
	v_mul_lo_u32 v40, v3, s7
	v_min_i32_e32 v4, s0, v4
	v_mad_u64_u32 v[17:18], null, 0x84, v3, v[2:3]
	v_min_i32_e32 v3, s0, v5
	v_add_nc_u32_e32 v5, 0x58, v1
	v_mul_lo_u32 v41, v4, s7
	v_mul_u32_u24_e32 v73, 33, v0
	v_lshlrev_b32_e32 v79, 1, v0
	v_mad_u64_u32 v[18:19], null, 0x84, v4, v[2:3]
	v_min_i32_e32 v4, s0, v5
	v_add_nc_u32_e32 v5, 0x60, v1
	v_mul_lo_u32 v42, v3, s7
	v_mad_u64_u32 v[19:20], null, 0x84, v3, v[2:3]
	v_mul_lo_u32 v43, v4, s7
	v_min_i32_e32 v3, s0, v5
	v_add_nc_u32_e32 v5, 0x68, v1
	v_mov_b32_e32 v29, 0
	v_lshlrev_b32_e32 v73, 2, v73
	v_lshlrev_b32_e32 v78, 2, v30
	v_mad_u64_u32 v[20:21], null, 0x84, v4, v[2:3]
	v_min_i32_e32 v4, s0, v5
	v_ashrrev_i32_e32 v5, 31, v7
	v_mul_lo_u32 v44, v3, s7
	v_mad_u64_u32 v[21:22], null, 0x84, v3, v[2:3]
	v_mul_lo_u32 v45, v4, s7
	v_lshrrev_b32_e32 v3, 28, v5
	v_min_i32_e32 v5, s0, v8
	v_lshl_add_u32 v8, v1, 2, v47
	v_lshlrev_b32_e32 v79, 2, v79
	v_mov_b32_e32 v86, 0xffff
	v_mad_u64_u32 v[22:23], null, 0x84, v4, v[2:3]
	v_add_nc_u32_e32 v3, v7, v3
	v_mul_lo_u32 v46, v5, s7
	v_add_nc_u32_e32 v27, 32, v8
	v_add_nc_u32_e32 v56, 64, v8
	;; [unrolled: 1-line block ×3, first 2 shown]
	v_mad_u64_u32 v[23:24], null, 0x84, v5, v[2:3]
	v_cvt_f32_u32_e32 v5, s1
	v_min_i32_e32 v27, s0, v27
	v_min_i32_e32 v57, s0, v56
	s_waitcnt vmcnt(0)
	v_sub_nc_u32_e32 v56, 0, v28
	v_ashrrev_i32_e32 v3, 4, v3
	v_rcp_iflag_f32_e32 v5, v5
	v_ashrrev_i32_e32 v55, 31, v27
	v_min_i32_e32 v4, s0, v4
	v_max_i32_e32 v60, v28, v56
	v_lshlrev_b32_e32 v3, 2, v3
	v_lshlrev_b32_e32 v24, 2, v48
	v_lshrrev_b32_e32 v55, 30, v55
	v_mul_lo_u32 v49, v4, s7
	v_lshlrev_b32_e32 v74, 5, v27
	v_mad_u64_u32 v[25:26], null, 0x84, v4, v[2:3]
	v_mul_f32_e32 v5, 0x4f7ffffe, v5
	v_add_nc_u32_e32 v55, v27, v55
	v_min_i32_e32 v4, s0, v8
	v_add_nc_u32_e32 v8, 0x60, v8
	v_add3_u32 v3, v3, v24, 0x5280
	v_cvt_u32_f32_e32 v5, v5
	v_and_b32_e32 v56, -4, v55
	v_mul_lo_u32 v55, v27, s7
	v_and_b32_e32 v24, 7, v0
	v_min_i32_e32 v8, s0, v8
	v_mul_lo_u32 v54, s4, v5
	v_ashrrev_i32_e32 v26, 31, v4
	v_ashrrev_i32_e32 v58, 31, v57
	v_cmp_lt_u32_e32 vcc_lo, 3, v24
	v_ashrrev_i32_e32 v59, 31, v8
	v_lshlrev_b32_e32 v24, 2, v24
	v_lshrrev_b32_e32 v26, 30, v26
	v_lshlrev_b32_e32 v7, 3, v7
	v_mul_hi_u32 v54, v5, v54
	v_cndmask_b32_e64 v51, 0, 1, vcc_lo
	v_add3_u32 v61, v56, v24, 0x4200
	v_add_nc_u32_e32 v26, v4, v26
	v_mul_lo_u32 v53, v4, s7
	v_lshlrev_b32_e32 v4, 5, v4
	v_mul_lo_u32 v56, v57, s7
	v_lshlrev_b32_e32 v76, 5, v57
	v_add_nc_u32_e32 v5, v5, v54
	v_lshrrev_b32_e32 v54, 30, v58
	v_lshrrev_b32_e32 v58, 30, v59
	v_and_b32_e32 v26, -4, v26
	v_and_b32_e32 v59, 31, v0
	v_mul_hi_u32 v5, v60, v5
	v_add_nc_u32_e32 v54, v57, v54
	v_add_nc_u32_e32 v58, v8, v58
	v_add3_u32 v26, v26, v24, 0x4200
	v_mul_lo_u32 v57, v8, s7
	v_lshlrev_b32_e32 v8, 5, v8
	v_and_b32_e32 v54, -4, v54
	v_and_b32_e32 v58, -4, v58
	v_mul_lo_u32 v27, v5, s1
	v_add_nc_u32_e32 v67, v3, v7
	v_lshrrev_b32_e32 v3, 4, v70
	v_add3_u32 v54, v54, v24, 0x4200
	v_add3_u32 v24, v58, v24, 0x4200
	v_lshl_add_u32 v58, v1, 7, 0x56a0
	v_and_b32_e32 v1, 28, v2
	v_add_nc_u32_e32 v72, v26, v4
	v_sub_nc_u32_e32 v27, v60, v27
	v_add_nc_u32_e32 v60, 1, v5
	v_lshl_add_u32 v59, v59, 2, v58
	v_add_nc_u32_e32 v74, v61, v74
	v_add_nc_u32_e32 v76, v54, v76
	v_subrev_nc_u32_e32 v62, s1, v27
	v_cmp_le_u32_e32 vcc_lo, s1, v27
	v_add_nc_u32_e32 v77, v24, v8
	v_lshlrev_b32_e32 v84, 2, v3
	v_mov_b32_e32 v61, 0
	v_mov_b32_e32 v54, 0
	v_cndmask_b32_e32 v5, v5, v60, vcc_lo
	v_cndmask_b32_e32 v27, v27, v62, vcc_lo
	v_add_nc_u32_e32 v60, 0x5aa0, v6
	v_xor_b32_e32 v6, s14, v28
	v_cmp_gt_u32_e32 vcc_lo, 4, v0
	v_add_nc_u32_e32 v63, 1, v5
	v_cmp_le_u32_e64 s0, s1, v27
	v_add_nc_u32_e32 v62, v60, v2
	v_ashrrev_i32_e32 v2, 31, v6
	v_add_nc_u32_e32 v6, 32, v0
	v_add_nc_u32_e32 v27, 64, v0
	v_cndmask_b32_e64 v5, v5, v63, s0
	v_and_b32_e32 v63, 0x1fc, v70
	v_add_co_u32 v26, s1, s2, v1
	v_and_b32_e32 v65, 0x1fc, v6
	v_xor_b32_e32 v5, v5, v2
	v_and_b32_e32 v66, 0x1fc, v27
	v_lshlrev_b32_e32 v81, 1, v6
	v_lshrrev_b32_e32 v80, 4, v6
	v_lshlrev_b32_e32 v83, 1, v27
	v_sub_nc_u32_e32 v2, v5, v2
	v_lshlrev_b32_e32 v5, 5, v0
	v_lshrrev_b32_e32 v82, 4, v27
	v_lshrrev_b32_e32 v68, 3, v6
	;; [unrolled: 1-line block ×3, first 2 shown]
	v_mul_lo_u32 v71, v2, s8
	v_add_nc_u32_e32 v63, v5, v63
	v_add_nc_u32_e32 v64, v5, v64
	;; [unrolled: 1-line block ×4, first 2 shown]
	v_lshlrev_b32_e32 v5, 1, v70
	v_cmp_gt_i32_e64 s0, s11, v2
	v_lshrrev_b32_e32 v70, 3, v70
	v_add_co_ci_u32_e64 v27, null, s3, 0, s1
	v_ashrrev_i32_e32 v75, 31, v71
	v_lshlrev_b32_e32 v80, 2, v80
	v_lshlrev_b32_e32 v81, 2, v81
	;; [unrolled: 1-line block ×5, first 2 shown]
	v_mov_b32_e32 v24, 0
	s_mov_b32 s10, 0
	s_and_b32 s18, vcc_lo, s0
	s_branch .LBB228_5
.LBB228_4:                              ;   in Loop: Header=BB228_5 Depth=1
	s_add_i32 s10, s10, 2
	s_cmp_ge_i32 s10, s7
	s_cbranch_scc1 .LBB228_37
.LBB228_5:                              ; =>This Loop Header: Depth=1
                                        ;     Child Loop BB228_11 Depth 2
                                        ;     Child Loop BB228_19 Depth 2
	;; [unrolled: 1-line block ×4, first 2 shown]
	s_mul_i32 s1, s10, 0x54
	s_mul_hi_u32 s5, s10, 0x54
	s_add_u32 s4, s12, s1
	s_addc_u32 s5, s15, s5
	v_mad_u64_u32 v[1:2], null, 0x54, v30, s[4:5]
	v_mad_i64_i32 v[3:4], null, 0x54, v32, v[1:2]
	v_mad_i64_i32 v[5:6], null, 0x54, v33, v[1:2]
	;; [unrolled: 1-line block ×4, first 2 shown]
	v_add_co_u32 v3, s1, v3, v31
	v_mad_i64_i32 v[89:90], null, 0x54, v36, v[1:2]
	v_add_co_ci_u32_e64 v4, null, 0, v4, s1
	v_add_co_u32 v5, s1, v5, v31
	v_mad_i64_i32 v[91:92], null, 0x54, v37, v[1:2]
	v_add_co_ci_u32_e64 v6, null, 0, v6, s1
	;; [unrolled: 3-line block ×4, first 2 shown]
	v_add_co_u32 v89, s1, v89, v31
	v_add_co_ci_u32_e64 v90, null, 0, v90, s1
	v_add_co_u32 v91, s1, v91, v31
	v_add_co_ci_u32_e64 v92, null, 0, v92, s1
	v_add_co_u32 v93, s1, v93, v31
	v_add_co_ci_u32_e64 v94, null, 0, v94, s1
	v_add_co_u32 v95, s1, v95, v31
	v_mad_i64_i32 v[97:98], null, 0x54, v40, v[1:2]
	v_add_co_ci_u32_e64 v96, null, 0, v96, s1
	s_clause 0x7
	global_load_dword v105, v[3:4], off offset:16
	global_load_dword v106, v[5:6], off offset:16
	;; [unrolled: 1-line block ×8, first 2 shown]
	v_mad_i64_i32 v[3:4], null, 0x54, v41, v[1:2]
	v_mad_i64_i32 v[7:8], null, 0x54, v42, v[1:2]
	;; [unrolled: 1-line block ×3, first 2 shown]
	v_add_co_u32 v5, s1, v97, v31
	v_mad_i64_i32 v[89:90], null, 0x54, v44, v[1:2]
	v_add_co_ci_u32_e64 v6, null, 0, v98, s1
	v_add_co_u32 v3, s1, v3, v31
	v_mad_i64_i32 v[91:92], null, 0x54, v45, v[1:2]
	v_add_co_ci_u32_e64 v4, null, 0, v4, s1
	;; [unrolled: 3-line block ×3, first 2 shown]
	v_add_co_u32 v87, s1, v87, v31
	v_mad_u64_u32 v[95:96], null, 0x54, v51, s[4:5]
	v_add_co_ci_u32_e64 v88, null, 0, v88, s1
	v_add_co_u32 v89, s1, v89, v31
	v_add_co_ci_u32_e64 v90, null, 0, v90, s1
	v_add_co_u32 v91, s1, v91, v31
	v_mad_i64_i32 v[1:2], null, 0x54, v49, v[1:2]
	v_add_co_ci_u32_e64 v92, null, 0, v92, s1
	v_add_co_u32 v93, s1, v93, v31
	v_mad_i64_i32 v[97:98], null, 0x54, v50, s[4:5]
	v_add_co_ci_u32_e64 v94, null, 0, v94, s1
	v_add_co_u32 v95, s1, v95, v52
	v_add_co_ci_u32_e64 v96, null, 0, v96, s1
	v_add_co_u32 v1, s1, v1, v31
	v_add_co_ci_u32_e64 v2, null, 0, v2, s1
	v_mad_u64_u32 v[97:98], null, 0x54, v48, v[97:98]
	v_mad_i64_i32 v[99:100], null, 0x54, v53, v[95:96]
	v_mad_i64_i32 v[101:102], null, 0x54, v55, v[95:96]
	;; [unrolled: 1-line block ×4, first 2 shown]
	s_clause 0xc
	global_load_dword v5, v[5:6], off offset:16
	global_load_dword v3, v[3:4], off offset:16
	;; [unrolled: 1-line block ×9, first 2 shown]
	global_load_dword v88, v[99:100], off
	global_load_dword v89, v[101:102], off
	;; [unrolled: 1-line block ×4, first 2 shown]
	s_lshl_b32 s4, s10, 8
	s_waitcnt vmcnt(20)
	ds_write_b32 v9, v105
	s_waitcnt vmcnt(19)
	ds_write_b32 v10, v106
	;; [unrolled: 2-line block ×21, first 2 shown]
	s_cmp_lt_i32 s4, s9
	s_cbranch_scc0 .LBB228_4
; %bb.6:                                ;   in Loop: Header=BB228_5 Depth=1
	s_lshl_b32 s5, s10, 3
	v_add_nc_u32_e32 v1, s5, v47
	v_cmp_gt_i32_e64 s1, s8, v1
	s_and_b32 s19, s0, s1
	s_and_saveexec_b32 s1, s19
	s_cbranch_execz .LBB228_8
; %bb.7:                                ;   in Loop: Header=BB228_5 Depth=1
	v_add_nc_u32_e32 v1, v71, v1
	v_mad_i64_i32 v[1:2], null, v1, 36, v[26:27]
	global_load_dword v1, v[1:2], off offset:4
	s_waitcnt vmcnt(0)
	ds_write_b32 v59, v1
.LBB228_8:                              ;   in Loop: Header=BB228_5 Depth=1
	s_or_b32 exec_lo, exec_lo, s1
	v_add_nc_u32_e32 v87, s5, v0
	v_cmp_gt_i32_e64 s1, s8, v87
	s_and_b32 s19, s18, s1
	s_and_saveexec_b32 s1, s19
	s_cbranch_execz .LBB228_10
; %bb.9:                                ;   in Loop: Header=BB228_5 Depth=1
	v_add_nc_u32_e32 v1, v71, v87
	v_mad_i64_i32 v[1:2], null, v1, 36, s[2:3]
	global_load_dword v1, v[1:2], off
	s_waitcnt vmcnt(0)
	v_cvt_f32_f16_e32 v1, v1
	ds_write_b32 v62, v1
.LBB228_10:                             ;   in Loop: Header=BB228_5 Depth=1
	s_or_b32 exec_lo, exec_lo, s1
	v_mov_b32_e32 v88, v60
	v_mov_b32_e32 v89, v58
	s_mov_b32 s1, 0
	s_waitcnt lgkmcnt(0)
	s_barrier
	buffer_gl0_inv
.LBB228_11:                             ;   Parent Loop BB228_5 Depth=1
                                        ; =>  This Inner Loop Header: Depth=2
	s_and_b32 s20, s1, 0x3ffffff8
	v_add_nc_u32_e32 v95, 0x4200, v64
	v_lshl_add_u32 v103, s20, 2, v73
	s_and_b32 s19, s1, -16
	s_lshr_b32 s21, s1, 2
	s_add_i32 s19, s1, s19
	ds_read_b32 v90, v88
	ds_read_b128 v[5:8], v89
	ds_read_b128 v[1:4], v89 offset:16
	s_and_b32 s20, s21, 0x3ffffffc
	v_add_nc_u32_e32 v104, s19, v65
	v_add_nc_u32_e32 v107, s19, v95
	ds_read2_b32 v[95:96], v103 offset1:1
	ds_read2_b32 v[97:98], v103 offset0:2 offset1:3
	ds_read2_b32 v[99:100], v103 offset0:4 offset1:5
	;; [unrolled: 1-line block ×3, first 2 shown]
	v_add_nc_u32_e32 v105, s19, v66
	s_addk_i32 s20, 0x5280
	v_add_nc_u32_e32 v106, s19, v63
	v_add3_u32 v108, s20, v78, v79
	v_add3_u32 v109, s20, v80, v81
	;; [unrolled: 1-line block ×4, first 2 shown]
	v_add_nc_u32_e32 v112, 0x1080, v103
	v_add_nc_u32_e32 v113, 0x1088, v103
	v_add_nc_u32_e32 v114, 0x1090, v103
	v_add_nc_u32_e32 v115, 0x1098, v103
	v_add_nc_u32_e32 v116, 0x2100, v103
	v_add_nc_u32_e32 v117, 0x2108, v103
	v_add_nc_u32_e32 v118, 0x2110, v103
	v_add_nc_u32_e32 v119, 0x2118, v103
	v_add_nc_u32_e32 v120, 0x3180, v103
	v_add_nc_u32_e32 v121, 0x3188, v103
	v_add_nc_u32_e32 v123, 0x3190, v103
	v_add_nc_u32_e32 v125, 0x3198, v103
	ds_read_u16 v135, v104 offset:17920
	ds_read_u16 v136, v105 offset:18944
	;; [unrolled: 1-line block ×3, first 2 shown]
	ds_read_u16 v138, v107
	ds_read_b32 v139, v109
	ds_read_b32 v140, v110
	;; [unrolled: 1-line block ×4, first 2 shown]
	ds_read2_b32 v[103:104], v112 offset1:1
	ds_read2_b32 v[105:106], v113 offset1:1
	;; [unrolled: 1-line block ×12, first 2 shown]
	s_waitcnt lgkmcnt(19)
	v_bfe_u32 v143, v135, 4, 4
	s_waitcnt lgkmcnt(18)
	v_bfe_u32 v145, v136, 4, 4
	;; [unrolled: 2-line block ×4, first 2 shown]
	v_ashrrev_i32_e32 v95, s1, v95
	v_mul_lo_u32 v143, 0x1010101, v143
	v_mul_lo_u32 v145, 0x1010101, v145
	;; [unrolled: 1-line block ×4, first 2 shown]
	v_mov_b32_e32 v92, 0
	v_ashrrev_i32_e32 v99, s1, v99
	v_and_b32_e32 v95, 0x3030303, v95
	s_waitcnt lgkmcnt(11)
	v_ashrrev_i32_e32 v103, s1, v103
	s_waitcnt lgkmcnt(10)
	v_ashrrev_i32_e32 v105, s1, v105
	s_waitcnt lgkmcnt(9)
	v_ashrrev_i32_e32 v107, s1, v107
	s_waitcnt lgkmcnt(8)
	v_ashrrev_i32_e32 v109, s1, v109
	s_waitcnt lgkmcnt(7)
	v_ashrrev_i32_e32 v111, s1, v111
	s_waitcnt lgkmcnt(6)
	v_ashrrev_i32_e32 v113, s1, v113
	s_waitcnt lgkmcnt(5)
	v_ashrrev_i32_e32 v115, s1, v115
	s_waitcnt lgkmcnt(4)
	v_ashrrev_i32_e32 v117, s1, v117
	s_waitcnt lgkmcnt(3)
	v_ashrrev_i32_e32 v119, s1, v119
	v_mov_b32_e32 v91, 0
	v_mov_b32_e32 v94, 0
	;; [unrolled: 1-line block ×8, first 2 shown]
	v_ashrrev_i32_e32 v96, s1, v96
	v_and_b32_e32 v99, 0x3030303, v99
	v_ashrrev_i32_e32 v104, s1, v104
	v_ashrrev_i32_e32 v106, s1, v106
	;; [unrolled: 1-line block ×9, first 2 shown]
	v_dot4c_i32_i8 v92, v95, v5
	v_and_b32_e32 v95, 0x3030303, v103
	v_and_b32_e32 v103, 0x3030303, v105
	;; [unrolled: 1-line block ×9, first 2 shown]
	v_dot4c_i32_i8 v94, v143, v5
	v_dot4c_i32_i8 v130, v145, v5
	;; [unrolled: 1-line block ×4, first 2 shown]
	v_and_b32_e32 v144, 15, v135
	v_and_b32_sdwa v135, v86, v135 dst_sel:DWORD dst_unused:UNUSED_PAD src0_sel:DWORD src1_sel:BYTE_1
	v_and_b32_e32 v146, 15, v136
	v_and_b32_sdwa v136, v86, v136 dst_sel:DWORD dst_unused:UNUSED_PAD src0_sel:DWORD src1_sel:BYTE_1
	v_and_b32_e32 v148, 15, v137
	v_and_b32_sdwa v137, v86, v137 dst_sel:DWORD dst_unused:UNUSED_PAD src0_sel:DWORD src1_sel:BYTE_1
	v_and_b32_e32 v150, 15, v138
	v_and_b32_sdwa v138, v86, v138 dst_sel:DWORD dst_unused:UNUSED_PAD src0_sel:DWORD src1_sel:BYTE_1
	v_ashrrev_i32_e32 v97, s1, v97
	v_and_b32_e32 v96, 0x3030303, v96
	s_waitcnt lgkmcnt(2)
	v_ashrrev_i32_e32 v121, s1, v121
	v_dot4c_i32_i8 v93, v99, v1
	v_and_b32_e32 v99, 0x3030303, v104
	v_and_b32_e32 v104, 0x3030303, v106
	;; [unrolled: 1-line block ×9, first 2 shown]
	v_dot4c_i32_i8 v127, v95, v5
	v_dot4c_i32_i8 v129, v109, v5
	;; [unrolled: 1-line block ×7, first 2 shown]
	v_mov_b32_e32 v128, 0
	v_mov_b32_e32 v131, 0
	v_ashrrev_i32_e32 v100, s1, v100
	v_ashrrev_i32_e32 v122, s1, v122
	s_waitcnt lgkmcnt(1)
	v_ashrrev_i32_e32 v123, s1, v123
	v_ashrrev_i32_e32 v124, s1, v124
	s_waitcnt lgkmcnt(0)
	v_ashrrev_i32_e32 v125, s1, v125
	v_ashrrev_i32_e32 v126, s1, v126
	v_lshrrev_b32_e32 v155, 4, v135
	v_lshrrev_b32_e32 v156, 4, v136
	;; [unrolled: 1-line block ×4, first 2 shown]
	v_ashrrev_i32_e32 v98, s1, v98
	v_and_b32_e32 v97, 0x3030303, v97
	v_and_b32_e32 v119, 0x3030303, v121
	v_dot4c_i32_i8 v92, v96, v6
	v_dot4c_i32_i8 v127, v99, v6
	;; [unrolled: 1-line block ×8, first 2 shown]
	v_mov_b32_e32 v134, 0
	v_ashrrev_i32_e32 v101, s1, v101
	v_and_b32_e32 v100, 0x3030303, v100
	v_and_b32_e32 v120, 0x3030303, v122
	;; [unrolled: 1-line block ×6, first 2 shown]
	v_mul_lo_u32 v125, 0x1010101, v155
	v_mul_lo_u32 v126, 0x1010101, v156
	;; [unrolled: 1-line block ×4, first 2 shown]
	v_dot4c_i32_i8 v128, v105, v1
	v_dot4c_i32_i8 v131, v113, v1
	v_and_b32_e32 v98, 0x3030303, v98
	v_dot4c_i32_i8 v92, v97, v7
	v_dot4c_i32_i8 v127, v103, v7
	;; [unrolled: 1-line block ×8, first 2 shown]
	v_ashrrev_i32_e32 v102, s1, v102
	v_and_b32_e32 v101, 0x3030303, v101
	v_dot4c_i32_i8 v93, v100, v2
	v_dot4c_i32_i8 v134, v121, v1
	;; [unrolled: 1-line block ×12, first 2 shown]
	v_and_b32_e32 v102, 0x3030303, v102
	v_dot4c_i32_i8 v93, v101, v3
	v_dot4c_i32_i8 v134, v122, v2
	;; [unrolled: 1-line block ×4, first 2 shown]
	v_mul_lo_u32 v5, v150, v92
	v_mul_lo_u32 v6, v144, v127
	v_mul_lo_u32 v7, v146, v129
	v_mul_lo_u32 v8, v148, v132
	v_dot4c_i32_i8 v94, v125, v2
	v_dot4c_i32_i8 v130, v126, v2
	;; [unrolled: 1-line block ×4, first 2 shown]
	v_and_b32_e32 v135, 15, v135
	v_and_b32_e32 v136, 15, v136
	;; [unrolled: 1-line block ×3, first 2 shown]
	v_dot4c_i32_i8 v93, v102, v4
	v_dot4c_i32_i8 v134, v123, v3
	;; [unrolled: 1-line block ×8, first 2 shown]
	v_and_b32_e32 v137, 15, v137
	v_dot4c_i32_i8 v134, v124, v4
	v_mad_u64_u32 v[92:93], null, v138, v93, v[5:6]
	v_mad_u64_u32 v[1:2], null, v135, v128, v[6:7]
	;; [unrolled: 1-line block ×3, first 2 shown]
	v_dot4c_i32_i8 v94, v125, v4
	v_dot4c_i32_i8 v130, v126, v4
	;; [unrolled: 1-line block ×4, first 2 shown]
	v_mad_u64_u32 v[6:7], null, v137, v134, v[8:9]
	v_cvt_f32_f16_sdwa v151, v142 dst_sel:DWORD dst_unused:UNUSED_PAD src0_sel:WORD_1
	v_cvt_f32_f16_sdwa v152, v139 dst_sel:DWORD dst_unused:UNUSED_PAD src0_sel:WORD_1
	;; [unrolled: 1-line block ×4, first 2 shown]
	v_cvt_f32_i32_e32 v3, v5
	v_cvt_f32_i32_e32 v4, v94
	;; [unrolled: 1-line block ×8, first 2 shown]
	v_mul_f32_e32 v4, v152, v4
	v_mul_f32_e32 v5, v153, v5
	;; [unrolled: 1-line block ×4, first 2 shown]
	v_add_nc_u32_e32 v89, 32, v89
	v_fma_mix_f32 v1, v139, v1, -v4 op_sel_hi:[1,0,0]
	v_fma_mix_f32 v3, v140, v3, -v5 op_sel_hi:[1,0,0]
	;; [unrolled: 1-line block ×4, first 2 shown]
	v_add_nc_u32_e32 v88, 4, v88
	v_fmac_f32_e32 v61, v90, v1
	v_fmac_f32_e32 v54, v90, v3
	;; [unrolled: 1-line block ×4, first 2 shown]
	s_add_i32 s19, s1, 2
	s_cmp_lt_u32 s1, 6
	s_mov_b32 s1, s19
	s_cbranch_scc1 .LBB228_11
; %bb.12:                               ;   in Loop: Header=BB228_5 Depth=1
	s_or_b32 s1, s4, 0x80
	s_cmp_ge_i32 s1, s9
	s_barrier
	buffer_gl0_inv
	s_cbranch_scc1 .LBB228_4
; %bb.13:                               ;   in Loop: Header=BB228_5 Depth=1
	v_add_nc_u32_e32 v1, s5, v68
	v_cmp_gt_i32_e64 s1, s8, v1
	s_and_b32 s19, s0, s1
	s_and_saveexec_b32 s1, s19
	s_cbranch_execz .LBB228_15
; %bb.14:                               ;   in Loop: Header=BB228_5 Depth=1
	v_add_nc_u32_e32 v1, v71, v1
	v_mad_i64_i32 v[1:2], null, v1, 36, v[26:27]
	global_load_dword v1, v[1:2], off offset:4
	s_waitcnt vmcnt(0)
	ds_write_b32 v59, v1
.LBB228_15:                             ;   in Loop: Header=BB228_5 Depth=1
	s_or_b32 exec_lo, exec_lo, s1
	s_and_saveexec_b32 s19, vcc_lo
	s_cbranch_execz .LBB228_18
; %bb.16:                               ;   in Loop: Header=BB228_5 Depth=1
	v_or_b32_e32 v1, 4, v87
	v_cmp_gt_i32_e64 s1, s8, v1
	s_and_b32 s1, s0, s1
	s_and_b32 exec_lo, exec_lo, s1
	s_cbranch_execz .LBB228_18
; %bb.17:                               ;   in Loop: Header=BB228_5 Depth=1
	v_ashrrev_i32_e32 v1, 31, v87
	v_add_co_u32 v2, s1, v71, v87
	v_add_co_ci_u32_e64 v3, null, v75, v1, s1
	v_mad_u64_u32 v[1:2], null, v2, 36, s[2:3]
	v_mad_i32_i24 v2, v3, 36, v2
	global_load_dword v1, v[1:2], off offset:144
	s_waitcnt vmcnt(0)
	v_cvt_f32_f16_e32 v1, v1
	ds_write_b32 v62, v1
.LBB228_18:                             ;   in Loop: Header=BB228_5 Depth=1
	s_or_b32 exec_lo, exec_lo, s19
	v_mov_b32_e32 v5, v58
	v_mov_b32_e32 v6, v60
	s_mov_b32 s1, 8
	s_waitcnt lgkmcnt(0)
	s_barrier
	buffer_gl0_inv
.LBB228_19:                             ;   Parent Loop BB228_5 Depth=1
                                        ; =>  This Inner Loop Header: Depth=2
	s_and_b32 s21, s1, 0x3ffffff8
	s_lshr_b32 s22, s1, 2
	v_lshl_add_u32 v100, s21, 2, v73
	s_and_b32 s21, s22, 0x3ffffffc
	s_and_b32 s20, s1, -16
	s_addk_i32 s21, 0x5280
	ds_read_b32 v7, v6
	ds_read_b128 v[88:91], v5
	ds_read_b128 v[1:4], v5 offset:16
	v_add3_u32 v102, s21, v80, v81
	v_add3_u32 v103, s21, v82, v83
	ds_read2_b32 v[92:93], v100 offset1:1
	ds_read2_b32 v[94:95], v100 offset0:2 offset1:3
	ds_read2_b32 v[96:97], v100 offset0:4 offset1:5
	;; [unrolled: 1-line block ×3, first 2 shown]
	s_add_i32 s20, s1, s20
	v_add3_u32 v105, s21, v84, v85
	v_add3_u32 v101, s21, v78, v79
	v_add_nc_u32_e32 v104, s20, v64
	v_add_nc_u32_e32 v108, s20, v65
	;; [unrolled: 1-line block ×16, first 2 shown]
	ds_read_b32 v136, v102
	ds_read_b32 v137, v103
	;; [unrolled: 1-line block ×4, first 2 shown]
	ds_read2_b32 v[100:101], v106 offset1:1
	ds_read2_b32 v[102:103], v107 offset1:1
	ds_read_u16 v140, v104 offset:16896
	ds_read2_b32 v[104:105], v109 offset1:1
	ds_read2_b32 v[106:107], v110 offset1:1
	ds_read_u16 v141, v108 offset:17920
	ds_read2_b32 v[108:109], v111 offset1:1
	ds_read2_b32 v[110:111], v112 offset1:1
	;; [unrolled: 1-line block ×6, first 2 shown]
	ds_read_u16 v142, v120 offset:18944
	ds_read2_b32 v[120:121], v121 offset1:1
	ds_read2_b32 v[122:123], v122 offset1:1
	ds_read_u16 v135, v135 offset:19968
	s_add_i32 s19, s1, -8
	v_mov_b32_e32 v8, 0
	s_waitcnt lgkmcnt(23)
	v_ashrrev_i32_e32 v92, s19, v92
	s_waitcnt lgkmcnt(21)
	v_ashrrev_i32_e32 v96, s19, v96
	v_mov_b32_e32 v125, 0
	s_waitcnt lgkmcnt(15)
	v_ashrrev_i32_e32 v100, s19, v100
	s_waitcnt lgkmcnt(13)
	v_bfe_u32 v147, v140, 4, 4
	v_and_b32_e32 v92, 0x3030303, v92
	v_and_b32_e32 v96, 0x3030303, v96
	v_and_b32_e32 v148, 15, v140
	v_and_b32_sdwa v140, v86, v140 dst_sel:DWORD dst_unused:UNUSED_PAD src0_sel:DWORD src1_sel:BYTE_1
	s_waitcnt lgkmcnt(10)
	v_bfe_u32 v149, v141, 4, 4
	v_mul_lo_u32 v147, 0x1010101, v147
	v_dot4c_i32_i8 v8, v92, v88
	v_dot4c_i32_i8 v125, v96, v1
	v_lshrrev_b32_e32 v92, 4, v140
	s_waitcnt lgkmcnt(3)
	v_bfe_u32 v151, v142, 4, 4
	v_and_b32_e32 v96, 15, v140
	v_mul_lo_u32 v140, 0x1010101, v149
	s_waitcnt lgkmcnt(0)
	v_bfe_u32 v153, v135, 4, 4
	v_ashrrev_i32_e32 v108, s19, v108
	v_mul_lo_u32 v151, 0x1010101, v151
	v_ashrrev_i32_e32 v116, s19, v116
	v_mov_b32_e32 v124, 0
	v_mul_lo_u32 v153, 0x1010101, v153
	v_mov_b32_e32 v127, 0
	v_mov_b32_e32 v130, 0
	;; [unrolled: 1-line block ×3, first 2 shown]
	v_ashrrev_i32_e32 v93, s19, v93
	v_mov_b32_e32 v126, 0
	v_mov_b32_e32 v129, 0
	;; [unrolled: 1-line block ×3, first 2 shown]
	v_ashrrev_i32_e32 v101, s19, v101
	v_ashrrev_i32_e32 v109, s19, v109
	;; [unrolled: 1-line block ×3, first 2 shown]
	v_and_b32_e32 v100, 0x3030303, v100
	v_and_b32_e32 v108, 0x3030303, v108
	;; [unrolled: 1-line block ×3, first 2 shown]
	v_dot4c_i32_i8 v124, v147, v88
	v_dot4c_i32_i8 v127, v140, v88
	;; [unrolled: 1-line block ×4, first 2 shown]
	v_ashrrev_i32_e32 v94, s19, v94
	v_and_b32_e32 v93, 0x3030303, v93
	v_ashrrev_i32_e32 v97, s19, v97
	v_ashrrev_i32_e32 v104, s19, v104
	v_and_b32_e32 v150, 15, v141
	v_and_b32_sdwa v141, v86, v141 dst_sel:DWORD dst_unused:UNUSED_PAD src0_sel:DWORD src1_sel:BYTE_1
	v_ashrrev_i32_e32 v112, s19, v112
	v_and_b32_e32 v152, 15, v142
	v_and_b32_sdwa v142, v86, v142 dst_sel:DWORD dst_unused:UNUSED_PAD src0_sel:DWORD src1_sel:BYTE_1
	v_and_b32_e32 v154, 15, v135
	v_and_b32_sdwa v135, v86, v135 dst_sel:DWORD dst_unused:UNUSED_PAD src0_sel:DWORD src1_sel:BYTE_1
	v_ashrrev_i32_e32 v102, s19, v102
	v_ashrrev_i32_e32 v110, s19, v110
	;; [unrolled: 1-line block ×3, first 2 shown]
	v_and_b32_e32 v101, 0x3030303, v101
	v_and_b32_e32 v109, 0x3030303, v109
	;; [unrolled: 1-line block ×3, first 2 shown]
	v_dot4c_i32_i8 v126, v100, v88
	v_dot4c_i32_i8 v129, v108, v88
	;; [unrolled: 1-line block ×7, first 2 shown]
	v_ashrrev_i32_e32 v95, s19, v95
	v_and_b32_e32 v94, 0x3030303, v94
	v_dot4c_i32_i8 v8, v93, v89
	v_mov_b32_e32 v128, 0
	v_mov_b32_e32 v131, 0
	v_and_b32_e32 v97, 0x3030303, v97
	v_ashrrev_i32_e32 v105, s19, v105
	v_ashrrev_i32_e32 v113, s19, v113
	;; [unrolled: 1-line block ×3, first 2 shown]
	v_and_b32_e32 v104, 0x3030303, v104
	v_lshrrev_b32_e32 v149, 4, v141
	v_and_b32_e32 v112, 0x3030303, v112
	v_lshrrev_b32_e32 v155, 4, v142
	v_lshrrev_b32_e32 v156, 4, v135
	v_ashrrev_i32_e32 v98, s19, v98
	v_ashrrev_i32_e32 v103, s19, v103
	v_ashrrev_i32_e32 v111, s19, v111
	v_ashrrev_i32_e32 v119, s19, v119
	v_and_b32_e32 v102, 0x3030303, v102
	v_and_b32_e32 v110, 0x3030303, v110
	;; [unrolled: 1-line block ×3, first 2 shown]
	v_dot4c_i32_i8 v126, v101, v89
	v_dot4c_i32_i8 v129, v109, v89
	v_dot4c_i32_i8 v132, v117, v89
	v_dot4c_i32_i8 v124, v147, v90
	v_dot4c_i32_i8 v127, v140, v90
	v_dot4c_i32_i8 v130, v151, v90
	v_dot4c_i32_i8 v133, v153, v90
	v_and_b32_e32 v95, 0x3030303, v95
	v_dot4c_i32_i8 v8, v94, v90
	v_mov_b32_e32 v134, 0
	v_ashrrev_i32_e32 v106, s19, v106
	v_ashrrev_i32_e32 v114, s19, v114
	;; [unrolled: 1-line block ×3, first 2 shown]
	v_and_b32_e32 v105, 0x3030303, v105
	v_and_b32_e32 v113, 0x3030303, v113
	;; [unrolled: 1-line block ×3, first 2 shown]
	v_mul_lo_u32 v157, 0x1010101, v92
	v_dot4c_i32_i8 v125, v97, v2
	v_mul_lo_u32 v97, 0x1010101, v149
	v_dot4c_i32_i8 v128, v104, v1
	v_mul_lo_u32 v100, 0x1010101, v155
	v_dot4c_i32_i8 v131, v112, v1
	v_mul_lo_u32 v104, 0x1010101, v156
	v_ashrrev_i32_e32 v99, s19, v99
	v_and_b32_e32 v98, 0x3030303, v98
	v_and_b32_e32 v103, 0x3030303, v103
	;; [unrolled: 1-line block ×4, first 2 shown]
	v_dot4c_i32_i8 v126, v102, v90
	v_dot4c_i32_i8 v129, v110, v90
	;; [unrolled: 1-line block ×8, first 2 shown]
	v_ashrrev_i32_e32 v107, s19, v107
	v_ashrrev_i32_e32 v115, s19, v115
	;; [unrolled: 1-line block ×3, first 2 shown]
	v_and_b32_e32 v106, 0x3030303, v106
	v_and_b32_e32 v114, 0x3030303, v114
	;; [unrolled: 1-line block ×3, first 2 shown]
	v_dot4c_i32_i8 v134, v120, v1
	v_dot4c_i32_i8 v128, v105, v2
	;; [unrolled: 1-line block ×3, first 2 shown]
	v_and_b32_e32 v99, 0x3030303, v99
	v_dot4c_i32_i8 v125, v98, v3
	v_dot4c_i32_i8 v126, v103, v91
	;; [unrolled: 1-line block ×8, first 2 shown]
	v_mul_lo_u32 v8, v148, v8
	v_ashrrev_i32_e32 v123, s19, v123
	v_and_b32_e32 v107, 0x3030303, v107
	v_and_b32_e32 v115, 0x3030303, v115
	;; [unrolled: 1-line block ×3, first 2 shown]
	v_dot4c_i32_i8 v134, v121, v2
	v_dot4c_i32_i8 v128, v106, v3
	;; [unrolled: 1-line block ×4, first 2 shown]
	v_mul_lo_u32 v88, v150, v126
	v_mul_lo_u32 v89, v152, v129
	;; [unrolled: 1-line block ×3, first 2 shown]
	v_dot4c_i32_i8 v124, v157, v2
	v_dot4c_i32_i8 v127, v97, v2
	;; [unrolled: 1-line block ×4, first 2 shown]
	v_and_b32_e32 v141, 15, v141
	v_and_b32_e32 v142, 15, v142
	;; [unrolled: 1-line block ×3, first 2 shown]
	v_dot4c_i32_i8 v134, v122, v3
	v_dot4c_i32_i8 v128, v107, v4
	;; [unrolled: 1-line block ×3, first 2 shown]
	v_mad_u64_u32 v[91:92], null, v96, v125, v[8:9]
	v_dot4c_i32_i8 v124, v157, v3
	v_dot4c_i32_i8 v127, v97, v3
	;; [unrolled: 1-line block ×4, first 2 shown]
	v_and_b32_e32 v135, 15, v135
	v_dot4c_i32_i8 v134, v123, v4
	v_mad_u64_u32 v[92:93], null, v141, v128, v[88:89]
	v_mad_u64_u32 v[88:89], null, v142, v131, v[89:90]
	v_dot4c_i32_i8 v124, v157, v4
	v_dot4c_i32_i8 v127, v97, v4
	;; [unrolled: 1-line block ×4, first 2 shown]
	v_mad_u64_u32 v[1:2], null, v135, v134, v[90:91]
	v_cvt_f32_f16_sdwa v143, v139 dst_sel:DWORD dst_unused:UNUSED_PAD src0_sel:WORD_1
	v_cvt_f32_f16_sdwa v144, v136 dst_sel:DWORD dst_unused:UNUSED_PAD src0_sel:WORD_1
	;; [unrolled: 1-line block ×4, first 2 shown]
	v_cvt_f32_i32_e32 v4, v88
	v_cvt_f32_i32_e32 v8, v124
	;; [unrolled: 1-line block ×8, first 2 shown]
	v_mul_f32_e32 v8, v143, v8
	v_mul_f32_e32 v88, v144, v88
	;; [unrolled: 1-line block ×4, first 2 shown]
	v_add_nc_u32_e32 v6, 4, v6
	v_fma_mix_f32 v2, v139, v2, -v8 op_sel_hi:[1,0,0]
	v_fma_mix_f32 v3, v136, v3, -v88 op_sel_hi:[1,0,0]
	;; [unrolled: 1-line block ×4, first 2 shown]
	v_add_nc_u32_e32 v5, 32, v5
	v_fmac_f32_e32 v29, v7, v2
	v_fmac_f32_e32 v61, v7, v3
	v_fmac_f32_e32 v54, v7, v4
	v_fmac_f32_e32 v24, v7, v1
	s_add_i32 s19, s1, 2
	s_cmp_lt_u32 s1, 14
	s_mov_b32 s1, s19
	s_cbranch_scc1 .LBB228_19
; %bb.20:                               ;   in Loop: Header=BB228_5 Depth=1
	s_or_b32 s1, s4, 0x100
	s_cmp_ge_i32 s1, s9
	s_barrier
	buffer_gl0_inv
	s_cbranch_scc1 .LBB228_4
; %bb.21:                               ;   in Loop: Header=BB228_5 Depth=1
	v_add_nc_u32_e32 v1, s5, v69
	v_cmp_gt_i32_e64 s1, s8, v1
	s_and_b32 s19, s0, s1
	s_and_saveexec_b32 s1, s19
	s_cbranch_execz .LBB228_23
; %bb.22:                               ;   in Loop: Header=BB228_5 Depth=1
	v_add_nc_u32_e32 v1, v71, v1
	v_mad_i64_i32 v[1:2], null, v1, 36, v[26:27]
	global_load_dword v1, v[1:2], off offset:4
	s_waitcnt vmcnt(0)
	ds_write_b32 v59, v1
.LBB228_23:                             ;   in Loop: Header=BB228_5 Depth=1
	s_or_b32 exec_lo, exec_lo, s1
	s_and_saveexec_b32 s19, vcc_lo
	s_cbranch_execz .LBB228_26
; %bb.24:                               ;   in Loop: Header=BB228_5 Depth=1
	v_or_b32_e32 v1, 8, v87
	v_cmp_gt_i32_e64 s1, s8, v1
	s_and_b32 s1, s0, s1
	s_and_b32 exec_lo, exec_lo, s1
	s_cbranch_execz .LBB228_26
; %bb.25:                               ;   in Loop: Header=BB228_5 Depth=1
	v_ashrrev_i32_e32 v1, 31, v87
	v_add_co_u32 v2, s1, v71, v87
	v_add_co_ci_u32_e64 v3, null, v75, v1, s1
	v_mad_u64_u32 v[1:2], null, v2, 36, s[2:3]
	v_mad_i32_i24 v2, v3, 36, v2
	global_load_dword v1, v[1:2], off offset:288
	s_waitcnt vmcnt(0)
	v_cvt_f32_f16_e32 v1, v1
	ds_write_b32 v62, v1
.LBB228_26:                             ;   in Loop: Header=BB228_5 Depth=1
	s_or_b32 exec_lo, exec_lo, s19
	v_mov_b32_e32 v5, v58
	v_mov_b32_e32 v6, v60
	s_mov_b32 s1, 16
	s_waitcnt lgkmcnt(0)
	s_barrier
	buffer_gl0_inv
.LBB228_27:                             ;   Parent Loop BB228_5 Depth=1
                                        ; =>  This Inner Loop Header: Depth=2
	s_and_b32 s21, s1, 0x3ffffff8
	s_lshr_b32 s22, s1, 2
	v_lshl_add_u32 v100, s21, 2, v73
	s_and_b32 s21, s22, 0x3ffffffc
	s_and_b32 s20, s1, -16
	s_addk_i32 s21, 0x5280
	ds_read_b32 v7, v6
	ds_read_b128 v[88:91], v5
	ds_read_b128 v[1:4], v5 offset:16
	v_add3_u32 v102, s21, v80, v81
	v_add3_u32 v103, s21, v82, v83
	ds_read2_b32 v[92:93], v100 offset1:1
	ds_read2_b32 v[94:95], v100 offset0:2 offset1:3
	ds_read2_b32 v[96:97], v100 offset0:4 offset1:5
	;; [unrolled: 1-line block ×3, first 2 shown]
	s_add_i32 s20, s1, s20
	v_add3_u32 v105, s21, v84, v85
	v_add3_u32 v101, s21, v78, v79
	v_add_nc_u32_e32 v104, s20, v64
	v_add_nc_u32_e32 v108, s20, v65
	;; [unrolled: 1-line block ×16, first 2 shown]
	ds_read_b32 v136, v102
	ds_read_b32 v137, v103
	;; [unrolled: 1-line block ×4, first 2 shown]
	ds_read2_b32 v[100:101], v106 offset1:1
	ds_read2_b32 v[102:103], v107 offset1:1
	ds_read_u16 v140, v104 offset:16880
	ds_read2_b32 v[104:105], v109 offset1:1
	ds_read2_b32 v[106:107], v110 offset1:1
	ds_read_u16 v141, v108 offset:17904
	ds_read2_b32 v[108:109], v111 offset1:1
	ds_read2_b32 v[110:111], v112 offset1:1
	ds_read2_b32 v[112:113], v113 offset1:1
	ds_read2_b32 v[114:115], v114 offset1:1
	ds_read2_b32 v[116:117], v116 offset1:1
	ds_read2_b32 v[118:119], v118 offset1:1
	ds_read_u16 v142, v120 offset:18928
	ds_read2_b32 v[120:121], v121 offset1:1
	ds_read2_b32 v[122:123], v122 offset1:1
	ds_read_u16 v135, v135 offset:19952
	s_add_i32 s19, s1, -16
	v_mov_b32_e32 v8, 0
	s_waitcnt lgkmcnt(23)
	v_ashrrev_i32_e32 v92, s19, v92
	s_waitcnt lgkmcnt(21)
	v_ashrrev_i32_e32 v96, s19, v96
	v_mov_b32_e32 v125, 0
	s_waitcnt lgkmcnt(15)
	v_ashrrev_i32_e32 v100, s19, v100
	s_waitcnt lgkmcnt(13)
	v_bfe_u32 v147, v140, 4, 4
	v_and_b32_e32 v92, 0x3030303, v92
	v_and_b32_e32 v96, 0x3030303, v96
	;; [unrolled: 1-line block ×3, first 2 shown]
	v_and_b32_sdwa v140, v86, v140 dst_sel:DWORD dst_unused:UNUSED_PAD src0_sel:DWORD src1_sel:BYTE_1
	s_waitcnt lgkmcnt(10)
	v_bfe_u32 v149, v141, 4, 4
	v_mul_lo_u32 v147, 0x1010101, v147
	v_dot4c_i32_i8 v8, v92, v88
	v_dot4c_i32_i8 v125, v96, v1
	v_lshrrev_b32_e32 v92, 4, v140
	s_waitcnt lgkmcnt(3)
	v_bfe_u32 v151, v142, 4, 4
	v_and_b32_e32 v96, 15, v140
	v_mul_lo_u32 v140, 0x1010101, v149
	s_waitcnt lgkmcnt(0)
	v_bfe_u32 v153, v135, 4, 4
	v_ashrrev_i32_e32 v108, s19, v108
	v_mul_lo_u32 v151, 0x1010101, v151
	v_ashrrev_i32_e32 v116, s19, v116
	v_mov_b32_e32 v124, 0
	v_mul_lo_u32 v153, 0x1010101, v153
	v_mov_b32_e32 v127, 0
	v_mov_b32_e32 v130, 0
	;; [unrolled: 1-line block ×3, first 2 shown]
	v_ashrrev_i32_e32 v93, s19, v93
	v_mov_b32_e32 v126, 0
	v_mov_b32_e32 v129, 0
	;; [unrolled: 1-line block ×3, first 2 shown]
	v_ashrrev_i32_e32 v101, s19, v101
	v_ashrrev_i32_e32 v109, s19, v109
	v_ashrrev_i32_e32 v117, s19, v117
	v_and_b32_e32 v100, 0x3030303, v100
	v_and_b32_e32 v108, 0x3030303, v108
	;; [unrolled: 1-line block ×3, first 2 shown]
	v_dot4c_i32_i8 v124, v147, v88
	v_dot4c_i32_i8 v127, v140, v88
	v_dot4c_i32_i8 v130, v151, v88
	v_dot4c_i32_i8 v133, v153, v88
	v_ashrrev_i32_e32 v94, s19, v94
	v_and_b32_e32 v93, 0x3030303, v93
	v_ashrrev_i32_e32 v97, s19, v97
	v_ashrrev_i32_e32 v104, s19, v104
	v_and_b32_e32 v150, 15, v141
	v_and_b32_sdwa v141, v86, v141 dst_sel:DWORD dst_unused:UNUSED_PAD src0_sel:DWORD src1_sel:BYTE_1
	v_ashrrev_i32_e32 v112, s19, v112
	v_and_b32_e32 v152, 15, v142
	v_and_b32_sdwa v142, v86, v142 dst_sel:DWORD dst_unused:UNUSED_PAD src0_sel:DWORD src1_sel:BYTE_1
	v_and_b32_e32 v154, 15, v135
	v_and_b32_sdwa v135, v86, v135 dst_sel:DWORD dst_unused:UNUSED_PAD src0_sel:DWORD src1_sel:BYTE_1
	v_ashrrev_i32_e32 v102, s19, v102
	v_ashrrev_i32_e32 v110, s19, v110
	;; [unrolled: 1-line block ×3, first 2 shown]
	v_and_b32_e32 v101, 0x3030303, v101
	v_and_b32_e32 v109, 0x3030303, v109
	;; [unrolled: 1-line block ×3, first 2 shown]
	v_dot4c_i32_i8 v126, v100, v88
	v_dot4c_i32_i8 v129, v108, v88
	v_dot4c_i32_i8 v132, v116, v88
	v_dot4c_i32_i8 v124, v147, v89
	v_dot4c_i32_i8 v127, v140, v89
	v_dot4c_i32_i8 v130, v151, v89
	v_dot4c_i32_i8 v133, v153, v89
	v_ashrrev_i32_e32 v95, s19, v95
	v_and_b32_e32 v94, 0x3030303, v94
	v_dot4c_i32_i8 v8, v93, v89
	v_mov_b32_e32 v128, 0
	v_mov_b32_e32 v131, 0
	v_and_b32_e32 v97, 0x3030303, v97
	v_ashrrev_i32_e32 v105, s19, v105
	v_ashrrev_i32_e32 v113, s19, v113
	;; [unrolled: 1-line block ×3, first 2 shown]
	v_and_b32_e32 v104, 0x3030303, v104
	v_lshrrev_b32_e32 v149, 4, v141
	v_and_b32_e32 v112, 0x3030303, v112
	v_lshrrev_b32_e32 v155, 4, v142
	v_lshrrev_b32_e32 v156, 4, v135
	v_ashrrev_i32_e32 v98, s19, v98
	v_ashrrev_i32_e32 v103, s19, v103
	;; [unrolled: 1-line block ×4, first 2 shown]
	v_and_b32_e32 v102, 0x3030303, v102
	v_and_b32_e32 v110, 0x3030303, v110
	;; [unrolled: 1-line block ×3, first 2 shown]
	v_dot4c_i32_i8 v126, v101, v89
	v_dot4c_i32_i8 v129, v109, v89
	;; [unrolled: 1-line block ×7, first 2 shown]
	v_and_b32_e32 v95, 0x3030303, v95
	v_dot4c_i32_i8 v8, v94, v90
	v_mov_b32_e32 v134, 0
	v_ashrrev_i32_e32 v106, s19, v106
	v_ashrrev_i32_e32 v114, s19, v114
	;; [unrolled: 1-line block ×3, first 2 shown]
	v_and_b32_e32 v105, 0x3030303, v105
	v_and_b32_e32 v113, 0x3030303, v113
	;; [unrolled: 1-line block ×3, first 2 shown]
	v_mul_lo_u32 v157, 0x1010101, v92
	v_dot4c_i32_i8 v125, v97, v2
	v_mul_lo_u32 v97, 0x1010101, v149
	v_dot4c_i32_i8 v128, v104, v1
	;; [unrolled: 2-line block ×3, first 2 shown]
	v_mul_lo_u32 v104, 0x1010101, v156
	v_ashrrev_i32_e32 v99, s19, v99
	v_and_b32_e32 v98, 0x3030303, v98
	v_and_b32_e32 v103, 0x3030303, v103
	;; [unrolled: 1-line block ×4, first 2 shown]
	v_dot4c_i32_i8 v126, v102, v90
	v_dot4c_i32_i8 v129, v110, v90
	;; [unrolled: 1-line block ×8, first 2 shown]
	v_ashrrev_i32_e32 v107, s19, v107
	v_ashrrev_i32_e32 v115, s19, v115
	;; [unrolled: 1-line block ×3, first 2 shown]
	v_and_b32_e32 v106, 0x3030303, v106
	v_and_b32_e32 v114, 0x3030303, v114
	;; [unrolled: 1-line block ×3, first 2 shown]
	v_dot4c_i32_i8 v134, v120, v1
	v_dot4c_i32_i8 v128, v105, v2
	;; [unrolled: 1-line block ×3, first 2 shown]
	v_and_b32_e32 v99, 0x3030303, v99
	v_dot4c_i32_i8 v125, v98, v3
	v_dot4c_i32_i8 v126, v103, v91
	;; [unrolled: 1-line block ×8, first 2 shown]
	v_mul_lo_u32 v8, v148, v8
	v_ashrrev_i32_e32 v123, s19, v123
	v_and_b32_e32 v107, 0x3030303, v107
	v_and_b32_e32 v115, 0x3030303, v115
	;; [unrolled: 1-line block ×3, first 2 shown]
	v_dot4c_i32_i8 v134, v121, v2
	v_dot4c_i32_i8 v128, v106, v3
	;; [unrolled: 1-line block ×4, first 2 shown]
	v_mul_lo_u32 v88, v150, v126
	v_mul_lo_u32 v89, v152, v129
	;; [unrolled: 1-line block ×3, first 2 shown]
	v_dot4c_i32_i8 v124, v157, v2
	v_dot4c_i32_i8 v127, v97, v2
	;; [unrolled: 1-line block ×4, first 2 shown]
	v_and_b32_e32 v141, 15, v141
	v_and_b32_e32 v142, 15, v142
	;; [unrolled: 1-line block ×3, first 2 shown]
	v_dot4c_i32_i8 v134, v122, v3
	v_dot4c_i32_i8 v128, v107, v4
	;; [unrolled: 1-line block ×3, first 2 shown]
	v_mad_u64_u32 v[91:92], null, v96, v125, v[8:9]
	v_dot4c_i32_i8 v124, v157, v3
	v_dot4c_i32_i8 v127, v97, v3
	;; [unrolled: 1-line block ×4, first 2 shown]
	v_and_b32_e32 v135, 15, v135
	v_dot4c_i32_i8 v134, v123, v4
	v_mad_u64_u32 v[92:93], null, v141, v128, v[88:89]
	v_mad_u64_u32 v[88:89], null, v142, v131, v[89:90]
	v_dot4c_i32_i8 v124, v157, v4
	v_dot4c_i32_i8 v127, v97, v4
	;; [unrolled: 1-line block ×4, first 2 shown]
	v_mad_u64_u32 v[1:2], null, v135, v134, v[90:91]
	v_cvt_f32_f16_sdwa v143, v139 dst_sel:DWORD dst_unused:UNUSED_PAD src0_sel:WORD_1
	v_cvt_f32_f16_sdwa v144, v136 dst_sel:DWORD dst_unused:UNUSED_PAD src0_sel:WORD_1
	;; [unrolled: 1-line block ×4, first 2 shown]
	v_cvt_f32_i32_e32 v4, v88
	v_cvt_f32_i32_e32 v8, v124
	;; [unrolled: 1-line block ×8, first 2 shown]
	v_mul_f32_e32 v8, v143, v8
	v_mul_f32_e32 v88, v144, v88
	v_mul_f32_e32 v89, v145, v89
	v_mul_f32_e32 v90, v146, v90
	v_add_nc_u32_e32 v6, 4, v6
	v_fma_mix_f32 v2, v139, v2, -v8 op_sel_hi:[1,0,0]
	v_fma_mix_f32 v3, v136, v3, -v88 op_sel_hi:[1,0,0]
	;; [unrolled: 1-line block ×4, first 2 shown]
	v_add_nc_u32_e32 v5, 32, v5
	v_fmac_f32_e32 v29, v7, v2
	v_fmac_f32_e32 v61, v7, v3
	;; [unrolled: 1-line block ×4, first 2 shown]
	s_add_i32 s19, s1, 2
	s_cmp_lt_u32 s1, 22
	s_mov_b32 s1, s19
	s_cbranch_scc1 .LBB228_27
; %bb.28:                               ;   in Loop: Header=BB228_5 Depth=1
	s_or_b32 s1, s4, 0x180
	s_cmp_ge_i32 s1, s9
	s_barrier
	buffer_gl0_inv
	s_cbranch_scc1 .LBB228_4
; %bb.29:                               ;   in Loop: Header=BB228_5 Depth=1
	v_add_nc_u32_e32 v1, s5, v70
	v_cmp_gt_i32_e64 s1, s8, v1
	s_and_b32 s4, s0, s1
	s_and_saveexec_b32 s1, s4
	s_cbranch_execz .LBB228_31
; %bb.30:                               ;   in Loop: Header=BB228_5 Depth=1
	v_add_nc_u32_e32 v1, v71, v1
	v_mad_i64_i32 v[1:2], null, v1, 36, v[26:27]
	global_load_dword v1, v[1:2], off offset:4
	s_waitcnt vmcnt(0)
	ds_write_b32 v59, v1
.LBB228_31:                             ;   in Loop: Header=BB228_5 Depth=1
	s_or_b32 exec_lo, exec_lo, s1
	s_and_saveexec_b32 s4, vcc_lo
	s_cbranch_execz .LBB228_34
; %bb.32:                               ;   in Loop: Header=BB228_5 Depth=1
	v_or_b32_e32 v1, 12, v87
	v_cmp_gt_i32_e64 s1, s8, v1
	s_and_b32 s1, s0, s1
	s_and_b32 exec_lo, exec_lo, s1
	s_cbranch_execz .LBB228_34
; %bb.33:                               ;   in Loop: Header=BB228_5 Depth=1
	v_ashrrev_i32_e32 v1, 31, v87
	v_add_co_u32 v2, s1, v71, v87
	v_add_co_ci_u32_e64 v3, null, v75, v1, s1
	v_mad_u64_u32 v[1:2], null, v2, 36, s[2:3]
	v_mad_i32_i24 v2, v3, 36, v2
	global_load_dword v1, v[1:2], off offset:432
	s_waitcnt vmcnt(0)
	v_cvt_f32_f16_e32 v1, v1
	ds_write_b32 v62, v1
.LBB228_34:                             ;   in Loop: Header=BB228_5 Depth=1
	s_or_b32 exec_lo, exec_lo, s4
	v_mov_b32_e32 v5, v58
	v_mov_b32_e32 v6, v60
	s_mov_b32 s1, 24
	s_waitcnt lgkmcnt(0)
	s_barrier
	buffer_gl0_inv
.LBB228_35:                             ;   Parent Loop BB228_5 Depth=1
                                        ; =>  This Inner Loop Header: Depth=2
	s_and_b32 s19, s1, 0x3ffffff8
	s_lshr_b32 s20, s1, 2
	v_lshl_add_u32 v99, s19, 2, v73
	s_and_b32 s19, s20, 0x3ffffffc
	s_and_b32 s5, s1, -16
	s_addk_i32 s19, 0x5280
	ds_read_b32 v7, v6
	ds_read_b128 v[87:90], v5
	ds_read_b128 v[1:4], v5 offset:16
	v_add3_u32 v101, s19, v80, v81
	v_add3_u32 v102, s19, v82, v83
	ds_read2_b32 v[91:92], v99 offset1:1
	ds_read2_b32 v[93:94], v99 offset0:2 offset1:3
	ds_read2_b32 v[95:96], v99 offset0:4 offset1:5
	;; [unrolled: 1-line block ×3, first 2 shown]
	s_add_i32 s5, s1, s5
	v_add3_u32 v104, s19, v84, v85
	v_add3_u32 v100, s19, v78, v79
	v_add_nc_u32_e32 v103, s5, v64
	v_add_nc_u32_e32 v107, s5, v65
	;; [unrolled: 1-line block ×16, first 2 shown]
	ds_read_b32 v135, v101
	ds_read_b32 v136, v102
	;; [unrolled: 1-line block ×4, first 2 shown]
	ds_read2_b32 v[99:100], v105 offset1:1
	ds_read2_b32 v[101:102], v106 offset1:1
	ds_read_u16 v139, v103 offset:16880
	ds_read2_b32 v[103:104], v108 offset1:1
	ds_read2_b32 v[105:106], v109 offset1:1
	ds_read_u16 v140, v107 offset:17904
	ds_read2_b32 v[107:108], v110 offset1:1
	ds_read2_b32 v[109:110], v111 offset1:1
	;; [unrolled: 1-line block ×6, first 2 shown]
	ds_read_u16 v141, v119 offset:18928
	ds_read2_b32 v[119:120], v120 offset1:1
	ds_read2_b32 v[121:122], v121 offset1:1
	ds_read_u16 v134, v134 offset:19952
	s_sub_i32 s4, s1, 24
	v_mov_b32_e32 v8, 0
	s_waitcnt lgkmcnt(23)
	v_ashrrev_i32_e32 v91, s4, v91
	s_waitcnt lgkmcnt(21)
	v_ashrrev_i32_e32 v95, s4, v95
	v_mov_b32_e32 v124, 0
	s_waitcnt lgkmcnt(15)
	v_ashrrev_i32_e32 v99, s4, v99
	s_waitcnt lgkmcnt(13)
	v_bfe_u32 v146, v139, 4, 4
	v_and_b32_e32 v91, 0x3030303, v91
	v_and_b32_e32 v95, 0x3030303, v95
	;; [unrolled: 1-line block ×3, first 2 shown]
	v_and_b32_sdwa v139, v86, v139 dst_sel:DWORD dst_unused:UNUSED_PAD src0_sel:DWORD src1_sel:BYTE_1
	s_waitcnt lgkmcnt(10)
	v_bfe_u32 v148, v140, 4, 4
	v_mul_lo_u32 v146, 0x1010101, v146
	v_dot4c_i32_i8 v8, v91, v87
	v_dot4c_i32_i8 v124, v95, v1
	v_lshrrev_b32_e32 v91, 4, v139
	s_waitcnt lgkmcnt(3)
	v_bfe_u32 v150, v141, 4, 4
	v_and_b32_e32 v95, 15, v139
	v_mul_lo_u32 v139, 0x1010101, v148
	s_waitcnt lgkmcnt(0)
	v_bfe_u32 v152, v134, 4, 4
	v_ashrrev_i32_e32 v107, s4, v107
	v_mul_lo_u32 v150, 0x1010101, v150
	v_ashrrev_i32_e32 v115, s4, v115
	v_mov_b32_e32 v123, 0
	v_mul_lo_u32 v152, 0x1010101, v152
	v_mov_b32_e32 v126, 0
	v_mov_b32_e32 v129, 0
	;; [unrolled: 1-line block ×3, first 2 shown]
	v_ashrrev_i32_e32 v92, s4, v92
	v_mov_b32_e32 v125, 0
	v_mov_b32_e32 v128, 0
	;; [unrolled: 1-line block ×3, first 2 shown]
	v_ashrrev_i32_e32 v100, s4, v100
	v_ashrrev_i32_e32 v108, s4, v108
	v_ashrrev_i32_e32 v116, s4, v116
	v_and_b32_e32 v99, 0x3030303, v99
	v_and_b32_e32 v107, 0x3030303, v107
	;; [unrolled: 1-line block ×3, first 2 shown]
	v_dot4c_i32_i8 v123, v146, v87
	v_dot4c_i32_i8 v126, v139, v87
	;; [unrolled: 1-line block ×4, first 2 shown]
	v_ashrrev_i32_e32 v93, s4, v93
	v_and_b32_e32 v92, 0x3030303, v92
	v_ashrrev_i32_e32 v96, s4, v96
	v_ashrrev_i32_e32 v103, s4, v103
	v_and_b32_e32 v149, 15, v140
	v_and_b32_sdwa v140, v86, v140 dst_sel:DWORD dst_unused:UNUSED_PAD src0_sel:DWORD src1_sel:BYTE_1
	v_ashrrev_i32_e32 v111, s4, v111
	v_and_b32_e32 v151, 15, v141
	v_and_b32_sdwa v141, v86, v141 dst_sel:DWORD dst_unused:UNUSED_PAD src0_sel:DWORD src1_sel:BYTE_1
	v_and_b32_e32 v153, 15, v134
	v_and_b32_sdwa v134, v86, v134 dst_sel:DWORD dst_unused:UNUSED_PAD src0_sel:DWORD src1_sel:BYTE_1
	v_ashrrev_i32_e32 v101, s4, v101
	v_ashrrev_i32_e32 v109, s4, v109
	;; [unrolled: 1-line block ×3, first 2 shown]
	v_and_b32_e32 v100, 0x3030303, v100
	v_and_b32_e32 v108, 0x3030303, v108
	v_and_b32_e32 v116, 0x3030303, v116
	v_dot4c_i32_i8 v125, v99, v87
	v_dot4c_i32_i8 v128, v107, v87
	v_dot4c_i32_i8 v131, v115, v87
	v_dot4c_i32_i8 v123, v146, v88
	v_dot4c_i32_i8 v126, v139, v88
	v_dot4c_i32_i8 v129, v150, v88
	v_dot4c_i32_i8 v132, v152, v88
	v_ashrrev_i32_e32 v94, s4, v94
	v_and_b32_e32 v93, 0x3030303, v93
	v_dot4c_i32_i8 v8, v92, v88
	v_mov_b32_e32 v127, 0
	v_mov_b32_e32 v130, 0
	v_and_b32_e32 v96, 0x3030303, v96
	v_ashrrev_i32_e32 v104, s4, v104
	v_ashrrev_i32_e32 v112, s4, v112
	v_ashrrev_i32_e32 v119, s4, v119
	v_and_b32_e32 v103, 0x3030303, v103
	v_lshrrev_b32_e32 v148, 4, v140
	v_and_b32_e32 v111, 0x3030303, v111
	v_lshrrev_b32_e32 v154, 4, v141
	v_lshrrev_b32_e32 v155, 4, v134
	v_ashrrev_i32_e32 v97, s4, v97
	v_ashrrev_i32_e32 v102, s4, v102
	;; [unrolled: 1-line block ×4, first 2 shown]
	v_and_b32_e32 v101, 0x3030303, v101
	v_and_b32_e32 v109, 0x3030303, v109
	;; [unrolled: 1-line block ×3, first 2 shown]
	v_dot4c_i32_i8 v125, v100, v88
	v_dot4c_i32_i8 v128, v108, v88
	;; [unrolled: 1-line block ×7, first 2 shown]
	v_and_b32_e32 v94, 0x3030303, v94
	v_dot4c_i32_i8 v8, v93, v89
	v_mov_b32_e32 v133, 0
	v_ashrrev_i32_e32 v105, s4, v105
	v_ashrrev_i32_e32 v113, s4, v113
	;; [unrolled: 1-line block ×3, first 2 shown]
	v_and_b32_e32 v104, 0x3030303, v104
	v_and_b32_e32 v112, 0x3030303, v112
	v_and_b32_e32 v119, 0x3030303, v119
	v_mul_lo_u32 v156, 0x1010101, v91
	v_dot4c_i32_i8 v124, v96, v2
	v_mul_lo_u32 v96, 0x1010101, v148
	v_dot4c_i32_i8 v127, v103, v1
	;; [unrolled: 2-line block ×3, first 2 shown]
	v_mul_lo_u32 v103, 0x1010101, v155
	v_ashrrev_i32_e32 v98, s4, v98
	v_and_b32_e32 v97, 0x3030303, v97
	v_and_b32_e32 v102, 0x3030303, v102
	;; [unrolled: 1-line block ×4, first 2 shown]
	v_dot4c_i32_i8 v125, v101, v89
	v_dot4c_i32_i8 v128, v109, v89
	;; [unrolled: 1-line block ×8, first 2 shown]
	v_ashrrev_i32_e32 v106, s4, v106
	v_ashrrev_i32_e32 v114, s4, v114
	;; [unrolled: 1-line block ×3, first 2 shown]
	v_and_b32_e32 v105, 0x3030303, v105
	v_and_b32_e32 v113, 0x3030303, v113
	;; [unrolled: 1-line block ×3, first 2 shown]
	v_dot4c_i32_i8 v133, v119, v1
	v_dot4c_i32_i8 v127, v104, v2
	;; [unrolled: 1-line block ×3, first 2 shown]
	v_and_b32_e32 v98, 0x3030303, v98
	v_dot4c_i32_i8 v124, v97, v3
	v_dot4c_i32_i8 v125, v102, v90
	;; [unrolled: 1-line block ×8, first 2 shown]
	v_mul_lo_u32 v8, v147, v8
	v_ashrrev_i32_e32 v122, s4, v122
	v_and_b32_e32 v106, 0x3030303, v106
	v_and_b32_e32 v114, 0x3030303, v114
	;; [unrolled: 1-line block ×3, first 2 shown]
	v_dot4c_i32_i8 v133, v120, v2
	v_dot4c_i32_i8 v127, v105, v3
	;; [unrolled: 1-line block ×4, first 2 shown]
	v_mul_lo_u32 v87, v149, v125
	v_mul_lo_u32 v88, v151, v128
	v_mul_lo_u32 v89, v153, v131
	v_dot4c_i32_i8 v123, v156, v2
	v_dot4c_i32_i8 v126, v96, v2
	;; [unrolled: 1-line block ×4, first 2 shown]
	v_and_b32_e32 v140, 15, v140
	v_and_b32_e32 v141, 15, v141
	;; [unrolled: 1-line block ×3, first 2 shown]
	v_dot4c_i32_i8 v133, v121, v3
	v_dot4c_i32_i8 v127, v106, v4
	;; [unrolled: 1-line block ×3, first 2 shown]
	v_mad_u64_u32 v[90:91], null, v95, v124, v[8:9]
	v_dot4c_i32_i8 v123, v156, v3
	v_dot4c_i32_i8 v126, v96, v3
	;; [unrolled: 1-line block ×4, first 2 shown]
	v_and_b32_e32 v134, 15, v134
	v_dot4c_i32_i8 v133, v122, v4
	v_mad_u64_u32 v[91:92], null, v140, v127, v[87:88]
	v_mad_u64_u32 v[87:88], null, v141, v130, v[88:89]
	v_dot4c_i32_i8 v123, v156, v4
	v_dot4c_i32_i8 v126, v96, v4
	;; [unrolled: 1-line block ×4, first 2 shown]
	v_mad_u64_u32 v[1:2], null, v134, v133, v[89:90]
	v_cvt_f32_f16_sdwa v142, v138 dst_sel:DWORD dst_unused:UNUSED_PAD src0_sel:WORD_1
	v_cvt_f32_f16_sdwa v143, v135 dst_sel:DWORD dst_unused:UNUSED_PAD src0_sel:WORD_1
	;; [unrolled: 1-line block ×4, first 2 shown]
	v_cvt_f32_i32_e32 v4, v87
	v_cvt_f32_i32_e32 v8, v123
	;; [unrolled: 1-line block ×8, first 2 shown]
	v_mul_f32_e32 v8, v142, v8
	v_mul_f32_e32 v87, v143, v87
	;; [unrolled: 1-line block ×4, first 2 shown]
	v_add_nc_u32_e32 v6, 4, v6
	v_fma_mix_f32 v2, v138, v2, -v8 op_sel_hi:[1,0,0]
	v_fma_mix_f32 v3, v135, v3, -v87 op_sel_hi:[1,0,0]
	;; [unrolled: 1-line block ×4, first 2 shown]
	v_add_nc_u32_e32 v5, 32, v5
	v_fmac_f32_e32 v29, v7, v2
	v_fmac_f32_e32 v61, v7, v3
	;; [unrolled: 1-line block ×4, first 2 shown]
	s_add_i32 s4, s1, 2
	s_cmp_lt_u32 s1, 30
	s_mov_b32 s1, s4
	s_cbranch_scc1 .LBB228_35
; %bb.36:                               ;   in Loop: Header=BB228_5 Depth=1
	s_barrier
	buffer_gl0_inv
	s_branch .LBB228_4
.LBB228_37:
	s_mul_i32 s0, s14, s11
	s_waitcnt vmcnt(0)
	v_cmp_gt_i32_e32 vcc_lo, s0, v28
	s_and_saveexec_b32 s0, vcc_lo
	s_cbranch_execz .LBB228_46
; %bb.38:
	v_add_nc_u32_e32 v1, s6, v0
	v_mul_lo_u32 v0, v28, s13
	s_mov_b32 s0, exec_lo
	v_cmpx_gt_u32_e64 s13, v1
	s_cbranch_execz .LBB228_40
; %bb.39:
	v_add_nc_u32_e32 v2, v0, v1
	v_mov_b32_e32 v3, 0
	v_bfe_u32 v4, v29, 16, 1
	v_cmp_o_f32_e32 vcc_lo, v29, v29
	v_mov_b32_e32 v5, 0x7fc0
	v_lshlrev_b64 v[2:3], 1, v[2:3]
	v_add3_u32 v4, v29, v4, 0x7fff
	v_cndmask_b32_sdwa v4, v5, v4, vcc_lo dst_sel:DWORD dst_unused:UNUSED_PAD src0_sel:DWORD src1_sel:WORD_1
	v_add_co_u32 v2, vcc_lo, s16, v2
	v_add_co_ci_u32_e64 v3, null, s17, v3, vcc_lo
	global_store_short v[2:3], v4, off
.LBB228_40:
	s_or_b32 exec_lo, exec_lo, s0
	v_add_nc_u32_e32 v2, 32, v1
	s_mov_b32 s0, exec_lo
	v_cmpx_gt_u32_e64 s13, v2
	s_cbranch_execz .LBB228_42
; %bb.41:
	v_add_nc_u32_e32 v2, v0, v2
	v_mov_b32_e32 v3, 0
	v_bfe_u32 v4, v61, 16, 1
	v_cmp_o_f32_e32 vcc_lo, v61, v61
	v_mov_b32_e32 v5, 0x7fc0
	v_lshlrev_b64 v[2:3], 1, v[2:3]
	v_add3_u32 v4, v61, v4, 0x7fff
	v_cndmask_b32_sdwa v4, v5, v4, vcc_lo dst_sel:DWORD dst_unused:UNUSED_PAD src0_sel:DWORD src1_sel:WORD_1
	v_add_co_u32 v2, vcc_lo, s16, v2
	v_add_co_ci_u32_e64 v3, null, s17, v3, vcc_lo
	global_store_short v[2:3], v4, off
.LBB228_42:
	s_or_b32 exec_lo, exec_lo, s0
	v_add_nc_u32_e32 v2, 64, v1
	;; [unrolled: 18-line block ×3, first 2 shown]
	v_cmp_gt_u32_e32 vcc_lo, s13, v1
	s_and_b32 exec_lo, exec_lo, vcc_lo
	s_cbranch_execz .LBB228_46
; %bb.45:
	v_add_nc_u32_e32 v0, v0, v1
	v_mov_b32_e32 v1, 0
	v_bfe_u32 v2, v24, 16, 1
	v_cmp_o_f32_e32 vcc_lo, v24, v24
	v_mov_b32_e32 v3, 0x7fc0
	v_lshlrev_b64 v[0:1], 1, v[0:1]
	v_add3_u32 v2, v24, v2, 0x7fff
	v_cndmask_b32_sdwa v2, v3, v2, vcc_lo dst_sel:DWORD dst_unused:UNUSED_PAD src0_sel:DWORD src1_sel:WORD_1
	v_add_co_u32 v0, vcc_lo, s16, v0
	v_add_co_ci_u32_e64 v1, null, s17, v1, vcc_lo
	global_store_short v[0:1], v2, off
.LBB228_46:
	s_endpgm
	.section	.rodata,"a",@progbits
	.p2align	6, 0x0
	.amdhsa_kernel _ZL8moe_q2_KIN3c108BFloat16ELb1EEvPKvS3_PT_PKiS7_S7_iiiiiii
		.amdhsa_group_segment_fixed_size 23328
		.amdhsa_private_segment_fixed_size 0
		.amdhsa_kernarg_size 76
		.amdhsa_user_sgpr_count 6
		.amdhsa_user_sgpr_private_segment_buffer 1
		.amdhsa_user_sgpr_dispatch_ptr 0
		.amdhsa_user_sgpr_queue_ptr 0
		.amdhsa_user_sgpr_kernarg_segment_ptr 1
		.amdhsa_user_sgpr_dispatch_id 0
		.amdhsa_user_sgpr_flat_scratch_init 0
		.amdhsa_user_sgpr_private_segment_size 0
		.amdhsa_wavefront_size32 1
		.amdhsa_uses_dynamic_stack 0
		.amdhsa_system_sgpr_private_segment_wavefront_offset 0
		.amdhsa_system_sgpr_workgroup_id_x 1
		.amdhsa_system_sgpr_workgroup_id_y 1
		.amdhsa_system_sgpr_workgroup_id_z 0
		.amdhsa_system_sgpr_workgroup_info 0
		.amdhsa_system_vgpr_workitem_id 1
		.amdhsa_next_free_vgpr 159
		.amdhsa_next_free_sgpr 23
		.amdhsa_reserve_vcc 1
		.amdhsa_reserve_flat_scratch 0
		.amdhsa_float_round_mode_32 0
		.amdhsa_float_round_mode_16_64 0
		.amdhsa_float_denorm_mode_32 3
		.amdhsa_float_denorm_mode_16_64 3
		.amdhsa_dx10_clamp 1
		.amdhsa_ieee_mode 1
		.amdhsa_fp16_overflow 0
		.amdhsa_workgroup_processor_mode 1
		.amdhsa_memory_ordered 1
		.amdhsa_forward_progress 1
		.amdhsa_shared_vgpr_count 0
		.amdhsa_exception_fp_ieee_invalid_op 0
		.amdhsa_exception_fp_denorm_src 0
		.amdhsa_exception_fp_ieee_div_zero 0
		.amdhsa_exception_fp_ieee_overflow 0
		.amdhsa_exception_fp_ieee_underflow 0
		.amdhsa_exception_fp_ieee_inexact 0
		.amdhsa_exception_int_div_zero 0
	.end_amdhsa_kernel
	.section	.text._ZL8moe_q2_KIN3c108BFloat16ELb1EEvPKvS3_PT_PKiS7_S7_iiiiiii,"axG",@progbits,_ZL8moe_q2_KIN3c108BFloat16ELb1EEvPKvS3_PT_PKiS7_S7_iiiiiii,comdat
.Lfunc_end228:
	.size	_ZL8moe_q2_KIN3c108BFloat16ELb1EEvPKvS3_PT_PKiS7_S7_iiiiiii, .Lfunc_end228-_ZL8moe_q2_KIN3c108BFloat16ELb1EEvPKvS3_PT_PKiS7_S7_iiiiiii
                                        ; -- End function
	.set _ZL8moe_q2_KIN3c108BFloat16ELb1EEvPKvS3_PT_PKiS7_S7_iiiiiii.num_vgpr, 159
	.set _ZL8moe_q2_KIN3c108BFloat16ELb1EEvPKvS3_PT_PKiS7_S7_iiiiiii.num_agpr, 0
	.set _ZL8moe_q2_KIN3c108BFloat16ELb1EEvPKvS3_PT_PKiS7_S7_iiiiiii.numbered_sgpr, 23
	.set _ZL8moe_q2_KIN3c108BFloat16ELb1EEvPKvS3_PT_PKiS7_S7_iiiiiii.num_named_barrier, 0
	.set _ZL8moe_q2_KIN3c108BFloat16ELb1EEvPKvS3_PT_PKiS7_S7_iiiiiii.private_seg_size, 0
	.set _ZL8moe_q2_KIN3c108BFloat16ELb1EEvPKvS3_PT_PKiS7_S7_iiiiiii.uses_vcc, 1
	.set _ZL8moe_q2_KIN3c108BFloat16ELb1EEvPKvS3_PT_PKiS7_S7_iiiiiii.uses_flat_scratch, 0
	.set _ZL8moe_q2_KIN3c108BFloat16ELb1EEvPKvS3_PT_PKiS7_S7_iiiiiii.has_dyn_sized_stack, 0
	.set _ZL8moe_q2_KIN3c108BFloat16ELb1EEvPKvS3_PT_PKiS7_S7_iiiiiii.has_recursion, 0
	.set _ZL8moe_q2_KIN3c108BFloat16ELb1EEvPKvS3_PT_PKiS7_S7_iiiiiii.has_indirect_call, 0
	.section	.AMDGPU.csdata,"",@progbits
; Kernel info:
; codeLenInByte = 9980
; TotalNumSgprs: 25
; NumVgprs: 159
; ScratchSize: 0
; MemoryBound: 0
; FloatMode: 240
; IeeeMode: 1
; LDSByteSize: 23328 bytes/workgroup (compile time only)
; SGPRBlocks: 0
; VGPRBlocks: 19
; NumSGPRsForWavesPerEU: 25
; NumVGPRsForWavesPerEU: 159
; Occupancy: 6
; WaveLimiterHint : 1
; COMPUTE_PGM_RSRC2:SCRATCH_EN: 0
; COMPUTE_PGM_RSRC2:USER_SGPR: 6
; COMPUTE_PGM_RSRC2:TRAP_HANDLER: 0
; COMPUTE_PGM_RSRC2:TGID_X_EN: 1
; COMPUTE_PGM_RSRC2:TGID_Y_EN: 1
; COMPUTE_PGM_RSRC2:TGID_Z_EN: 0
; COMPUTE_PGM_RSRC2:TIDIG_COMP_CNT: 1
	.section	.text._ZL8moe_q3_KIN3c108BFloat16ELb0EEvPKvS3_PT_PKiS7_S7_iiiiiii,"axG",@progbits,_ZL8moe_q3_KIN3c108BFloat16ELb0EEvPKvS3_PT_PKiS7_S7_iiiiiii,comdat
	.globl	_ZL8moe_q3_KIN3c108BFloat16ELb0EEvPKvS3_PT_PKiS7_S7_iiiiiii ; -- Begin function _ZL8moe_q3_KIN3c108BFloat16ELb0EEvPKvS3_PT_PKiS7_S7_iiiiiii
	.p2align	8
	.type	_ZL8moe_q3_KIN3c108BFloat16ELb0EEvPKvS3_PT_PKiS7_S7_iiiiiii,@function
_ZL8moe_q3_KIN3c108BFloat16ELb0EEvPKvS3_PT_PKiS7_S7_iiiiiii: ; @_ZL8moe_q3_KIN3c108BFloat16ELb0EEvPKvS3_PT_PKiS7_S7_iiiiiii
; %bb.0:
	s_load_dwordx4 s[0:3], s[4:5], 0x18
	s_mov_b32 s8, s7
	s_mov_b32 s9, 0
	s_lshl_b64 s[10:11], s[8:9], 2
	s_waitcnt lgkmcnt(0)
	s_add_u32 s2, s2, s10
	s_addc_u32 s3, s3, s11
	s_load_dword s7, s[2:3], 0x0
	s_waitcnt lgkmcnt(0)
	s_cmpk_gt_u32 s7, 0xff
	s_cbranch_scc1 .LBB229_46
; %bb.1:
	s_load_dwordx2 s[2:3], s[4:5], 0x28
	s_waitcnt lgkmcnt(0)
	s_load_dword s3, s[2:3], 0x0
	s_lshl_b32 s2, s8, 3
	s_waitcnt lgkmcnt(0)
	s_cmp_gt_u32 s2, s3
	s_cbranch_scc1 .LBB229_46
; %bb.2:
	v_add_nc_u32_e32 v2, s2, v1
	v_mov_b32_e32 v3, 0
	s_lshl_b32 s6, s6, 7
	v_lshlrev_b64 v[4:5], 2, v[2:3]
	v_mov_b32_e32 v82, v3
	v_mov_b32_e32 v85, v3
	;; [unrolled: 1-line block ×3, first 2 shown]
	v_add_co_u32 v4, vcc_lo, s0, v4
	v_add_co_ci_u32_e64 v5, null, s1, v5, vcc_lo
	global_load_dword v22, v[4:5], off
	s_clause 0x2
	s_load_dwordx2 s[14:15], s[4:5], 0x30
	s_load_dwordx2 s[12:13], s[4:5], 0x10
	s_load_dwordx4 s[8:11], s[4:5], 0x3c
	s_waitcnt lgkmcnt(0)
	s_cmpk_lt_i32 s15, 0x100
	s_cbranch_scc1 .LBB229_37
; %bb.3:
	s_load_dwordx4 s[0:3], s[4:5], 0x0
	s_ashr_i32 s4, s15, 31
	s_ashr_i32 s5, s9, 31
	s_lshr_b32 s4, s4, 24
	s_lshr_b32 s5, s5, 27
	s_add_i32 s4, s15, s4
	s_mul_i32 s14, s7, s14
	s_ashr_i32 s7, s4, 8
	s_add_i32 s4, s9, s5
	s_mul_i32 s5, s7, s6
	s_ashr_i32 s16, s14, 31
	s_ashr_i32 s9, s4, 5
	s_mul_hi_i32 s4, s5, 0x6e
	s_mulk_i32 s5, 0x6e
	v_lshrrev_b32_e32 v24, 4, v0
	v_and_b32_e32 v2, 15, v0
	v_lshlrev_b32_e32 v4, 4, v1
	v_lshrrev_b32_e32 v5, 1, v0
	v_lshlrev_b32_e32 v6, 1, v1
	v_and_b32_e32 v25, 1, v0
	s_waitcnt lgkmcnt(0)
	s_add_u32 s0, s0, s14
	s_addc_u32 s1, s1, s16
	s_add_u32 s14, s0, s5
	s_addc_u32 s16, s1, s4
	s_lshl_b32 s0, s7, 3
	v_lshlrev_b32_e32 v28, 2, v2
	v_mad_i32_i24 v26, s7, v1, s0
	v_add_nc_u32_e32 v9, v5, v4
	v_add_nc_u32_e32 v11, v24, v6
	v_cmp_lt_u32_e32 vcc_lo, 7, v2
	v_add_nc_u16 v2, v24, v6
	v_add_nc_u32_e32 v27, s0, v26
	v_mov_b32_e32 v8, 2
	v_lshlrev_b32_e32 v10, 2, v25
	v_and_b32_e32 v6, 0x7f, v9
	v_lshrrev_b32_e32 v9, 2, v9
	v_add_nc_u32_e32 v30, s0, v27
	v_lshrrev_b16 v2, 1, v2
	v_add_nc_u32_e32 v13, 16, v11
	v_add_nc_u32_e32 v14, 32, v11
	;; [unrolled: 1-line block ×4, first 2 shown]
	v_mul_i32_i24_e32 v57, s7, v6
	v_lshl_or_b32 v6, v6, 3, v10
	v_and_b32_e32 v9, 28, v9
	v_lshlrev_b32_sdwa v2, v8, v2 dst_sel:DWORD dst_unused:UNUSED_PAD src0_sel:DWORD src1_sel:WORD_0
	v_add_nc_u32_e32 v37, s0, v33
	v_lshlrev_b32_e32 v10, 1, v13
	v_add_nc_u32_e32 v16, 64, v11
	v_lshlrev_b32_e32 v17, 1, v14
	v_lshlrev_b32_e32 v18, 1, v15
	v_add_nc_u32_e32 v42, s0, v37
	v_add3_u32 v60, v6, v9, 0x7380
	v_add3_u32 v6, v2, v28, 0x4200
	v_and_b32_e32 v2, 0xffc, v10
	v_and_b32_e32 v9, 0xffc, v17
	v_add_nc_u32_e32 v47, s0, v42
	v_and_b32_e32 v10, 0xffc, v18
	v_add_nc_u32_e32 v18, 0x50, v11
	v_add3_u32 v17, v2, v28, 0x4200
	v_lshlrev_b32_e32 v2, 1, v16
	v_add_nc_u32_e32 v52, s0, v47
	s_abs_i32 s4, s11
	v_lshlrev_b32_e32 v19, 1, v18
	s_lshl_b32 s1, s7, 4
	v_and_b32_e32 v2, 0xffc, v2
	v_add_nc_u32_e32 v55, s0, v52
	v_mul_i32_i24_e32 v54, s7, v11
	v_lshlrev_b32_e32 v12, 6, v11
	v_mad_i32_i24 v62, s7, v11, s1
	v_add3_u32 v21, v2, v28, 0x4200
	v_and_b32_e32 v2, 0xffc, v19
	v_add_nc_u32_e32 v56, s0, v55
	v_add_nc_u32_e32 v20, 0x60, v11
	v_add_nc_u32_e32 v11, 0x70, v11
	v_and_b32_e32 v7, 7, v0
	v_add3_u32 v82, v2, v28, 0x4200
	v_cvt_f32_u32_e32 v2, s4
	v_add_nc_u32_e32 v58, s0, v56
	v_lshlrev_b32_e32 v70, 1, v11
	v_cndmask_b32_e64 v31, 0, 1, vcc_lo
	v_and_b32_e32 v75, 3, v0
	v_rcp_iflag_f32_e32 v2, v2
	v_add_nc_u32_e32 v59, s0, v58
	v_and_b32_e32 v72, 0xffc, v70
	v_cmp_lt_u32_e32 vcc_lo, 3, v7
	v_lshrrev_b32_e32 v70, 3, v0
	v_add_nc_u16 v73, v75, -2
	v_add_nc_u32_e32 v61, s0, v59
	v_add3_u32 v85, v72, v28, 0x4200
	v_cndmask_b32_e64 v72, 0, 1, vcc_lo
	v_cmp_gt_u32_e32 vcc_lo, 2, v75
	v_mul_f32_e32 v2, 0x4f7ffffe, v2
	v_add_nc_u32_e32 v63, s0, v61
	v_lshlrev_b32_e32 v32, 2, v7
	v_lshl_add_u32 v78, v1, 2, v70
	v_cndmask_b32_e32 v7, v73, v75, vcc_lo
	v_cvt_u32_f32_e32 v2, v2
	v_add_nc_u32_e32 v65, s0, v63
	s_sub_i32 s0, 0, s4
	s_waitcnt vmcnt(0)
	v_sub_nc_u32_e32 v81, 0, v22
	v_lshlrev_b32_sdwa v74, v8, v7 dst_sel:DWORD dst_unused:UNUSED_PAD src0_sel:DWORD src1_sel:BYTE_0
	v_mul_lo_u32 v79, s0, v2
	v_add_nc_u32_e32 v7, 32, v78
	v_add_nc_u32_e32 v84, 0x60, v78
	v_max_i32_e32 v86, v22, v81
	v_lshlrev_b32_e32 v3, 2, v0
	v_and_b32_e32 v77, 0x7fc, v78
	v_and_b32_e32 v80, 0xffc, v7
	v_mul_i32_i24_e32 v34, s7, v1
	v_mul_hi_u32 v79, v2, v79
	v_mad_u32_u24 v29, 0x84, v1, v3
	s_lshl_b32 s0, s7, 5
	v_add3_u32 v109, v80, v32, 0x6300
	v_and_b32_e32 v80, 0xffc, v84
	v_add3_u32 v8, v77, v32, 0x6300
	v_mad_i32_i24 v77, s7, v78, s0
	v_add_nc_u32_e32 v83, 64, v78
	v_add_nc_u32_e32 v2, v2, v79
	v_add3_u32 v112, v80, v32, 0x6300
	v_lshl_add_u32 v80, v1, 7, 0x77a0
	v_mul_i32_i24_e32 v76, s7, v78
	v_lshlrev_b32_e32 v108, 5, v78
	v_mul_hi_u32 v2, v86, v2
	v_and_b32_e32 v79, 0xffc, v83
	v_add_nc_u32_e32 v78, s0, v77
	v_add_nc_u32_e32 v64, s1, v62
	v_lshlrev_b32_e32 v19, 1, v20
	v_add_nc_u32_e32 v91, 32, v0
	v_add3_u32 v110, v79, v32, 0x6300
	v_add_nc_u32_e32 v79, s0, v78
	v_mul_lo_u32 v1, v2, s4
	v_add_nc_u32_e32 v66, s1, v64
	v_add_nc_u32_e32 v92, 64, v0
	;; [unrolled: 1-line block ×3, first 2 shown]
	v_and_b32_e32 v19, 0xffc, v19
	v_add_nc_u32_e32 v81, 0x7ba0, v4
	v_add_nc_u32_e32 v67, s1, v66
	v_lshlrev_b32_e32 v94, 5, v0
	v_sub_nc_u32_e32 v1, v86, v1
	v_add_nc_u32_e32 v86, 1, v2
	v_lshlrev_b32_e32 v120, 4, v92
	v_add_nc_u32_e32 v68, s1, v67
	v_lshrrev_b32_e32 v119, 1, v92
	v_subrev_nc_u32_e32 v87, s4, v1
	v_cmp_le_u32_e64 s0, s4, v1
	v_lshlrev_b32_e32 v122, 1, v92
	v_lshrrev_b32_e32 v121, 4, v92
	v_lshlrev_b32_e32 v124, 4, v93
	v_lshrrev_b32_e32 v123, 1, v93
	v_cndmask_b32_e64 v2, v2, v86, s0
	v_cndmask_b32_e64 v1, v1, v87, s0
	v_xor_b32_e32 v86, s11, v22
	v_lshlrev_b32_e32 v127, 1, v93
	v_lshrrev_b32_e32 v126, 4, v93
	v_add_nc_u32_e32 v87, 1, v2
	v_cmp_le_u32_e64 s0, s4, v1
	v_ashrrev_i32_e32 v86, 31, v86
	v_lshrrev_b32_e32 v88, 3, v93
	v_and_b32_e32 v93, 0x1fc, v93
	v_and_b32_e32 v95, 0x1fc, v91
	v_cndmask_b32_e64 v1, v2, v87, s0
	v_lshrrev_b32_e32 v87, 3, v92
	v_and_b32_e32 v92, 0x1fc, v92
	v_and_b32_e32 v96, 0xfc, v0
	v_add_nc_u32_e32 v69, s1, v68
	v_xor_b32_e32 v1, v1, v86
	v_and_b32_e32 v90, 28, v3
	v_lshlrev_b32_e32 v13, 6, v13
	v_add3_u32 v9, v9, v28, 0x4200
	v_lshlrev_b32_e32 v14, 6, v14
	v_sub_nc_u32_e32 v1, v1, v86
	v_add3_u32 v10, v10, v28, 0x4200
	v_lshlrev_b32_e32 v15, 6, v15
	v_lshlrev_b32_e32 v16, 6, v16
	;; [unrolled: 1-line block ×3, first 2 shown]
	v_mul_lo_u32 v89, v1, s9
	v_add3_u32 v19, v19, v28, 0x4200
	v_lshlrev_b32_e32 v20, 6, v20
	v_lshlrev_b32_e32 v11, 6, v11
	;; [unrolled: 1-line block ×5, first 2 shown]
	v_and_b32_e32 v83, 31, v0
	v_lshlrev_b32_e32 v4, 5, v84
	v_add_nc_u32_e32 v84, v81, v3
	v_mul_u32_u24_e32 v3, 33, v0
	v_lshlrev_b32_e32 v113, 4, v0
	v_lshlrev_b32_e32 v116, 4, v91
	v_lshrrev_b32_e32 v115, 1, v91
	v_lshlrev_b32_e32 v118, 1, v91
	v_lshrrev_b32_e32 v117, 4, v91
	v_lshrrev_b32_e32 v86, 3, v91
	v_add_nc_u32_e32 v91, v94, v93
	v_add_nc_u32_e32 v92, v94, v92
	;; [unrolled: 1-line block ×5, first 2 shown]
	v_cmp_gt_u32_e32 vcc_lo, 4, v0
	v_cmp_gt_i32_e64 s0, s8, v1
	v_add_co_u32 v1, s1, s2, v90
	v_mov_b32_e32 v23, 0
	v_add_nc_u32_e32 v35, 0x420, v29
	v_add_nc_u32_e32 v36, 0x840, v29
	;; [unrolled: 1-line block ×15, first 2 shown]
	v_and_b32_e32 v73, 4, v114
	v_lshlrev_b32_e32 v75, 1, v75
	v_lshl_add_u32 v83, v83, 2, v80
	v_add_co_ci_u32_e64 v2, null, s3, 0, s1
	v_lshlrev_b32_e32 v90, 2, v3
	v_ashrrev_i32_e32 v95, 31, v89
	v_add_nc_u32_e32 v96, 0x6f00, v91
	v_add_nc_u32_e32 v97, 0x6b00, v92
	;; [unrolled: 1-line block ×16, first 2 shown]
	v_lshlrev_b32_e32 v112, 2, v5
	v_lshlrev_b32_e32 v113, 2, v113
	;; [unrolled: 1-line block ×16, first 2 shown]
	v_mov_b32_e32 v85, 0
	v_mov_b32_e32 v82, 0
	v_mov_b32_e32 v3, 0
	s_mov_b32 s17, 0
	s_and_b32 s18, vcc_lo, s0
	s_branch .LBB229_5
.LBB229_4:                              ;   in Loop: Header=BB229_5 Depth=1
	s_add_i32 s17, s17, 2
	s_cmp_ge_i32 s17, s7
	s_cbranch_scc1 .LBB229_37
.LBB229_5:                              ; =>This Loop Header: Depth=1
                                        ;     Child Loop BB229_11 Depth 2
                                        ;     Child Loop BB229_19 Depth 2
	;; [unrolled: 1-line block ×4, first 2 shown]
	s_mul_i32 s1, s17, 0x6e
	s_mul_hi_u32 s5, s17, 0x6e
	s_add_u32 s4, s14, s1
	s_addc_u32 s5, s16, s5
	v_mad_u64_u32 v[4:5], null, 0x6e, v24, s[4:5]
	v_mad_u64_u32 v[6:7], null, 0x6e, v34, v[4:5]
	;; [unrolled: 1-line block ×5, first 2 shown]
	v_add_co_u32 v6, s1, v6, v28
	v_mad_u64_u32 v[14:15], null, 0x6e, v33, v[4:5]
	v_add_co_ci_u32_e64 v7, null, 0, v7, s1
	v_add_co_u32 v8, s1, v8, v28
	v_mad_u64_u32 v[16:17], null, 0x6e, v37, v[4:5]
	v_add_co_ci_u32_e64 v9, null, 0, v9, s1
	;; [unrolled: 3-line block ×4, first 2 shown]
	v_add_co_u32 v14, s1, v14, v28
	v_add_co_ci_u32_e64 v15, null, 0, v15, s1
	v_add_co_u32 v16, s1, v16, v28
	v_add_co_ci_u32_e64 v17, null, 0, v17, s1
	v_add_co_u32 v18, s1, v18, v28
	v_add_co_ci_u32_e64 v19, null, 0, v19, s1
	v_add_co_u32 v20, s1, v20, v28
	v_mad_u64_u32 v[128:129], null, 0x6e, v52, v[4:5]
	v_add_co_ci_u32_e64 v21, null, 0, v21, s1
	s_clause 0x7
	global_load_dword v132, v[6:7], off offset:32
	global_load_dword v133, v[8:9], off offset:32
	;; [unrolled: 1-line block ×8, first 2 shown]
	v_mad_u64_u32 v[6:7], null, 0x6e, v55, v[4:5]
	v_mad_u64_u32 v[10:11], null, 0x6e, v56, v[4:5]
	;; [unrolled: 1-line block ×3, first 2 shown]
	v_add_co_u32 v8, s1, v128, v28
	v_mad_u64_u32 v[14:15], null, 0x6e, v59, v[4:5]
	v_add_co_ci_u32_e64 v9, null, 0, v129, s1
	v_add_co_u32 v6, s1, v6, v28
	v_mad_u64_u32 v[16:17], null, 0x6e, v61, v[4:5]
	v_add_co_ci_u32_e64 v7, null, 0, v7, s1
	;; [unrolled: 3-line block ×5, first 2 shown]
	v_add_co_u32 v16, s1, v16, v28
	v_add_co_ci_u32_e64 v17, null, 0, v17, s1
	v_add_co_u32 v18, s1, v18, v28
	v_add_co_ci_u32_e64 v19, null, 0, v19, s1
	v_add_co_u32 v4, s1, v4, v28
	v_mad_u64_u32 v[128:129], null, 0x6e, v57, s[4:5]
	v_add_co_ci_u32_e64 v5, null, 0, v5, s1
	v_add_co_u32 v20, s1, v20, v32
	v_add_co_ci_u32_e64 v21, null, 0, v21, s1
	s_clause 0x7
	global_load_dword v140, v[8:9], off offset:32
	global_load_dword v141, v[6:7], off offset:32
	;; [unrolled: 1-line block ×8, first 2 shown]
	v_mad_u64_u32 v[14:15], null, 0x6e, v72, s[4:5]
	v_mad_u64_u32 v[4:5], null, 0x6e, v25, v[128:129]
	;; [unrolled: 1-line block ×10, first 2 shown]
	s_clause 0x7
	global_load_ushort v148, v[4:5], off offset:108
	global_load_dword v149, v[6:7], off
	global_load_dword v150, v[8:9], off
	;; [unrolled: 1-line block ×7, first 2 shown]
	v_mad_u64_u32 v[6:7], null, 0x6e, v77, v[14:15]
	v_mad_u64_u32 v[10:11], null, 0x6e, v78, v[14:15]
	;; [unrolled: 1-line block ×4, first 2 shown]
	v_add_co_u32 v8, s1, v130, v74
	v_add_co_ci_u32_e64 v9, null, 0, v131, s1
	v_add_co_u32 v14, s1, v6, v74
	v_add_co_ci_u32_e64 v15, null, 0, v7, s1
	;; [unrolled: 2-line block ×4, first 2 shown]
	s_clause 0x8
	global_load_dword v4, v[4:5], off
	global_load_dword v5, v[8:9], off offset:96
	global_load_dword v8, v[12:13], off offset:104
	global_load_dword v9, v[10:11], off offset:104
	global_load_dword v6, v[6:7], off offset:104
	global_load_dword v7, v[130:131], off offset:104
	global_load_dword v10, v[14:15], off offset:96
	global_load_dword v11, v[16:17], off offset:96
	global_load_dword v12, v[18:19], off offset:96
	s_lshl_b32 s4, s17, 8
	s_cmp_lt_i32 s4, s15
	s_waitcnt vmcnt(16)
	v_cvt_f32_f16_e32 v13, v148
	ds_write_b32 v29, v132
	ds_write_b32 v35, v133
	;; [unrolled: 1-line block ×17, first 2 shown]
	s_waitcnt vmcnt(15)
	v_not_b32_e32 v13, v149
	s_waitcnt vmcnt(14)
	v_not_b32_e32 v14, v150
	;; [unrolled: 2-line block ×6, first 2 shown]
	ds_write_b32 v100, v13
	ds_write_b32 v101, v14
	;; [unrolled: 1-line block ×5, first 2 shown]
	s_waitcnt vmcnt(9)
	v_not_b32_e32 v19, v128
	ds_write_b32 v105, v18
	ds_write_b32 v106, v19
	s_waitcnt vmcnt(8)
	v_not_b32_e32 v4, v4
	s_waitcnt vmcnt(7)
	v_ashrrev_i32_e32 v5, v73, v5
	s_waitcnt vmcnt(6)
	v_ashrrev_i32_e32 v8, v75, v8
	;; [unrolled: 2-line block ×8, first 2 shown]
	v_and_b32_e32 v5, 0xf0f0f0f, v5
	v_lshlrev_b32_e32 v7, 4, v7
	v_and_b32_e32 v10, 0xf0f0f0f, v10
	v_lshlrev_b32_e32 v6, 4, v6
	;; [unrolled: 2-line block ×4, first 2 shown]
	v_and_or_b32 v5, 0x30303030, v7, v5
	v_and_or_b32 v6, 0x30303030, v6, v10
	;; [unrolled: 1-line block ×4, first 2 shown]
	v_lshrrev_b32_e32 v9, 16, v5
	v_and_b32_e32 v10, 0x3f00, v5
	v_lshlrev_b16 v5, 8, v5
	v_lshrrev_b32_e32 v11, 16, v6
	v_lshrrev_b32_e32 v13, 16, v7
	v_and_b32_e32 v12, 0x3f00, v6
	v_lshlrev_b16 v6, 8, v6
	v_lshrrev_b32_e32 v15, 16, v8
	v_and_b32_e32 v17, 0x3f00, v9
	v_lshlrev_b16 v9, 8, v9
	v_add_nc_u16 v5, 0xe000, v5
	v_and_b32_e32 v18, 0x3f00, v11
	v_lshlrev_b16 v11, 8, v11
	v_and_b32_e32 v20, 0x3f00, v13
	v_lshlrev_b16 v13, 8, v13
	v_add_nc_u16 v6, 0xe000, v6
	v_and_b32_e32 v21, 0x3f00, v15
	v_lshlrev_b16 v15, 8, v15
	v_add_nc_u16 v9, 0xe000, v9
	v_or_b32_sdwa v5, v10, v5 dst_sel:DWORD dst_unused:UNUSED_PAD src0_sel:DWORD src1_sel:BYTE_1
	v_add_nc_u16 v10, 0xe000, v11
	v_and_b32_e32 v14, 0x3f00, v7
	v_lshlrev_b16 v7, 8, v7
	v_add_nc_u16 v11, 0xe000, v13
	v_and_b32_e32 v16, 0x3f00, v8
	v_lshlrev_b16 v8, 8, v8
	v_or_b32_sdwa v6, v12, v6 dst_sel:DWORD dst_unused:UNUSED_PAD src0_sel:DWORD src1_sel:BYTE_1
	v_add_nc_u16 v12, 0xe000, v15
	v_or_b32_sdwa v9, v17, v9 dst_sel:DWORD dst_unused:UNUSED_PAD src0_sel:DWORD src1_sel:BYTE_1
	v_or_b32_sdwa v10, v18, v10 dst_sel:DWORD dst_unused:UNUSED_PAD src0_sel:DWORD src1_sel:BYTE_1
	v_add_nc_u16 v7, 0xe000, v7
	v_or_b32_sdwa v11, v20, v11 dst_sel:DWORD dst_unused:UNUSED_PAD src0_sel:DWORD src1_sel:BYTE_1
	v_add_nc_u16 v8, 0xe000, v8
	;; [unrolled: 2-line block ×3, first 2 shown]
	v_add_nc_u16 v10, 0xe000, v10
	v_or_b32_sdwa v7, v14, v7 dst_sel:DWORD dst_unused:UNUSED_PAD src0_sel:DWORD src1_sel:BYTE_1
	v_add_nc_u16 v11, 0xe000, v11
	v_or_b32_sdwa v8, v16, v8 dst_sel:DWORD dst_unused:UNUSED_PAD src0_sel:DWORD src1_sel:BYTE_1
	v_add_nc_u16 v12, 0xe000, v12
	v_add_nc_u16 v5, 0xe000, v5
	v_lshlrev_b32_e32 v9, 16, v9
	v_add_nc_u16 v6, 0xe000, v6
	v_lshlrev_b32_e32 v10, 16, v10
	v_add_nc_u16 v7, 0xe000, v7
	v_lshlrev_b32_e32 v11, 16, v11
	v_add_nc_u16 v8, 0xe000, v8
	v_lshlrev_b32_e32 v12, 16, v12
	v_or_b32_sdwa v5, v5, v9 dst_sel:DWORD dst_unused:UNUSED_PAD src0_sel:WORD_0 src1_sel:DWORD
	v_or_b32_sdwa v6, v6, v10 dst_sel:DWORD dst_unused:UNUSED_PAD src0_sel:WORD_0 src1_sel:DWORD
	;; [unrolled: 1-line block ×4, first 2 shown]
	ds_write_b32 v107, v4
	ds_write_b32 v108, v5
	;; [unrolled: 1-line block ×5, first 2 shown]
	s_cbranch_scc0 .LBB229_4
; %bb.6:                                ;   in Loop: Header=BB229_5 Depth=1
	s_lshl_b32 s5, s17, 3
	v_add_nc_u32_e32 v4, s5, v70
	v_cmp_gt_i32_e64 s1, s9, v4
	s_and_b32 s19, s0, s1
	s_and_saveexec_b32 s1, s19
	s_cbranch_execz .LBB229_8
; %bb.7:                                ;   in Loop: Header=BB229_5 Depth=1
	v_add_nc_u32_e32 v4, v89, v4
	v_mad_i64_i32 v[4:5], null, v4, 36, v[1:2]
	global_load_dword v4, v[4:5], off offset:4
	s_waitcnt vmcnt(0)
	ds_write_b32 v83, v4
.LBB229_8:                              ;   in Loop: Header=BB229_5 Depth=1
	s_or_b32 exec_lo, exec_lo, s1
	v_add_nc_u32_e32 v128, s5, v0
	v_cmp_gt_i32_e64 s1, s9, v128
	s_and_b32 s19, s18, s1
	s_and_saveexec_b32 s1, s19
	s_cbranch_execz .LBB229_10
; %bb.9:                                ;   in Loop: Header=BB229_5 Depth=1
	v_add_nc_u32_e32 v4, v89, v128
	v_mad_i64_i32 v[4:5], null, v4, 36, s[2:3]
	global_load_dword v4, v[4:5], off
	s_waitcnt vmcnt(0)
	v_cvt_f32_f16_e32 v4, v4
	ds_write_b32 v84, v4
.LBB229_10:                             ;   in Loop: Header=BB229_5 Depth=1
	s_or_b32 exec_lo, exec_lo, s1
	v_mov_b32_e32 v8, v81
	v_mov_b32_e32 v9, v80
	s_mov_b32 s21, -2
	s_mov_b32 s1, 0
	s_mov_b32 s19, 0
	s_waitcnt lgkmcnt(0)
	s_barrier
	buffer_gl0_inv
.LBB229_11:                             ;   Parent Loop BB229_5 Depth=1
                                        ; =>  This Inner Loop Header: Depth=2
	s_add_i32 s20, s21, 2
	s_and_b32 s24, s19, -16
	s_and_b32 s23, s20, 0x3ffffff8
	s_lshr_b32 s22, s20, 4
	v_lshl_add_u32 v10, s23, 2, v90
	s_lshl_b32 s23, s22, 5
	s_lshl_b32 s22, s22, 2
	s_addk_i32 s23, 0x4200
	s_addk_i32 s22, 0x7380
	v_add3_u32 v4, s23, v112, v113
	v_add3_u32 v11, s23, v115, v116
	;; [unrolled: 1-line block ×3, first 2 shown]
	ds_read2_b32 v[12:13], v10 offset1:1
	ds_read2_b32 v[14:15], v10 offset0:2 offset1:3
	ds_read2_b32 v[16:17], v10 offset0:4 offset1:5
	;; [unrolled: 1-line block ×3, first 2 shown]
	ds_read2_b32 v[146:147], v4 offset1:1
	ds_read2_b32 v[148:149], v4 offset0:2 offset1:3
	ds_read2_b32 v[150:151], v4 offset0:4 offset1:5
	;; [unrolled: 1-line block ×9, first 2 shown]
	s_add_i32 s21, s21, s24
	s_add_i32 s19, s19, 2
	s_waitcnt lgkmcnt(13)
	v_ashrrev_i32_e32 v142, s20, v12
	v_ashrrev_i32_e32 v140, s20, v13
	s_waitcnt lgkmcnt(12)
	v_ashrrev_i32_e32 v138, s20, v14
	v_ashrrev_i32_e32 v136, s20, v15
	s_waitcnt lgkmcnt(9)
	v_ashrrev_i32_e32 v144, s1, v146
	v_and_b32_e32 v183, 0x3030303, v142
	v_ashrrev_i32_e32 v143, s1, v147
	v_bfe_u32 v142, v142, 24, 2
	s_waitcnt lgkmcnt(8)
	v_ashrrev_i32_e32 v141, s1, v148
	v_lshlrev_b32_e32 v144, 2, v144
	v_lshrrev_b16 v184, 8, v183
	v_lshlrev_b32_e32 v143, 2, v143
	v_ashrrev_i32_e32 v139, s1, v149
	v_lshlrev_b32_e32 v141, 2, v141
	v_and_b32_e32 v144, 0x4040404, v144
	s_waitcnt lgkmcnt(7)
	v_ashrrev_i32_e32 v137, s1, v150
	v_and_b32_e32 v143, 0x4040404, v143
	v_lshlrev_b32_e32 v139, 2, v139
	v_and_b32_e32 v141, 0x4040404, v141
	v_lshrrev_b16 v185, 8, v144
	v_ashrrev_i32_e32 v134, s20, v16
	v_lshrrev_b16 v187, 8, v143
	v_and_b32_e32 v139, 0x4040404, v139
	v_lshrrev_b16 v189, 8, v141
	v_sub_nc_u16 v184, v184, v185
	v_lshrrev_b32_e32 v185, 24, v144
	v_lshlrev_b32_e32 v137, 2, v137
	v_lshrrev_b16 v191, 8, v139
	v_add3_u32 v12, s22, v125, v114
	ds_read2_b32 v[146:147], v11 offset1:1
	ds_read_b32 v11, v12
	v_sub_nc_u16 v142, v142, v185
	v_lshrrev_b32_e32 v185, 16, v183
	v_sub_nc_u16 v183, v183, v144
	v_lshrrev_b32_e32 v144, 16, v144
	v_and_b32_e32 v137, 0x4040404, v137
	v_ashrrev_i32_e32 v135, s1, v151
	v_ashrrev_i32_e32 v132, s20, v17
	v_add_nc_u32_e32 v12, 0x1080, v10
	v_sub_nc_u16 v144, v185, v144
	v_and_b32_e32 v185, 0x3030303, v140
	v_bfe_u32 v140, v140, 24, 2
	v_lshrrev_b16 v193, 8, v137
	v_lshlrev_b32_e32 v135, 2, v135
	ds_read2_b32 v[148:149], v12 offset1:1
	v_lshrrev_b16 v186, 8, v185
	v_add_nc_u32_e32 v12, 0x1088, v10
	s_waitcnt lgkmcnt(6)
	v_ashrrev_i32_e32 v129, s1, v158
	v_and_b32_e32 v135, 0x4040404, v135
	v_ashrrev_i32_e32 v20, s1, v159
	v_sub_nc_u16 v186, v186, v187
	v_lshrrev_b32_e32 v187, 24, v143
	s_waitcnt lgkmcnt(2)
	v_ashrrev_i32_e32 v158, s1, v146
	v_lshrrev_b16 v195, 8, v135
	v_ashrrev_i32_e32 v159, s1, v147
	ds_read2_b32 v[146:147], v12 offset1:1
	v_sub_nc_u16 v140, v140, v187
	v_lshrrev_b32_e32 v187, 16, v185
	v_sub_nc_u16 v185, v185, v143
	v_lshrrev_b32_e32 v143, 16, v143
	v_ashrrev_i32_e32 v133, s1, v152
	v_ashrrev_i32_e32 v130, s20, v18
	v_add_nc_u32_e32 v12, s21, v98
	v_ashrrev_i32_e32 v21, s20, v19
	v_sub_nc_u16 v143, v187, v143
	v_and_b32_e32 v187, 0x3030303, v138
	v_bfe_u32 v138, v138, 24, 2
	v_lshlrev_b32_e32 v133, 2, v133
	v_ashrrev_i32_e32 v19, s1, v160
	ds_read_u16 v15, v12 offset:2
	v_lshrrev_b16 v188, 8, v187
	v_add3_u32 v12, s22, v117, v118
	v_and_b32_e32 v133, 0x4040404, v133
	v_ashrrev_i32_e32 v14, s1, v156
	s_waitcnt lgkmcnt(2)
	v_ashrrev_i32_e32 v156, s20, v148
	v_sub_nc_u16 v188, v188, v189
	v_lshrrev_b32_e32 v189, 24, v141
	v_lshrrev_b16 v197, 8, v133
	s_waitcnt lgkmcnt(1)
	v_ashrrev_i32_e32 v160, s20, v146
	v_add_nc_u32_e32 v146, 0x1090, v10
	v_add_nc_u32_e32 v148, 0x1098, v10
	v_sub_nc_u16 v138, v138, v189
	v_lshrrev_b32_e32 v189, 16, v187
	v_sub_nc_u16 v187, v187, v141
	v_lshrrev_b32_e32 v141, 16, v141
	v_ashrrev_i32_e32 v131, s1, v153
	v_ashrrev_i32_e32 v18, s1, v161
	;; [unrolled: 1-line block ×4, first 2 shown]
	v_sub_nc_u16 v141, v189, v141
	v_and_b32_e32 v189, 0x3030303, v136
	v_bfe_u32 v136, v136, 24, 2
	v_ashrrev_i32_e32 v161, s20, v147
	ds_read_b32 v12, v12
	ds_read2_b32 v[146:147], v146 offset1:1
	ds_read2_b32 v[148:149], v148 offset1:1
	v_lshrrev_b16 v190, 8, v189
	v_lshlrev_b32_e32 v131, 2, v131
	v_ashrrev_i32_e32 v166, s1, v6
	v_add_nc_u32_e32 v6, 0x2100, v10
	v_ashrrev_i32_e32 v17, s1, v154
	v_sub_nc_u16 v190, v190, v191
	v_lshrrev_b32_e32 v191, 24, v139
	v_and_b32_e32 v131, 0x4040404, v131
	v_add3_u32 v154, s23, v119, v120
	v_ashrrev_i32_e32 v167, s1, v7
	v_lshlrev_b32_e32 v129, 2, v129
	v_sub_nc_u16 v136, v136, v191
	v_lshrrev_b32_e32 v191, 16, v189
	v_sub_nc_u16 v189, v189, v139
	v_lshrrev_b32_e32 v139, 16, v139
	v_lshrrev_b16 v199, 8, v131
	v_and_b32_e32 v129, 0x4040404, v129
	v_add_nc_u32_e32 v152, 0x2118, v10
	s_waitcnt lgkmcnt(1)
	v_ashrrev_i32_e32 v162, s20, v146
	v_sub_nc_u16 v139, v191, v139
	v_and_b32_e32 v191, 0x3030303, v134
	v_bfe_u32 v134, v134, 24, 2
	v_ashrrev_i32_e32 v163, s20, v147
	s_waitcnt lgkmcnt(0)
	v_ashrrev_i32_e32 v164, s20, v148
	v_ashrrev_i32_e32 v165, s20, v149
	v_lshrrev_b16 v192, 8, v191
	ds_read2_b32 v[6:7], v6 offset1:1
	ds_read2_b32 v[146:147], v154 offset1:1
	ds_read2_b32 v[148:149], v154 offset0:2 offset1:3
	ds_read2_b32 v[150:151], v154 offset0:4 offset1:5
	v_lshrrev_b16 v201, 8, v129
	v_ashrrev_i32_e32 v16, s1, v155
	v_lshlrev_b32_e32 v20, 2, v20
	v_sub_nc_u16 v192, v192, v193
	v_lshrrev_b32_e32 v193, 24, v137
	v_lshlrev_b32_e32 v19, 2, v19
	v_lshlrev_b32_e32 v18, 2, v18
	v_and_b32_e32 v20, 0x4040404, v20
	v_lshlrev_b32_e32 v17, 2, v17
	v_sub_nc_u16 v134, v134, v193
	v_lshrrev_b32_e32 v193, 16, v191
	v_sub_nc_u16 v191, v191, v137
	v_lshrrev_b32_e32 v137, 16, v137
	v_lshrrev_b16 v203, 8, v20
	v_and_b32_e32 v19, 0x4040404, v19
	v_and_b32_e32 v18, 0x4040404, v18
	s_waitcnt lgkmcnt(3)
	v_ashrrev_i32_e32 v168, s20, v6
	v_sub_nc_u16 v137, v193, v137
	v_and_b32_e32 v193, 0x3030303, v132
	v_bfe_u32 v132, v132, 24, 2
	v_add_nc_u32_e32 v6, 0x2108, v10
	s_waitcnt lgkmcnt(2)
	v_ashrrev_i32_e32 v170, s1, v146
	v_add_nc_u32_e32 v146, 0x2110, v10
	v_lshrrev_b16 v194, 8, v193
	v_ashrrev_i32_e32 v169, s20, v7
	v_ashrrev_i32_e32 v171, s1, v147
	ds_read2_b32 v[6:7], v6 offset1:1
	ds_read2_b32 v[146:147], v146 offset1:1
	;; [unrolled: 1-line block ×3, first 2 shown]
	ds_read2_b32 v[154:155], v154 offset0:6 offset1:7
	v_lshrrev_b16 v205, 8, v19
	v_sub_nc_u16 v194, v194, v195
	v_lshrrev_b32_e32 v195, 24, v135
	s_waitcnt lgkmcnt(5)
	v_ashrrev_i32_e32 v174, s1, v148
	v_lshrrev_b16 v207, 8, v18
	v_and_b32_e32 v17, 0x4040404, v17
	v_lshlrev_b32_e32 v16, 2, v16
	v_sub_nc_u16 v132, v132, v195
	v_lshrrev_b32_e32 v195, 16, v193
	v_sub_nc_u16 v193, v193, v135
	v_lshrrev_b32_e32 v135, 16, v135
	v_lshrrev_b16 v209, 8, v17
	v_and_b32_e32 v16, 0x4040404, v16
	v_lshlrev_b32_e32 v14, 2, v14
	v_lshlrev_b32_e32 v13, 2, v13
	v_sub_nc_u16 v135, v195, v135
	v_and_b32_e32 v195, 0x3030303, v130
	v_bfe_u32 v130, v130, 24, 2
	s_waitcnt lgkmcnt(3)
	v_ashrrev_i32_e32 v172, s20, v6
	v_add3_u32 v6, s22, v121, v122
	s_waitcnt lgkmcnt(2)
	v_ashrrev_i32_e32 v175, s20, v146
	v_lshrrev_b16 v196, 8, v195
	ds_read2_b32 v[145:146], v145 offset1:1
	ds_read_b32 v6, v6
	v_ashrrev_i32_e32 v173, s20, v7
	v_add_nc_u32_e32 v7, 0x3180, v10
	v_sub_nc_u16 v196, v196, v197
	v_lshrrev_b32_e32 v197, 24, v133
	v_ashrrev_i32_e32 v176, s20, v147
	v_lshrrev_b16 v211, 8, v16
	ds_read2_b32 v[147:148], v7 offset1:1
	v_add_nc_u32_e32 v7, 0x3188, v10
	v_sub_nc_u16 v130, v130, v197
	v_lshrrev_b32_e32 v197, 16, v195
	v_sub_nc_u16 v195, v195, v133
	v_lshrrev_b32_e32 v133, 16, v133
	v_and_b32_e32 v14, 0x4040404, v14
	v_and_b32_e32 v13, 0x4040404, v13
	v_lshlrev_b32_e32 v158, 2, v158
	v_lshlrev_b32_e32 v159, 2, v159
	v_sub_nc_u16 v133, v197, v133
	v_and_b32_e32 v197, 0x3030303, v21
	v_bfe_u32 v21, v21, 24, 2
	s_waitcnt lgkmcnt(2)
	v_ashrrev_i32_e32 v179, s1, v145
	v_ashrrev_i32_e32 v180, s1, v146
	ds_read2_b32 v[145:146], v7 offset1:1
	v_lshrrev_b16 v198, 8, v197
	v_add_nc_u32_e32 v7, s21, v96
	v_lshrrev_b16 v213, 8, v14
	v_lshrrev_b16 v215, 8, v13
	s_waitcnt lgkmcnt(1)
	v_ashrrev_i32_e32 v177, s20, v147
	v_sub_nc_u16 v198, v198, v199
	v_lshrrev_b32_e32 v199, 24, v131
	v_add_nc_u32_e32 v147, 0x3198, v10
	v_ashrrev_i32_e32 v178, s20, v148
	v_and_b32_e32 v158, 0x4040404, v158
	v_and_b32_e32 v159, 0x4040404, v159
	v_sub_nc_u16 v21, v21, v199
	v_lshrrev_b32_e32 v199, 16, v197
	v_sub_nc_u16 v197, v197, v131
	v_lshrrev_b32_e32 v131, 16, v131
	v_lshrrev_b16 v217, 8, v158
	v_lshrrev_b16 v219, 8, v159
	v_lshlrev_b32_e32 v166, 2, v166
	v_lshlrev_b32_e32 v167, 2, v167
	v_sub_nc_u16 v131, v199, v131
	v_and_b32_e32 v199, 0x3030303, v160
	v_bfe_u32 v160, v160, 24, 2
	s_waitcnt lgkmcnt(0)
	v_ashrrev_i32_e32 v181, s20, v145
	v_add_nc_u32_e32 v145, 0x3190, v10
	ds_read_u16 v10, v7 offset:2
	v_lshrrev_b16 v200, 8, v199
	v_add3_u32 v7, s22, v126, v127
	v_ashrrev_i32_e32 v182, s20, v146
	ds_read_b32 v7, v7
	ds_read2_b32 v[145:146], v145 offset1:1
	ds_read2_b32 v[147:148], v147 offset1:1
	v_sub_nc_u16 v200, v200, v201
	v_lshrrev_b32_e32 v201, 24, v129
	v_and_b32_e32 v166, 0x4040404, v166
	v_and_b32_e32 v167, 0x4040404, v167
	v_lshlrev_b32_e32 v170, 2, v170
	v_lshlrev_b32_e32 v171, 2, v171
	v_sub_nc_u16 v160, v160, v201
	v_lshrrev_b32_e32 v201, 16, v199
	v_sub_nc_u16 v199, v199, v129
	v_lshrrev_b32_e32 v129, 16, v129
	v_lshrrev_b16 v221, 8, v166
	v_lshrrev_b16 v223, 8, v167
	v_and_b32_e32 v170, 0x4040404, v170
	v_and_b32_e32 v171, 0x4040404, v171
	v_sub_nc_u16 v129, v201, v129
	v_and_b32_e32 v201, 0x3030303, v161
	v_bfe_u32 v161, v161, 24, 2
	v_lshrrev_b16 v225, 8, v170
	s_waitcnt lgkmcnt(1)
	v_ashrrev_i32_e32 v145, s20, v145
	v_ashrrev_i32_e32 v146, s20, v146
	v_lshrrev_b16 v202, 8, v201
	v_lshrrev_b16 v227, 8, v171
	v_lshlrev_b32_e32 v174, 2, v174
	v_ashrrev_i32_e32 v149, s1, v149
	v_ashrrev_i32_e32 v150, s1, v150
	v_sub_nc_u16 v202, v202, v203
	v_lshrrev_b32_e32 v203, 24, v20
	v_and_b32_e32 v174, 0x4040404, v174
	v_lshlrev_b32_e32 v149, 2, v149
	v_lshlrev_b32_e32 v150, 2, v150
	v_ashrrev_i32_e32 v151, s1, v151
	v_sub_nc_u16 v161, v161, v203
	v_lshrrev_b32_e32 v203, 16, v201
	v_sub_nc_u16 v201, v201, v20
	v_lshrrev_b32_e32 v20, 16, v20
	v_lshrrev_b16 v229, 8, v174
	v_and_b32_e32 v149, 0x4040404, v149
	v_and_b32_e32 v150, 0x4040404, v150
	v_lshlrev_b32_e32 v151, 2, v151
	v_sub_nc_u16 v20, v203, v20
	v_and_b32_e32 v203, 0x3030303, v162
	v_bfe_u32 v162, v162, 24, 2
	v_lshrrev_b16 v231, 8, v149
	v_lshrrev_b16 v233, 8, v150
	v_and_b32_e32 v151, 0x4040404, v151
	v_lshrrev_b16 v204, 8, v203
	v_ashrrev_i32_e32 v154, s1, v154
	v_ashrrev_i32_e32 v152, s20, v152
	;; [unrolled: 1-line block ×3, first 2 shown]
	v_lshrrev_b16 v235, 8, v151
	v_sub_nc_u16 v204, v204, v205
	v_lshrrev_b32_e32 v205, 24, v19
	v_lshlrev_b32_e32 v154, 2, v154
	v_ashrrev_i32_e32 v153, s20, v153
	v_lshlrev_b32_e32 v155, 2, v155
	v_lshlrev_b32_e32 v179, 2, v179
	v_sub_nc_u16 v162, v162, v205
	v_lshrrev_b32_e32 v205, 16, v203
	v_sub_nc_u16 v203, v203, v19
	v_lshrrev_b32_e32 v19, 16, v19
	v_and_b32_e32 v154, 0x4040404, v154
	v_and_b32_e32 v155, 0x4040404, v155
	;; [unrolled: 1-line block ×3, first 2 shown]
	v_lshlrev_b32_e32 v180, 2, v180
	v_sub_nc_u16 v19, v205, v19
	v_and_b32_e32 v205, 0x3030303, v163
	v_bfe_u32 v163, v163, 24, 2
	v_lshrrev_b16 v237, 8, v154
	v_lshrrev_b16 v239, 8, v155
	;; [unrolled: 1-line block ×4, first 2 shown]
	v_and_b32_e32 v180, 0x4040404, v180
	v_ashrrev_i32_e32 v4, s1, v4
	s_waitcnt lgkmcnt(0)
	v_ashrrev_i32_e32 v147, s20, v147
	v_ashrrev_i32_e32 v5, s1, v5
	v_sub_nc_u16 v206, v206, v207
	v_lshrrev_b32_e32 v207, 24, v18
	v_lshrrev_b16 v243, 8, v180
	v_lshlrev_b32_e32 v4, 2, v4
	v_ashrrev_i32_e32 v148, s20, v148
	v_lshlrev_b32_e32 v5, 2, v5
	v_sub_nc_u16 v163, v163, v207
	v_lshrrev_b32_e32 v207, 16, v205
	v_sub_nc_u16 v205, v205, v18
	v_lshrrev_b32_e32 v18, 16, v18
	v_and_b32_e32 v4, 0x4040404, v4
	v_and_b32_e32 v5, 0x4040404, v5
	v_lshlrev_b16 v142, 8, v142
	v_lshlrev_b16 v140, 8, v140
	v_sub_nc_u16 v18, v207, v18
	v_and_b32_e32 v207, 0x3030303, v181
	v_bfe_u32 v181, v181, 24, 2
	v_lshrrev_b16 v245, 8, v4
	v_lshlrev_b16 v138, 8, v138
	v_lshlrev_b16 v136, 8, v136
	v_lshrrev_b16 v208, 8, v207
	v_lshlrev_b16 v134, 8, v134
	v_lshlrev_b16 v132, 8, v132
	;; [unrolled: 1-line block ×4, first 2 shown]
	v_sub_nc_u16 v208, v208, v209
	v_lshrrev_b32_e32 v209, 24, v17
	v_lshlrev_b16 v161, 8, v161
	v_lshlrev_b16 v162, 8, v162
	;; [unrolled: 1-line block ×3, first 2 shown]
	v_lshrrev_b16 v247, 8, v5
	v_sub_nc_u16 v181, v181, v209
	v_lshrrev_b32_e32 v209, 16, v207
	v_sub_nc_u16 v207, v207, v17
	v_lshrrev_b32_e32 v17, 16, v17
	v_or_b32_sdwa v142, v144, v142 dst_sel:WORD_1 dst_unused:UNUSED_PAD src0_sel:BYTE_0 src1_sel:DWORD
	v_lshlrev_b16 v181, 8, v181
	v_lshlrev_b16 v144, 8, v186
	v_or_b32_sdwa v140, v143, v140 dst_sel:WORD_1 dst_unused:UNUSED_PAD src0_sel:BYTE_0 src1_sel:DWORD
	v_sub_nc_u16 v17, v209, v17
	v_and_b32_e32 v209, 0x3030303, v182
	v_bfe_u32 v182, v182, 24, 2
	v_lshlrev_b16 v143, 8, v188
	v_or_b32_sdwa v138, v141, v138 dst_sel:WORD_1 dst_unused:UNUSED_PAD src0_sel:BYTE_0 src1_sel:DWORD
	v_lshlrev_b16 v141, 8, v190
	v_lshrrev_b16 v210, 8, v209
	v_or_b32_sdwa v136, v139, v136 dst_sel:WORD_1 dst_unused:UNUSED_PAD src0_sel:BYTE_0 src1_sel:DWORD
	v_lshlrev_b16 v139, 8, v192
	v_or_b32_sdwa v134, v137, v134 dst_sel:WORD_1 dst_unused:UNUSED_PAD src0_sel:BYTE_0 src1_sel:DWORD
	v_lshlrev_b16 v137, 8, v194
	v_sub_nc_u16 v210, v210, v211
	v_lshrrev_b32_e32 v211, 24, v16
	v_or_b32_sdwa v132, v135, v132 dst_sel:WORD_1 dst_unused:UNUSED_PAD src0_sel:BYTE_0 src1_sel:DWORD
	v_lshlrev_b16 v135, 8, v196
	v_or_b32_sdwa v130, v133, v130 dst_sel:WORD_1 dst_unused:UNUSED_PAD src0_sel:BYTE_0 src1_sel:DWORD
	v_lshlrev_b16 v133, 8, v198
	v_sub_nc_u16 v182, v182, v211
	v_lshrrev_b32_e32 v211, 16, v209
	v_sub_nc_u16 v209, v209, v16
	v_lshrrev_b32_e32 v16, 16, v16
	v_or_b32_sdwa v21, v131, v21 dst_sel:WORD_1 dst_unused:UNUSED_PAD src0_sel:BYTE_0 src1_sel:DWORD
	v_lshlrev_b16 v131, 8, v200
	v_lshlrev_b16 v160, 8, v160
	v_or_b32_sdwa v20, v20, v161 dst_sel:WORD_1 dst_unused:UNUSED_PAD src0_sel:BYTE_0 src1_sel:DWORD
	v_sub_nc_u16 v16, v211, v16
	v_and_b32_e32 v211, 0x3030303, v145
	v_bfe_u32 v145, v145, 24, 2
	v_lshlrev_b16 v161, 8, v204
	v_or_b32_sdwa v19, v19, v162 dst_sel:WORD_1 dst_unused:UNUSED_PAD src0_sel:BYTE_0 src1_sel:DWORD
	v_lshlrev_b16 v162, 8, v206
	v_lshrrev_b16 v212, 8, v211
	v_or_b32_sdwa v18, v18, v163 dst_sel:WORD_1 dst_unused:UNUSED_PAD src0_sel:BYTE_0 src1_sel:DWORD
	v_lshlrev_b16 v163, 8, v208
	v_or_b32_sdwa v17, v17, v181 dst_sel:WORD_1 dst_unused:UNUSED_PAD src0_sel:BYTE_0 src1_sel:DWORD
	v_lshlrev_b16 v181, 8, v210
	v_sub_nc_u16 v212, v212, v213
	v_lshrrev_b32_e32 v213, 24, v14
	v_lshlrev_b16 v182, 8, v182
	v_or_b32_sdwa v144, v185, v144 dst_sel:DWORD dst_unused:UNUSED_PAD src0_sel:BYTE_0 src1_sel:DWORD
	v_or_b32_sdwa v143, v187, v143 dst_sel:DWORD dst_unused:UNUSED_PAD src0_sel:BYTE_0 src1_sel:DWORD
	;; [unrolled: 1-line block ×3, first 2 shown]
	v_sub_nc_u16 v145, v145, v213
	v_lshrrev_b32_e32 v213, 16, v211
	v_sub_nc_u16 v211, v211, v14
	v_lshrrev_b32_e32 v14, 16, v14
	v_or_b32_sdwa v139, v191, v139 dst_sel:DWORD dst_unused:UNUSED_PAD src0_sel:BYTE_0 src1_sel:DWORD
	v_or_b32_sdwa v137, v193, v137 dst_sel:DWORD dst_unused:UNUSED_PAD src0_sel:BYTE_0 src1_sel:DWORD
	;; [unrolled: 1-line block ×4, first 2 shown]
	v_sub_nc_u16 v14, v213, v14
	v_and_b32_e32 v213, 0x3030303, v146
	v_bfe_u32 v146, v146, 24, 2
	v_or_b32_sdwa v131, v199, v131 dst_sel:DWORD dst_unused:UNUSED_PAD src0_sel:BYTE_0 src1_sel:DWORD
	v_or_b32_sdwa v129, v129, v160 dst_sel:WORD_1 dst_unused:UNUSED_PAD src0_sel:BYTE_0 src1_sel:DWORD
	v_or_b32_sdwa v161, v203, v161 dst_sel:DWORD dst_unused:UNUSED_PAD src0_sel:BYTE_0 src1_sel:DWORD
	v_lshrrev_b16 v214, 8, v213
	v_or_b32_sdwa v162, v205, v162 dst_sel:DWORD dst_unused:UNUSED_PAD src0_sel:BYTE_0 src1_sel:DWORD
	v_or_b32_sdwa v163, v207, v163 dst_sel:DWORD dst_unused:UNUSED_PAD src0_sel:BYTE_0 src1_sel:DWORD
	;; [unrolled: 1-line block ×3, first 2 shown]
	v_or_b32_sdwa v16, v16, v182 dst_sel:WORD_1 dst_unused:UNUSED_PAD src0_sel:BYTE_0 src1_sel:DWORD
	v_sub_nc_u16 v214, v214, v215
	v_lshrrev_b32_e32 v215, 24, v13
	v_or_b32_sdwa v140, v144, v140 dst_sel:DWORD dst_unused:UNUSED_PAD src0_sel:WORD_0 src1_sel:DWORD
	v_or_b32_sdwa v138, v143, v138 dst_sel:DWORD dst_unused:UNUSED_PAD src0_sel:WORD_0 src1_sel:DWORD
	;; [unrolled: 1-line block ×4, first 2 shown]
	v_sub_nc_u16 v146, v146, v215
	v_lshrrev_b32_e32 v215, 16, v213
	v_sub_nc_u16 v213, v213, v13
	v_lshrrev_b32_e32 v13, 16, v13
	v_or_b32_sdwa v137, v137, v132 dst_sel:DWORD dst_unused:UNUSED_PAD src0_sel:WORD_0 src1_sel:DWORD
	v_or_b32_sdwa v135, v135, v130 dst_sel:DWORD dst_unused:UNUSED_PAD src0_sel:WORD_0 src1_sel:DWORD
	;; [unrolled: 1-line block ×4, first 2 shown]
	v_sub_nc_u16 v13, v215, v13
	v_and_b32_e32 v215, 0x3030303, v156
	v_bfe_u32 v156, v156, 24, 2
	v_or_b32_sdwa v139, v161, v19 dst_sel:DWORD dst_unused:UNUSED_PAD src0_sel:WORD_0 src1_sel:DWORD
	v_or_b32_sdwa v141, v162, v18 dst_sel:DWORD dst_unused:UNUSED_PAD src0_sel:WORD_0 src1_sel:DWORD
	;; [unrolled: 1-line block ×3, first 2 shown]
	v_lshrrev_b16 v216, 8, v215
	v_or_b32_sdwa v144, v181, v16 dst_sel:DWORD dst_unused:UNUSED_PAD src0_sel:WORD_0 src1_sel:DWORD
	ds_read_b128 v[16:19], v9
	ds_read_b128 v[129:132], v9 offset:16
	v_lshlrev_b16 v184, 8, v184
	v_lshlrev_b16 v182, 8, v212
	v_sub_nc_u16 v216, v216, v217
	v_lshrrev_b32_e32 v217, 24, v158
	v_lshlrev_b16 v145, 8, v145
	v_or_b32_sdwa v183, v183, v184 dst_sel:DWORD dst_unused:UNUSED_PAD src0_sel:BYTE_0 src1_sel:DWORD
	v_lshlrev_b16 v146, 8, v146
	v_or_b32_sdwa v182, v211, v182 dst_sel:DWORD dst_unused:UNUSED_PAD src0_sel:BYTE_0 src1_sel:DWORD
	v_sub_nc_u16 v156, v156, v217
	v_lshrrev_b32_e32 v217, 16, v215
	v_sub_nc_u16 v215, v215, v158
	v_lshrrev_b32_e32 v158, 16, v158
	v_or_b32_sdwa v142, v183, v142 dst_sel:DWORD dst_unused:UNUSED_PAD src0_sel:WORD_0 src1_sel:DWORD
	v_or_b32_sdwa v14, v14, v145 dst_sel:WORD_1 dst_unused:UNUSED_PAD src0_sel:BYTE_0 src1_sel:DWORD
	v_lshlrev_b16 v145, 8, v214
	v_or_b32_sdwa v13, v13, v146 dst_sel:WORD_1 dst_unused:UNUSED_PAD src0_sel:BYTE_0 src1_sel:DWORD
	v_sub_nc_u16 v158, v217, v158
	v_and_b32_e32 v217, 0x3030303, v157
	v_bfe_u32 v157, v157, 24, 2
	v_lshlrev_b16 v146, 8, v216
	v_lshlrev_b16 v156, 8, v156
	v_or_b32_sdwa v145, v213, v145 dst_sel:DWORD dst_unused:UNUSED_PAD src0_sel:BYTE_0 src1_sel:DWORD
	v_lshrrev_b16 v218, 8, v217
	v_or_b32_sdwa v14, v182, v14 dst_sel:DWORD dst_unused:UNUSED_PAD src0_sel:WORD_0 src1_sel:DWORD
	v_or_b32_sdwa v146, v215, v146 dst_sel:DWORD dst_unused:UNUSED_PAD src0_sel:BYTE_0 src1_sel:DWORD
	v_or_b32_sdwa v156, v158, v156 dst_sel:WORD_1 dst_unused:UNUSED_PAD src0_sel:BYTE_0 src1_sel:DWORD
	v_or_b32_sdwa v13, v145, v13 dst_sel:DWORD dst_unused:UNUSED_PAD src0_sel:WORD_0 src1_sel:DWORD
	v_sub_nc_u16 v218, v218, v219
	v_lshrrev_b32_e32 v219, 24, v159
	v_lshlrev_b16 v160, 8, v202
	v_or_b32_sdwa v145, v146, v156 dst_sel:DWORD dst_unused:UNUSED_PAD src0_sel:WORD_0 src1_sel:DWORD
	v_add_nc_u32_e32 v9, 32, v9
	v_lshlrev_b16 v158, 8, v218
	v_sub_nc_u16 v157, v157, v219
	v_lshrrev_b32_e32 v219, 16, v217
	v_sub_nc_u16 v217, v217, v159
	v_lshrrev_b32_e32 v159, 16, v159
	v_or_b32_sdwa v160, v201, v160 dst_sel:DWORD dst_unused:UNUSED_PAD src0_sel:BYTE_0 src1_sel:DWORD
	v_lshlrev_b16 v157, 8, v157
	s_add_i32 s1, s1, 1
	v_or_b32_sdwa v158, v217, v158 dst_sel:DWORD dst_unused:UNUSED_PAD src0_sel:BYTE_0 src1_sel:DWORD
	v_sub_nc_u16 v159, v219, v159
	v_and_b32_e32 v219, 0x3030303, v164
	v_bfe_u32 v164, v164, 24, 2
	v_or_b32_sdwa v20, v160, v20 dst_sel:DWORD dst_unused:UNUSED_PAD src0_sel:WORD_0 src1_sel:DWORD
	s_cmp_lt_u32 s20, 6
	v_or_b32_sdwa v157, v159, v157 dst_sel:WORD_1 dst_unused:UNUSED_PAD src0_sel:BYTE_0 src1_sel:DWORD
	v_lshrrev_b16 v220, 8, v219
	v_or_b32_sdwa v146, v158, v157 dst_sel:DWORD dst_unused:UNUSED_PAD src0_sel:WORD_0 src1_sel:DWORD
	v_sub_nc_u16 v220, v220, v221
	v_lshrrev_b32_e32 v221, 24, v166
	v_lshlrev_b16 v159, 8, v220
	v_sub_nc_u16 v164, v164, v221
	v_lshrrev_b32_e32 v221, 16, v219
	v_sub_nc_u16 v219, v219, v166
	v_lshrrev_b32_e32 v166, 16, v166
	v_lshlrev_b16 v164, 8, v164
	v_or_b32_sdwa v159, v219, v159 dst_sel:DWORD dst_unused:UNUSED_PAD src0_sel:BYTE_0 src1_sel:DWORD
	v_sub_nc_u16 v166, v221, v166
	v_and_b32_e32 v221, 0x3030303, v165
	v_bfe_u32 v165, v165, 24, 2
	v_or_b32_sdwa v164, v166, v164 dst_sel:WORD_1 dst_unused:UNUSED_PAD src0_sel:BYTE_0 src1_sel:DWORD
	v_lshrrev_b16 v222, 8, v221
	v_sub_nc_u16 v222, v222, v223
	v_lshrrev_b32_e32 v223, 24, v167
	v_lshlrev_b16 v166, 8, v222
	v_sub_nc_u16 v165, v165, v223
	v_lshrrev_b32_e32 v223, 16, v221
	v_sub_nc_u16 v221, v221, v167
	v_lshrrev_b32_e32 v167, 16, v167
	v_lshlrev_b16 v165, 8, v165
	v_or_b32_sdwa v166, v221, v166 dst_sel:DWORD dst_unused:UNUSED_PAD src0_sel:BYTE_0 src1_sel:DWORD
	v_sub_nc_u16 v167, v223, v167
	v_and_b32_e32 v223, 0x3030303, v168
	v_bfe_u32 v168, v168, 24, 2
	v_or_b32_sdwa v165, v167, v165 dst_sel:WORD_1 dst_unused:UNUSED_PAD src0_sel:BYTE_0 src1_sel:DWORD
	v_lshrrev_b16 v224, 8, v223
	v_or_b32_sdwa v156, v166, v165 dst_sel:DWORD dst_unused:UNUSED_PAD src0_sel:WORD_0 src1_sel:DWORD
	v_sub_nc_u16 v224, v224, v225
	v_lshrrev_b32_e32 v225, 24, v170
	v_lshlrev_b16 v167, 8, v224
	v_sub_nc_u16 v168, v168, v225
	v_lshrrev_b32_e32 v225, 16, v223
	v_sub_nc_u16 v223, v223, v170
	v_lshrrev_b32_e32 v170, 16, v170
	v_lshlrev_b16 v168, 8, v168
	v_or_b32_sdwa v167, v223, v167 dst_sel:DWORD dst_unused:UNUSED_PAD src0_sel:BYTE_0 src1_sel:DWORD
	v_sub_nc_u16 v170, v225, v170
	v_and_b32_e32 v225, 0x3030303, v169
	v_bfe_u32 v169, v169, 24, 2
	v_or_b32_sdwa v168, v170, v168 dst_sel:WORD_1 dst_unused:UNUSED_PAD src0_sel:BYTE_0 src1_sel:DWORD
	v_lshrrev_b16 v226, 8, v225
	v_or_b32_sdwa v157, v167, v168 dst_sel:DWORD dst_unused:UNUSED_PAD src0_sel:WORD_0 src1_sel:DWORD
	;; [unrolled: 15-line block ×3, first 2 shown]
	v_sub_nc_u16 v228, v228, v229
	v_lshrrev_b32_e32 v229, 24, v174
	v_lshlrev_b16 v171, 8, v228
	v_sub_nc_u16 v172, v172, v229
	v_lshrrev_b32_e32 v229, 16, v227
	v_sub_nc_u16 v227, v227, v174
	v_lshrrev_b32_e32 v174, 16, v174
	v_lshlrev_b16 v172, 8, v172
	v_or_b32_sdwa v171, v227, v171 dst_sel:DWORD dst_unused:UNUSED_PAD src0_sel:BYTE_0 src1_sel:DWORD
	v_sub_nc_u16 v174, v229, v174
	v_and_b32_e32 v229, 0x3030303, v173
	v_bfe_u32 v173, v173, 24, 2
	v_or_b32_sdwa v172, v174, v172 dst_sel:WORD_1 dst_unused:UNUSED_PAD src0_sel:BYTE_0 src1_sel:DWORD
	v_lshrrev_b16 v230, 8, v229
	v_sub_nc_u16 v230, v230, v231
	v_lshrrev_b32_e32 v231, 24, v149
	v_lshlrev_b16 v174, 8, v230
	v_sub_nc_u16 v173, v173, v231
	v_lshrrev_b32_e32 v231, 16, v229
	v_sub_nc_u16 v229, v229, v149
	v_lshrrev_b32_e32 v149, 16, v149
	v_lshlrev_b16 v173, 8, v173
	v_or_b32_sdwa v174, v229, v174 dst_sel:DWORD dst_unused:UNUSED_PAD src0_sel:BYTE_0 src1_sel:DWORD
	v_sub_nc_u16 v149, v231, v149
	v_and_b32_e32 v231, 0x3030303, v175
	v_bfe_u32 v175, v175, 24, 2
	v_or_b32_sdwa v149, v149, v173 dst_sel:WORD_1 dst_unused:UNUSED_PAD src0_sel:BYTE_0 src1_sel:DWORD
	v_lshrrev_b16 v232, 8, v231
	v_or_b32_sdwa v149, v174, v149 dst_sel:DWORD dst_unused:UNUSED_PAD src0_sel:WORD_0 src1_sel:DWORD
	v_sub_nc_u16 v232, v232, v233
	v_lshrrev_b32_e32 v233, 24, v150
	v_lshlrev_b16 v173, 8, v232
	v_sub_nc_u16 v175, v175, v233
	v_lshrrev_b32_e32 v233, 16, v231
	v_sub_nc_u16 v231, v231, v150
	v_lshrrev_b32_e32 v150, 16, v150
	v_lshlrev_b16 v175, 8, v175
	v_or_b32_sdwa v173, v231, v173 dst_sel:DWORD dst_unused:UNUSED_PAD src0_sel:BYTE_0 src1_sel:DWORD
	v_sub_nc_u16 v150, v233, v150
	v_and_b32_e32 v233, 0x3030303, v176
	v_bfe_u32 v176, v176, 24, 2
	v_or_b32_sdwa v150, v150, v175 dst_sel:WORD_1 dst_unused:UNUSED_PAD src0_sel:BYTE_0 src1_sel:DWORD
	v_lshrrev_b16 v234, 8, v233
	v_or_b32_sdwa v150, v173, v150 dst_sel:DWORD dst_unused:UNUSED_PAD src0_sel:WORD_0 src1_sel:DWORD
	;; [unrolled: 15-line block ×8, first 2 shown]
	v_sub_nc_u16 v246, v246, v247
	v_lshrrev_b32_e32 v247, 24, v5
	v_lshlrev_b16 v147, 8, v246
	v_sub_nc_u16 v148, v148, v247
	v_lshrrev_b32_e32 v247, 16, v245
	v_sub_nc_u16 v245, v245, v5
	v_lshrrev_b32_e32 v5, 16, v5
	v_lshlrev_b16 v148, 8, v148
	v_or_b32_sdwa v147, v245, v147 dst_sel:DWORD dst_unused:UNUSED_PAD src0_sel:BYTE_0 src1_sel:DWORD
	v_sub_nc_u16 v5, v247, v5
	v_or_b32_sdwa v5, v5, v148 dst_sel:WORD_1 dst_unused:UNUSED_PAD src0_sel:BYTE_0 src1_sel:DWORD
	v_or_b32_sdwa v148, v159, v164 dst_sel:DWORD dst_unused:UNUSED_PAD src0_sel:WORD_0 src1_sel:DWORD
	v_or_b32_sdwa v159, v171, v172 dst_sel:DWORD dst_unused:UNUSED_PAD src0_sel:WORD_0 src1_sel:DWORD
	;; [unrolled: 1-line block ×3, first 2 shown]
	v_mov_b32_e32 v147, 0
	s_waitcnt lgkmcnt(1)
	v_dot4c_i32_i8 v147, v142, v16
	v_mov_b32_e32 v142, 0
	v_dot4c_i32_i8 v147, v140, v17
	s_waitcnt lgkmcnt(0)
	v_dot4c_i32_i8 v142, v134, v129
	v_mov_b32_e32 v134, 0
	v_dot4c_i32_i8 v147, v138, v18
	v_dot4c_i32_i8 v142, v137, v130
	;; [unrolled: 1-line block ×3, first 2 shown]
	v_mov_b32_e32 v139, 0
	v_dot4c_i32_i8 v147, v136, v19
	v_dot4c_i32_i8 v142, v135, v131
	;; [unrolled: 1-line block ×4, first 2 shown]
	v_mov_b32_e32 v14, 0
	v_dot4c_i32_i8 v142, v21, v132
	v_dot4c_i32_i8 v134, v148, v131
	;; [unrolled: 1-line block ×4, first 2 shown]
	v_mov_b32_e32 v145, 0
	v_add_nc_u32_e32 v13, s21, v97
	v_dot4c_i32_i8 v134, v156, v132
	v_dot4c_i32_i8 v139, v4, v131
	v_add_nc_u32_e32 v4, s21, v99
	v_dot4c_i32_i8 v145, v157, v16
	v_mov_b32_e32 v157, 0
	v_dot4c_i32_i8 v14, v146, v17
	v_dot4c_i32_i8 v139, v5, v132
	s_mov_b32 s21, s20
	v_dot4c_i32_i8 v145, v158, v17
	v_dot4c_i32_i8 v157, v150, v129
	v_mov_b32_e32 v129, 0
	v_dot4c_i32_i8 v14, v133, v18
	v_dot4c_i32_i8 v145, v159, v18
	;; [unrolled: 1-line block ×3, first 2 shown]
	ds_read_b32 v130, v8
	ds_read_u16 v4, v4 offset:2
	ds_read_u16 v13, v13 offset:2
	v_dot4c_i32_i8 v129, v154, v16
	v_dot4c_i32_i8 v14, v20, v19
	;; [unrolled: 1-line block ×3, first 2 shown]
	v_bfe_i32 v20, v10, 0, 8
	v_dot4c_i32_i8 v157, v152, v131
	v_dot4c_i32_i8 v129, v155, v17
	v_lshrrev_b16 v17, 8, v15
	v_bfe_i32 v15, v15, 0, 8
	v_add_nc_u32_e32 v8, 4, v8
	v_dot4c_i32_i8 v157, v153, v132
	v_dot4c_i32_i8 v129, v143, v18
	v_lshrrev_b16 v18, 8, v10
	v_bfe_i32 v17, v17, 0, 8
	v_dot4c_i32_i8 v129, v144, v19
	v_bfe_i32 v18, v18, 0, 8
	s_waitcnt lgkmcnt(1)
	v_lshrrev_b16 v16, 8, v4
	v_bfe_i32 v4, v4, 0, 8
	s_waitcnt lgkmcnt(0)
	v_lshrrev_b16 v5, 8, v13
	v_bfe_i32 v13, v13, 0, 8
	v_mul_f32_e32 v7, v130, v7
	v_bfe_i32 v16, v16, 0, 8
	v_mul_lo_u32 v4, v147, v4
	v_bfe_i32 v21, v5, 0, 8
	v_mul_lo_u32 v5, v14, v15
	v_mul_lo_u32 v10, v145, v13
	;; [unrolled: 1-line block ×3, first 2 shown]
	v_mad_u64_u32 v[14:15], null, v142, v16, v[4:5]
	v_mad_u64_u32 v[15:16], null, v157, v21, v[10:11]
	;; [unrolled: 1-line block ×3, first 2 shown]
	v_mul_f32_e32 v5, v130, v11
	v_mul_f32_e32 v10, v130, v12
	v_mad_u64_u32 v[16:17], null, v139, v18, v[13:14]
	v_mul_f32_e32 v6, v130, v6
	v_cvt_f32_i32_e32 v11, v14
	v_cvt_f32_i32_e32 v4, v4
	;; [unrolled: 1-line block ×4, first 2 shown]
	v_fmac_f32_e32 v23, v5, v11
	v_fmac_f32_e32 v85, v10, v4
	v_fmac_f32_e32 v82, v6, v12
	v_fmac_f32_e32 v3, v7, v13
	s_cbranch_scc1 .LBB229_11
; %bb.12:                               ;   in Loop: Header=BB229_5 Depth=1
	s_or_b32 s1, s4, 0x80
	s_cmp_ge_i32 s1, s15
	s_barrier
	buffer_gl0_inv
	s_cbranch_scc1 .LBB229_4
; %bb.13:                               ;   in Loop: Header=BB229_5 Depth=1
	v_add_nc_u32_e32 v4, s5, v86
	v_cmp_gt_i32_e64 s1, s9, v4
	s_and_b32 s19, s0, s1
	s_and_saveexec_b32 s1, s19
	s_cbranch_execz .LBB229_15
; %bb.14:                               ;   in Loop: Header=BB229_5 Depth=1
	v_add_nc_u32_e32 v4, v89, v4
	v_mad_i64_i32 v[4:5], null, v4, 36, v[1:2]
	global_load_dword v4, v[4:5], off offset:4
	s_waitcnt vmcnt(0)
	ds_write_b32 v83, v4
.LBB229_15:                             ;   in Loop: Header=BB229_5 Depth=1
	s_or_b32 exec_lo, exec_lo, s1
	s_and_saveexec_b32 s19, vcc_lo
	s_cbranch_execz .LBB229_18
; %bb.16:                               ;   in Loop: Header=BB229_5 Depth=1
	v_or_b32_e32 v4, 4, v128
	v_cmp_gt_i32_e64 s1, s9, v4
	s_and_b32 s1, s0, s1
	s_and_b32 exec_lo, exec_lo, s1
	s_cbranch_execz .LBB229_18
; %bb.17:                               ;   in Loop: Header=BB229_5 Depth=1
	v_ashrrev_i32_e32 v4, 31, v128
	v_add_co_u32 v5, s1, v89, v128
	v_add_co_ci_u32_e64 v6, null, v95, v4, s1
	v_mad_u64_u32 v[4:5], null, v5, 36, s[2:3]
	v_mad_i32_i24 v5, v6, 36, v5
	global_load_dword v4, v[4:5], off offset:144
	s_waitcnt vmcnt(0)
	v_cvt_f32_f16_e32 v4, v4
	ds_write_b32 v84, v4
.LBB229_18:                             ;   in Loop: Header=BB229_5 Depth=1
	s_or_b32 exec_lo, exec_lo, s19
	v_mov_b32_e32 v129, v80
	v_mov_b32_e32 v130, v81
	s_mov_b32 s1, 8
	s_mov_b32 s21, 6
	;; [unrolled: 1-line block ×3, first 2 shown]
	s_waitcnt lgkmcnt(0)
	s_barrier
	buffer_gl0_inv
.LBB229_19:                             ;   Parent Loop BB229_5 Depth=1
                                        ; =>  This Inner Loop Header: Depth=2
	s_add_i32 s20, s21, 2
	s_add_i32 s22, s21, -6
	s_lshr_b32 s23, s20, 4
	s_and_b32 s24, s20, 0x3ffffff8
	s_lshl_b32 s25, s23, 5
	v_lshl_add_u32 v131, s24, 2, v90
	s_add_i32 s24, s25, 0x4200
	s_lshl_b32 s23, s23, 2
	v_add3_u32 v8, s24, v112, v113
	v_add3_u32 v9, s24, v115, v116
	;; [unrolled: 1-line block ×3, first 2 shown]
	v_add_nc_u32_e32 v21, 0x1080, v131
	ds_read2_b32 v[18:19], v131 offset1:1
	ds_read2_b32 v[16:17], v131 offset0:2 offset1:3
	ds_read2_b32 v[4:5], v131 offset0:4 offset1:5
	;; [unrolled: 1-line block ×3, first 2 shown]
	ds_read2_b32 v[133:134], v8 offset1:1
	ds_read2_b32 v[135:136], v8 offset0:2 offset1:3
	ds_read2_b32 v[137:138], v9 offset1:1
	ds_read2_b32 v[139:140], v9 offset0:2 offset1:3
	ds_read2_b32 v[146:147], v132 offset0:2 offset1:3
	ds_read2_b32 v[10:11], v8 offset0:4 offset1:5
	ds_read2_b32 v[12:13], v8 offset0:6 offset1:7
	ds_read2_b32 v[14:15], v9 offset0:4 offset1:5
	ds_read2_b32 v[148:149], v21 offset1:1
	ds_read2_b32 v[8:9], v9 offset0:6 offset1:7
	v_add_nc_u32_e32 v20, 0x2100, v131
	s_addk_i32 s23, 0x7380
	v_add_nc_u32_e32 v152, 0x2118, v131
	s_waitcnt lgkmcnt(13)
	v_ashrrev_i32_e32 v156, s22, v18
	v_ashrrev_i32_e32 v157, s22, v19
	s_waitcnt lgkmcnt(12)
	v_ashrrev_i32_e32 v158, s22, v16
	v_ashrrev_i32_e32 v159, s22, v17
	s_waitcnt lgkmcnt(9)
	v_ashrrev_i32_e32 v160, s19, v133
	v_and_b32_e32 v172, 0x3030303, v156
	v_ashrrev_i32_e32 v161, s19, v134
	v_bfe_u32 v156, v156, 24, 2
	ds_read2_b32 v[16:17], v132 offset0:4 offset1:5
	ds_read2_b32 v[150:151], v20 offset1:1
	ds_read2_b32 v[18:19], v132 offset1:1
	v_lshlrev_b32_e32 v160, 2, v160
	v_lshrrev_b16 v173, 8, v172
	v_lshlrev_b32_e32 v161, 2, v161
	s_waitcnt lgkmcnt(11)
	v_ashrrev_i32_e32 v162, s19, v135
	v_add3_u32 v20, s24, v123, v124
	v_and_b32_e32 v160, 0x4040404, v160
	v_ashrrev_i32_e32 v163, s19, v136
	v_and_b32_e32 v161, 0x4040404, v161
	v_lshlrev_b32_e32 v162, 2, v162
	s_waitcnt lgkmcnt(10)
	v_ashrrev_i32_e32 v144, s19, v138
	v_lshrrev_b16 v174, 8, v160
	s_waitcnt lgkmcnt(9)
	v_ashrrev_i32_e32 v143, s19, v139
	v_lshrrev_b16 v176, 8, v161
	v_and_b32_e32 v162, 0x4040404, v162
	v_ashrrev_i32_e32 v142, s19, v140
	v_sub_nc_u16 v173, v173, v174
	v_lshrrev_b32_e32 v174, 24, v160
	s_waitcnt lgkmcnt(8)
	v_ashrrev_i32_e32 v139, s19, v146
	v_lshrrev_b16 v178, 8, v162
	s_waitcnt lgkmcnt(0)
	v_ashrrev_i32_e32 v141, s19, v18
	v_add_nc_u32_e32 v18, 0x3180, v131
	v_sub_nc_u16 v156, v156, v174
	v_lshrrev_b32_e32 v174, 16, v172
	v_sub_nc_u16 v172, v172, v160
	v_lshrrev_b32_e32 v160, 16, v160
	v_ashrrev_i32_e32 v140, s19, v19
	v_ashrrev_i32_e32 v138, s19, v147
	ds_read2_b32 v[146:147], v18 offset1:1
	ds_read2_b32 v[18:19], v20 offset1:1
	v_lshlrev_b32_e32 v163, 2, v163
	v_sub_nc_u16 v160, v174, v160
	v_and_b32_e32 v174, 0x3030303, v157
	v_bfe_u32 v157, v157, 24, 2
	v_ashrrev_i32_e32 v145, s19, v137
	v_and_b32_e32 v163, 0x4040404, v163
	v_ashrrev_i32_e32 v164, s22, v148
	v_lshrrev_b16 v175, 8, v174
	v_add_nc_u32_e32 v148, 0x1088, v131
	v_lshlrev_b32_e32 v145, 2, v145
	v_lshrrev_b16 v180, 8, v163
	v_ashrrev_i32_e32 v165, s22, v149
	v_sub_nc_u16 v175, v175, v176
	v_lshrrev_b32_e32 v176, 24, v161
	v_and_b32_e32 v145, 0x4040404, v145
	v_lshlrev_b32_e32 v144, 2, v144
	v_lshlrev_b32_e32 v143, 2, v143
	;; [unrolled: 1-line block ×3, first 2 shown]
	v_sub_nc_u16 v157, v157, v176
	v_lshrrev_b32_e32 v176, 16, v174
	v_sub_nc_u16 v174, v174, v161
	v_lshrrev_b32_e32 v161, 16, v161
	s_waitcnt lgkmcnt(0)
	v_ashrrev_i32_e32 v137, s19, v18
	v_ashrrev_i32_e32 v135, s19, v19
	ds_read2_b32 v[133:134], v20 offset0:2 offset1:3
	ds_read2_b32 v[18:19], v20 offset0:4 offset1:5
	;; [unrolled: 1-line block ×3, first 2 shown]
	v_lshrrev_b16 v182, 8, v145
	v_sub_nc_u16 v161, v176, v161
	v_and_b32_e32 v176, 0x3030303, v158
	v_bfe_u32 v158, v158, 24, 2
	ds_read2_b32 v[148:149], v148 offset1:1
	v_and_b32_e32 v144, 0x4040404, v144
	v_and_b32_e32 v143, 0x4040404, v143
	v_lshrrev_b16 v177, 8, v176
	v_and_b32_e32 v142, 0x4040404, v142
	v_ashrrev_i32_e32 v168, s22, v150
	v_lshrrev_b16 v184, 8, v144
	v_lshrrev_b16 v186, 8, v143
	v_sub_nc_u16 v177, v177, v178
	v_lshrrev_b32_e32 v178, 24, v162
	v_lshrrev_b16 v188, 8, v142
	v_lshlrev_b32_e32 v141, 2, v141
	v_add_nc_u32_e32 v150, 0x2110, v131
	s_waitcnt lgkmcnt(3)
	v_ashrrev_i32_e32 v136, s19, v133
	v_sub_nc_u16 v158, v158, v178
	v_lshrrev_b32_e32 v178, 16, v176
	v_sub_nc_u16 v176, v176, v162
	v_lshrrev_b32_e32 v162, 16, v162
	v_add3_u32 v133, s23, v125, v114
	v_and_b32_e32 v141, 0x4040404, v141
	s_waitcnt lgkmcnt(0)
	v_ashrrev_i32_e32 v166, s22, v148
	v_ashrrev_i32_e32 v167, s22, v149
	v_sub_nc_u16 v162, v178, v162
	v_and_b32_e32 v178, 0x3030303, v159
	v_bfe_u32 v159, v159, 24, 2
	ds_read_b32 v133, v133
	v_lshrrev_b16 v190, 8, v141
	v_add_nc_u32_e32 v148, 0x2108, v131
	v_lshrrev_b16 v179, 8, v178
	v_ashrrev_i32_e32 v169, s22, v151
	v_lshlrev_b32_e32 v140, 2, v140
	ds_read2_b32 v[148:149], v148 offset1:1
	ds_read2_b32 v[150:151], v150 offset1:1
	;; [unrolled: 1-line block ×3, first 2 shown]
	ds_read2_b32 v[154:155], v132 offset0:6 offset1:7
	v_sub_nc_u16 v179, v179, v180
	v_lshrrev_b32_e32 v180, 24, v163
	v_and_b32_e32 v140, 0x4040404, v140
	v_lshlrev_b32_e32 v139, 2, v139
	v_lshlrev_b32_e32 v138, 2, v138
	v_ashrrev_i32_e32 v170, s22, v146
	v_sub_nc_u16 v159, v159, v180
	v_lshrrev_b32_e32 v180, 16, v178
	v_sub_nc_u16 v178, v178, v163
	v_lshrrev_b32_e32 v163, 16, v163
	v_lshrrev_b16 v192, 8, v140
	v_and_b32_e32 v139, 0x4040404, v139
	v_and_b32_e32 v138, 0x4040404, v138
	v_lshlrev_b32_e32 v137, 2, v137
	v_sub_nc_u16 v163, v180, v163
	v_and_b32_e32 v180, 0x3030303, v164
	v_bfe_u32 v164, v164, 24, 2
	s_waitcnt lgkmcnt(3)
	v_ashrrev_i32_e32 v148, s22, v148
	v_lshrrev_b16 v194, 8, v139
	v_ashrrev_i32_e32 v149, s22, v149
	v_lshrrev_b16 v181, 8, v180
	v_lshrrev_b16 v196, 8, v138
	v_and_b32_e32 v137, 0x4040404, v137
	v_add3_u32 v132, s23, v121, v122
	v_add_nc_u32_e32 v146, 0x3188, v131
	v_sub_nc_u16 v181, v181, v182
	v_lshrrev_b32_e32 v182, 24, v145
	v_lshrrev_b16 v198, 8, v137
	ds_read_b32 v132, v132
	v_ashrrev_i32_e32 v171, s22, v147
	ds_read2_b32 v[146:147], v146 offset1:1
	v_sub_nc_u16 v164, v164, v182
	v_lshrrev_b32_e32 v182, 16, v180
	v_sub_nc_u16 v180, v180, v145
	v_lshrrev_b32_e32 v145, 16, v145
	v_lshlrev_b32_e32 v135, 2, v135
	v_lshlrev_b32_e32 v136, 2, v136
	v_ashrrev_i32_e32 v134, s19, v134
	v_lshlrev_b16 v156, 8, v156
	v_sub_nc_u16 v145, v182, v145
	v_and_b32_e32 v182, 0x3030303, v165
	v_bfe_u32 v165, v165, 24, 2
	v_and_b32_e32 v135, 0x4040404, v135
	v_and_b32_e32 v136, 0x4040404, v136
	v_lshlrev_b32_e32 v134, 2, v134
	v_lshrrev_b16 v183, 8, v182
	v_lshlrev_b16 v157, 8, v157
	v_lshrrev_b16 v200, 8, v135
	v_lshrrev_b16 v202, 8, v136
	v_and_b32_e32 v134, 0x4040404, v134
	v_sub_nc_u16 v183, v183, v184
	v_lshrrev_b32_e32 v184, 24, v144
	s_waitcnt lgkmcnt(0)
	v_ashrrev_i32_e32 v146, s22, v146
	v_ashrrev_i32_e32 v147, s22, v147
	v_lshrrev_b16 v204, 8, v134
	v_lshlrev_b16 v158, 8, v158
	v_sub_nc_u16 v165, v165, v184
	v_lshrrev_b32_e32 v184, 16, v182
	v_sub_nc_u16 v182, v182, v144
	v_lshrrev_b32_e32 v144, 16, v144
	v_lshlrev_b16 v159, 8, v159
	v_lshlrev_b16 v173, 8, v173
	v_or_b32_sdwa v156, v160, v156 dst_sel:WORD_1 dst_unused:UNUSED_PAD src0_sel:BYTE_0 src1_sel:DWORD
	v_lshlrev_b16 v160, 8, v175
	v_sub_nc_u16 v144, v184, v144
	v_and_b32_e32 v184, 0x3030303, v166
	v_bfe_u32 v166, v166, 24, 2
	v_or_b32_sdwa v157, v161, v157 dst_sel:WORD_1 dst_unused:UNUSED_PAD src0_sel:BYTE_0 src1_sel:DWORD
	v_lshlrev_b16 v161, 8, v177
	v_or_b32_sdwa v158, v162, v158 dst_sel:WORD_1 dst_unused:UNUSED_PAD src0_sel:BYTE_0 src1_sel:DWORD
	v_lshrrev_b16 v185, 8, v184
	v_lshlrev_b16 v162, 8, v179
	v_or_b32_sdwa v159, v163, v159 dst_sel:WORD_1 dst_unused:UNUSED_PAD src0_sel:BYTE_0 src1_sel:DWORD
	v_lshlrev_b16 v163, 8, v181
	v_lshlrev_b16 v164, 8, v164
	v_sub_nc_u16 v185, v185, v186
	v_lshrrev_b32_e32 v186, 24, v143
	v_or_b32_sdwa v172, v172, v173 dst_sel:DWORD dst_unused:UNUSED_PAD src0_sel:BYTE_0 src1_sel:DWORD
	v_or_b32_sdwa v160, v174, v160 dst_sel:DWORD dst_unused:UNUSED_PAD src0_sel:BYTE_0 src1_sel:DWORD
	;; [unrolled: 1-line block ×4, first 2 shown]
	v_sub_nc_u16 v166, v166, v186
	v_lshrrev_b32_e32 v186, 16, v184
	v_sub_nc_u16 v184, v184, v143
	v_lshrrev_b32_e32 v143, 16, v143
	v_or_b32_sdwa v163, v180, v163 dst_sel:DWORD dst_unused:UNUSED_PAD src0_sel:BYTE_0 src1_sel:DWORD
	v_or_b32_sdwa v145, v145, v164 dst_sel:WORD_1 dst_unused:UNUSED_PAD src0_sel:BYTE_0 src1_sel:DWORD
	v_lshlrev_b16 v164, 8, v183
	v_lshlrev_b16 v165, 8, v165
	v_sub_nc_u16 v143, v186, v143
	v_and_b32_e32 v186, 0x3030303, v167
	v_bfe_u32 v167, v167, 24, 2
	v_or_b32_sdwa v145, v163, v145 dst_sel:DWORD dst_unused:UNUSED_PAD src0_sel:WORD_0 src1_sel:DWORD
	v_or_b32_sdwa v164, v182, v164 dst_sel:DWORD dst_unused:UNUSED_PAD src0_sel:BYTE_0 src1_sel:DWORD
	v_or_b32_sdwa v144, v144, v165 dst_sel:WORD_1 dst_unused:UNUSED_PAD src0_sel:BYTE_0 src1_sel:DWORD
	v_lshrrev_b16 v187, 8, v186
	v_ashrrev_i32_e32 v10, s19, v10
	v_ashrrev_i32_e32 v11, s19, v11
	v_lshlrev_b16 v165, 8, v185
	v_or_b32_sdwa v144, v164, v144 dst_sel:DWORD dst_unused:UNUSED_PAD src0_sel:WORD_0 src1_sel:DWORD
	v_sub_nc_u16 v187, v187, v188
	v_lshrrev_b32_e32 v188, 24, v142
	v_mov_b32_e32 v164, 0
	v_lshlrev_b32_e32 v10, 2, v10
	v_lshlrev_b32_e32 v11, 2, v11
	v_lshlrev_b16 v166, 8, v166
	v_sub_nc_u16 v167, v167, v188
	v_lshrrev_b32_e32 v188, 16, v186
	v_sub_nc_u16 v186, v186, v142
	v_lshrrev_b32_e32 v142, 16, v142
	v_and_b32_e32 v10, 0x4040404, v10
	v_lshlrev_b16 v167, 8, v167
	v_and_b32_e32 v11, 0x4040404, v11
	v_or_b32_sdwa v165, v184, v165 dst_sel:DWORD dst_unused:UNUSED_PAD src0_sel:BYTE_0 src1_sel:DWORD
	v_sub_nc_u16 v142, v188, v142
	v_and_b32_e32 v188, 0x3030303, v168
	v_bfe_u32 v168, v168, 24, 2
	v_or_b32_sdwa v143, v143, v166 dst_sel:WORD_1 dst_unused:UNUSED_PAD src0_sel:BYTE_0 src1_sel:DWORD
	v_ashrrev_i32_e32 v12, s19, v12
	v_or_b32_sdwa v142, v142, v167 dst_sel:WORD_1 dst_unused:UNUSED_PAD src0_sel:BYTE_0 src1_sel:DWORD
	v_lshrrev_b16 v189, 8, v188
	s_and_b32 s24, s1, -16
	v_or_b32_sdwa v143, v165, v143 dst_sel:DWORD dst_unused:UNUSED_PAD src0_sel:WORD_0 src1_sel:DWORD
	v_lshlrev_b32_e32 v12, 2, v12
	s_add_i32 s21, s21, s24
	v_sub_nc_u16 v189, v189, v190
	v_lshrrev_b32_e32 v190, 24, v141
	v_lshlrev_b16 v166, 8, v187
	v_and_b32_e32 v12, 0x4040404, v12
	v_ashrrev_i32_e32 v13, s19, v13
	v_lshlrev_b16 v167, 8, v189
	v_sub_nc_u16 v168, v168, v190
	v_lshrrev_b32_e32 v190, 16, v188
	v_sub_nc_u16 v188, v188, v141
	v_lshrrev_b32_e32 v141, 16, v141
	v_or_b32_sdwa v166, v186, v166 dst_sel:DWORD dst_unused:UNUSED_PAD src0_sel:BYTE_0 src1_sel:DWORD
	v_lshlrev_b16 v168, 8, v168
	v_lshrrev_b16 v165, 8, v12
	v_or_b32_sdwa v167, v188, v167 dst_sel:DWORD dst_unused:UNUSED_PAD src0_sel:BYTE_0 src1_sel:DWORD
	v_sub_nc_u16 v141, v190, v141
	v_and_b32_e32 v190, 0x3030303, v169
	v_bfe_u32 v169, v169, 24, 2
	v_or_b32_sdwa v142, v166, v142 dst_sel:DWORD dst_unused:UNUSED_PAD src0_sel:WORD_0 src1_sel:DWORD
	v_lshlrev_b32_e32 v13, 2, v13
	v_or_b32_sdwa v141, v141, v168 dst_sel:WORD_1 dst_unused:UNUSED_PAD src0_sel:BYTE_0 src1_sel:DWORD
	v_lshrrev_b16 v191, 8, v190
	v_ashrrev_i32_e32 v14, s19, v14
	v_ashrrev_i32_e32 v15, s19, v15
	v_and_b32_e32 v13, 0x4040404, v13
	v_ashrrev_i32_e32 v16, s19, v16
	v_sub_nc_u16 v191, v191, v192
	v_lshrrev_b32_e32 v192, 24, v140
	v_lshlrev_b32_e32 v14, 2, v14
	v_lshlrev_b32_e32 v15, 2, v15
	v_ashrrev_i32_e32 v150, s22, v150
	v_lshlrev_b16 v168, 8, v191
	v_sub_nc_u16 v169, v169, v192
	v_lshrrev_b32_e32 v192, 16, v190
	v_sub_nc_u16 v190, v190, v140
	v_lshrrev_b32_e32 v140, 16, v140
	v_and_b32_e32 v14, 0x4040404, v14
	v_lshlrev_b16 v169, 8, v169
	v_and_b32_e32 v15, 0x4040404, v15
	v_or_b32_sdwa v168, v190, v168 dst_sel:DWORD dst_unused:UNUSED_PAD src0_sel:BYTE_0 src1_sel:DWORD
	v_sub_nc_u16 v140, v192, v140
	v_and_b32_e32 v192, 0x3030303, v148
	v_bfe_u32 v148, v148, 24, 2
	v_lshlrev_b32_e32 v16, 2, v16
	v_ashrrev_i32_e32 v17, s19, v17
	v_or_b32_sdwa v140, v140, v169 dst_sel:WORD_1 dst_unused:UNUSED_PAD src0_sel:BYTE_0 src1_sel:DWORD
	v_lshrrev_b16 v193, 8, v192
	v_ashrrev_i32_e32 v151, s22, v151
	v_and_b32_e32 v16, 0x4040404, v16
	v_lshlrev_b32_e32 v17, 2, v17
	v_ashrrev_i32_e32 v18, s19, v18
	v_sub_nc_u16 v193, v193, v194
	v_lshrrev_b32_e32 v194, 24, v139
	v_lshrrev_b16 v173, 8, v16
	v_and_b32_e32 v17, 0x4040404, v17
	v_lshlrev_b32_e32 v18, 2, v18
	v_lshlrev_b16 v169, 8, v193
	v_sub_nc_u16 v148, v148, v194
	v_lshrrev_b32_e32 v194, 16, v192
	v_sub_nc_u16 v192, v192, v139
	v_lshrrev_b32_e32 v139, 16, v139
	v_lshrrev_b16 v175, 8, v17
	v_lshlrev_b16 v148, 8, v148
	v_and_b32_e32 v18, 0x4040404, v18
	v_or_b32_sdwa v169, v192, v169 dst_sel:DWORD dst_unused:UNUSED_PAD src0_sel:BYTE_0 src1_sel:DWORD
	v_sub_nc_u16 v139, v194, v139
	v_and_b32_e32 v194, 0x3030303, v149
	v_bfe_u32 v149, v149, 24, 2
	v_lshrrev_b16 v177, 8, v18
	v_ashrrev_i32_e32 v19, s19, v19
	v_or_b32_sdwa v139, v139, v148 dst_sel:WORD_1 dst_unused:UNUSED_PAD src0_sel:BYTE_0 src1_sel:DWORD
	v_lshrrev_b16 v195, 8, v194
	v_ashrrev_i32_e32 v8, s19, v8
	v_ashrrev_i32_e32 v9, s19, v9
	v_lshlrev_b32_e32 v19, 2, v19
	v_ashrrev_i32_e32 v152, s22, v152
	v_sub_nc_u16 v195, v195, v196
	v_lshrrev_b32_e32 v196, 24, v138
	v_lshlrev_b32_e32 v8, 2, v8
	v_and_b32_e32 v19, 0x4040404, v19
	v_lshlrev_b32_e32 v9, 2, v9
	v_lshlrev_b16 v148, 8, v195
	v_sub_nc_u16 v149, v149, v196
	v_lshrrev_b32_e32 v196, 16, v194
	v_sub_nc_u16 v194, v194, v138
	v_lshrrev_b32_e32 v138, 16, v138
	v_lshrrev_b16 v179, 8, v19
	v_lshlrev_b16 v149, 8, v149
	v_and_b32_e32 v8, 0x4040404, v8
	v_or_b32_sdwa v148, v194, v148 dst_sel:DWORD dst_unused:UNUSED_PAD src0_sel:BYTE_0 src1_sel:DWORD
	v_sub_nc_u16 v138, v196, v138
	v_and_b32_e32 v196, 0x3030303, v170
	v_bfe_u32 v170, v170, 24, 2
	v_lshrrev_b16 v181, 8, v8
	v_and_b32_e32 v9, 0x4040404, v9
	v_or_b32_sdwa v138, v138, v149 dst_sel:WORD_1 dst_unused:UNUSED_PAD src0_sel:BYTE_0 src1_sel:DWORD
	v_lshrrev_b16 v197, 8, v196
	v_ashrrev_i32_e32 v153, s22, v153
	v_ashrrev_i32_e32 v20, s19, v20
	v_lshrrev_b16 v183, 8, v9
	v_or_b32_sdwa v148, v148, v138 dst_sel:DWORD dst_unused:UNUSED_PAD src0_sel:WORD_0 src1_sel:DWORD
	v_sub_nc_u16 v197, v197, v198
	v_lshrrev_b32_e32 v198, 24, v137
	v_lshlrev_b32_e32 v20, 2, v20
	v_ashrrev_i32_e32 v21, s19, v21
	s_add_i32 s1, s1, 2
	v_lshlrev_b16 v149, 8, v197
	v_sub_nc_u16 v170, v170, v198
	v_lshrrev_b32_e32 v198, 16, v196
	v_sub_nc_u16 v196, v196, v137
	v_lshrrev_b32_e32 v137, 16, v137
	v_and_b32_e32 v20, 0x4040404, v20
	v_lshlrev_b16 v170, 8, v170
	v_lshlrev_b32_e32 v21, 2, v21
	v_or_b32_sdwa v149, v196, v149 dst_sel:DWORD dst_unused:UNUSED_PAD src0_sel:BYTE_0 src1_sel:DWORD
	v_sub_nc_u16 v137, v198, v137
	v_and_b32_e32 v198, 0x3030303, v171
	v_bfe_u32 v171, v171, 24, 2
	v_lshrrev_b16 v189, 8, v20
	v_and_b32_e32 v21, 0x4040404, v21
	v_or_b32_sdwa v137, v137, v170 dst_sel:WORD_1 dst_unused:UNUSED_PAD src0_sel:BYTE_0 src1_sel:DWORD
	v_lshrrev_b16 v199, 8, v198
	v_lshrrev_b16 v191, 8, v21
	v_or_b32_sdwa v149, v149, v137 dst_sel:DWORD dst_unused:UNUSED_PAD src0_sel:WORD_0 src1_sel:DWORD
	v_sub_nc_u16 v199, v199, v200
	v_lshrrev_b32_e32 v200, 24, v135
	v_lshlrev_b16 v170, 8, v199
	v_sub_nc_u16 v171, v171, v200
	v_lshrrev_b32_e32 v200, 16, v198
	v_sub_nc_u16 v198, v198, v135
	v_lshrrev_b32_e32 v135, 16, v135
	v_lshlrev_b16 v171, 8, v171
	v_or_b32_sdwa v170, v198, v170 dst_sel:DWORD dst_unused:UNUSED_PAD src0_sel:BYTE_0 src1_sel:DWORD
	v_sub_nc_u16 v135, v200, v135
	v_and_b32_e32 v200, 0x3030303, v146
	v_bfe_u32 v146, v146, 24, 2
	v_or_b32_sdwa v135, v135, v171 dst_sel:WORD_1 dst_unused:UNUSED_PAD src0_sel:BYTE_0 src1_sel:DWORD
	v_lshrrev_b16 v201, 8, v200
	v_sub_nc_u16 v201, v201, v202
	v_lshrrev_b32_e32 v202, 24, v136
	v_lshlrev_b16 v171, 8, v201
	v_sub_nc_u16 v146, v146, v202
	v_lshrrev_b32_e32 v202, 16, v200
	v_sub_nc_u16 v200, v200, v136
	v_lshrrev_b32_e32 v136, 16, v136
	v_lshlrev_b16 v146, 8, v146
	v_or_b32_sdwa v171, v200, v171 dst_sel:DWORD dst_unused:UNUSED_PAD src0_sel:BYTE_0 src1_sel:DWORD
	v_sub_nc_u16 v136, v202, v136
	v_and_b32_e32 v202, 0x3030303, v147
	v_bfe_u32 v147, v147, 24, 2
	v_or_b32_sdwa v136, v136, v146 dst_sel:WORD_1 dst_unused:UNUSED_PAD src0_sel:BYTE_0 src1_sel:DWORD
	v_lshrrev_b16 v203, 8, v202
	v_or_b32_sdwa v163, v171, v136 dst_sel:DWORD dst_unused:UNUSED_PAD src0_sel:WORD_0 src1_sel:DWORD
	v_sub_nc_u16 v203, v203, v204
	v_lshrrev_b32_e32 v204, 24, v134
	v_lshrrev_b16 v171, 8, v15
	v_lshlrev_b16 v146, 8, v203
	v_sub_nc_u16 v147, v147, v204
	v_lshrrev_b32_e32 v204, 16, v202
	v_sub_nc_u16 v202, v202, v134
	v_lshrrev_b32_e32 v134, 16, v134
	v_lshlrev_b16 v147, 8, v147
	v_or_b32_sdwa v146, v202, v146 dst_sel:DWORD dst_unused:UNUSED_PAD src0_sel:BYTE_0 src1_sel:DWORD
	v_sub_nc_u16 v134, v204, v134
	v_or_b32_sdwa v134, v134, v147 dst_sel:WORD_1 dst_unused:UNUSED_PAD src0_sel:BYTE_0 src1_sel:DWORD
	v_or_b32_sdwa v147, v172, v156 dst_sel:DWORD dst_unused:UNUSED_PAD src0_sel:WORD_0 src1_sel:DWORD
	v_or_b32_sdwa v156, v160, v157 dst_sel:DWORD dst_unused:UNUSED_PAD src0_sel:WORD_0 src1_sel:DWORD
	;; [unrolled: 1-line block ×9, first 2 shown]
	ds_read_b128 v[134:137], v129
	ds_read_b128 v[138:141], v129 offset:16
	v_lshrrev_b16 v167, 8, v13
	v_lshrrev_b16 v169, 8, v14
	v_add_nc_u32_e32 v129, 32, v129
	s_waitcnt lgkmcnt(1)
	v_dot4c_i32_i8 v164, v147, v134
	v_mov_b32_e32 v147, 0
	v_dot4c_i32_i8 v164, v156, v135
	v_dot4c_i32_i8 v147, v145, v134
	v_mov_b32_e32 v145, 0
	v_dot4c_i32_i8 v164, v157, v136
	v_dot4c_i32_i8 v147, v144, v135
	;; [unrolled: 1-line block ×3, first 2 shown]
	v_mov_b32_e32 v159, 0
	v_dot4c_i32_i8 v164, v158, v137
	v_dot4c_i32_i8 v147, v143, v136
	;; [unrolled: 1-line block ×4, first 2 shown]
	v_ashrrev_i32_e32 v134, s22, v4
	v_lshrrev_b16 v160, 8, v10
	v_add_nc_u32_e32 v4, s21, v93
	v_dot4c_i32_i8 v145, v161, v136
	v_dot4c_i32_i8 v159, v162, v135
	v_and_b32_e32 v157, 0x3030303, v134
	v_bfe_u32 v134, v134, 24, 2
	v_ashrrev_i32_e32 v135, s22, v5
	v_lshrrev_b16 v162, 8, v11
	v_dot4c_i32_i8 v159, v163, v136
	v_lshrrev_b16 v158, 8, v157
	v_ashrrev_i32_e32 v136, s22, v6
	ds_read_u16 v144, v4 offset:26370
	v_add3_u32 v4, s23, v117, v118
	v_dot4c_i32_i8 v159, v146, v137
	v_sub_nc_u16 v158, v158, v160
	v_lshrrev_b32_e32 v160, 24, v10
	v_add_nc_u32_e32 v6, 0x1098, v131
	ds_read_b32 v146, v4
	v_add_nc_u32_e32 v4, 0x1090, v131
	v_dot4c_i32_i8 v147, v142, v137
	v_sub_nc_u16 v134, v134, v160
	v_lshrrev_b32_e32 v160, 16, v157
	v_sub_nc_u16 v157, v157, v10
	v_lshrrev_b32_e32 v10, 16, v10
	v_dot4c_i32_i8 v145, v148, v137
	v_ashrrev_i32_e32 v137, s22, v7
	ds_read2_b32 v[4:5], v4 offset1:1
	ds_read2_b32 v[6:7], v6 offset1:1
	v_ashrrev_i32_e32 v142, s19, v154
	v_sub_nc_u16 v10, v160, v10
	v_and_b32_e32 v160, 0x3030303, v135
	v_bfe_u32 v135, v135, 24, 2
	v_ashrrev_i32_e32 v143, s19, v155
	v_lshlrev_b32_e32 v142, 2, v142
	v_lshlrev_b16 v158, 8, v158
	v_lshrrev_b16 v161, 8, v160
	v_lshlrev_b16 v134, 8, v134
	v_lshlrev_b32_e32 v143, 2, v143
	v_and_b32_e32 v142, 0x4040404, v142
	v_or_b32_sdwa v157, v157, v158 dst_sel:DWORD dst_unused:UNUSED_PAD src0_sel:BYTE_0 src1_sel:DWORD
	v_sub_nc_u16 v161, v161, v162
	v_lshrrev_b32_e32 v162, 24, v11
	v_and_b32_e32 v143, 0x4040404, v143
	v_lshrrev_b16 v185, 8, v142
	v_or_b32_sdwa v10, v10, v134 dst_sel:WORD_1 dst_unused:UNUSED_PAD src0_sel:BYTE_0 src1_sel:DWORD
	v_lshlrev_b16 v134, 8, v161
	v_sub_nc_u16 v135, v135, v162
	v_lshrrev_b32_e32 v162, 16, v160
	v_sub_nc_u16 v160, v160, v11
	v_lshrrev_b32_e32 v11, 16, v11
	s_waitcnt lgkmcnt(1)
	v_ashrrev_i32_e32 v148, s22, v4
	v_ashrrev_i32_e32 v149, s22, v5
	v_add_nc_u32_e32 v5, s21, v91
	s_waitcnt lgkmcnt(0)
	v_ashrrev_i32_e32 v154, s22, v6
	v_sub_nc_u16 v11, v162, v11
	v_and_b32_e32 v162, 0x3030303, v136
	v_bfe_u32 v136, v136, 24, 2
	v_add_nc_u32_e32 v4, 0x3190, v131
	v_add_nc_u32_e32 v6, 0x3198, v131
	ds_read_u16 v131, v5 offset:28418
	v_lshrrev_b16 v163, 8, v162
	v_add3_u32 v5, s23, v126, v127
	v_ashrrev_i32_e32 v155, s22, v7
	ds_read_b32 v156, v5
	ds_read2_b32 v[4:5], v4 offset1:1
	ds_read2_b32 v[6:7], v6 offset1:1
	v_sub_nc_u16 v163, v163, v165
	v_lshrrev_b32_e32 v165, 24, v12
	v_lshrrev_b16 v187, 8, v143
	v_or_b32_sdwa v10, v157, v10 dst_sel:DWORD dst_unused:UNUSED_PAD src0_sel:WORD_0 src1_sel:DWORD
	v_lshlrev_b16 v135, 8, v135
	v_or_b32_sdwa v134, v160, v134 dst_sel:DWORD dst_unused:UNUSED_PAD src0_sel:BYTE_0 src1_sel:DWORD
	v_sub_nc_u16 v136, v136, v165
	v_lshrrev_b32_e32 v165, 16, v162
	v_sub_nc_u16 v162, v162, v12
	v_lshrrev_b32_e32 v12, 16, v12
	v_or_b32_sdwa v11, v11, v135 dst_sel:WORD_1 dst_unused:UNUSED_PAD src0_sel:BYTE_0 src1_sel:DWORD
	v_lshlrev_b16 v135, 8, v163
	v_lshlrev_b16 v136, 8, v136
	s_add_i32 s19, s19, 1
	v_sub_nc_u16 v12, v165, v12
	v_and_b32_e32 v165, 0x3030303, v137
	v_bfe_u32 v137, v137, 24, 2
	v_or_b32_sdwa v11, v134, v11 dst_sel:DWORD dst_unused:UNUSED_PAD src0_sel:WORD_0 src1_sel:DWORD
	s_waitcnt lgkmcnt(1)
	v_ashrrev_i32_e32 v4, s22, v4
	v_ashrrev_i32_e32 v5, s22, v5
	v_lshrrev_b16 v166, 8, v165
	s_waitcnt lgkmcnt(0)
	v_ashrrev_i32_e32 v6, s22, v6
	v_ashrrev_i32_e32 v7, s22, v7
	v_mov_b32_e32 v134, 0
	v_or_b32_sdwa v135, v162, v135 dst_sel:DWORD dst_unused:UNUSED_PAD src0_sel:BYTE_0 src1_sel:DWORD
	v_sub_nc_u16 v166, v166, v167
	v_lshrrev_b32_e32 v167, 24, v13
	v_or_b32_sdwa v12, v12, v136 dst_sel:WORD_1 dst_unused:UNUSED_PAD src0_sel:BYTE_0 src1_sel:DWORD
	s_cmp_lt_u32 s20, 14
	v_lshlrev_b16 v136, 8, v166
	v_sub_nc_u16 v137, v137, v167
	v_lshrrev_b32_e32 v167, 16, v165
	v_sub_nc_u16 v165, v165, v13
	v_lshrrev_b32_e32 v13, 16, v13
	v_or_b32_sdwa v12, v135, v12 dst_sel:DWORD dst_unused:UNUSED_PAD src0_sel:WORD_0 src1_sel:DWORD
	v_lshlrev_b16 v137, 8, v137
	v_or_b32_sdwa v136, v165, v136 dst_sel:DWORD dst_unused:UNUSED_PAD src0_sel:BYTE_0 src1_sel:DWORD
	v_sub_nc_u16 v13, v167, v13
	v_and_b32_e32 v167, 0x3030303, v148
	v_bfe_u32 v148, v148, 24, 2
	v_or_b32_sdwa v13, v13, v137 dst_sel:WORD_1 dst_unused:UNUSED_PAD src0_sel:BYTE_0 src1_sel:DWORD
	v_lshrrev_b16 v168, 8, v167
	v_or_b32_sdwa v13, v136, v13 dst_sel:DWORD dst_unused:UNUSED_PAD src0_sel:WORD_0 src1_sel:DWORD
	v_sub_nc_u16 v168, v168, v169
	v_lshrrev_b32_e32 v169, 24, v14
	v_lshlrev_b16 v137, 8, v168
	v_sub_nc_u16 v148, v148, v169
	v_lshrrev_b32_e32 v169, 16, v167
	v_sub_nc_u16 v167, v167, v14
	v_lshrrev_b32_e32 v14, 16, v14
	v_lshlrev_b16 v148, 8, v148
	v_or_b32_sdwa v137, v167, v137 dst_sel:DWORD dst_unused:UNUSED_PAD src0_sel:BYTE_0 src1_sel:DWORD
	v_sub_nc_u16 v14, v169, v14
	v_and_b32_e32 v169, 0x3030303, v149
	v_bfe_u32 v149, v149, 24, 2
	v_or_b32_sdwa v14, v14, v148 dst_sel:WORD_1 dst_unused:UNUSED_PAD src0_sel:BYTE_0 src1_sel:DWORD
	v_lshrrev_b16 v170, 8, v169
	v_or_b32_sdwa v14, v137, v14 dst_sel:DWORD dst_unused:UNUSED_PAD src0_sel:WORD_0 src1_sel:DWORD
	v_sub_nc_u16 v170, v170, v171
	v_lshrrev_b32_e32 v171, 24, v15
	v_lshlrev_b16 v148, 8, v170
	v_sub_nc_u16 v149, v149, v171
	v_lshrrev_b32_e32 v171, 16, v169
	v_sub_nc_u16 v169, v169, v15
	v_lshrrev_b32_e32 v15, 16, v15
	;; [unrolled: 15-line block ×3, first 2 shown]
	v_lshlrev_b16 v150, 8, v150
	v_or_b32_sdwa v149, v171, v149 dst_sel:DWORD dst_unused:UNUSED_PAD src0_sel:BYTE_0 src1_sel:DWORD
	v_sub_nc_u16 v16, v173, v16
	v_and_b32_e32 v173, 0x3030303, v151
	v_bfe_u32 v151, v151, 24, 2
	v_or_b32_sdwa v16, v16, v150 dst_sel:WORD_1 dst_unused:UNUSED_PAD src0_sel:BYTE_0 src1_sel:DWORD
	v_lshrrev_b16 v174, 8, v173
	v_or_b32_sdwa v16, v149, v16 dst_sel:DWORD dst_unused:UNUSED_PAD src0_sel:WORD_0 src1_sel:DWORD
	v_sub_nc_u16 v174, v174, v175
	v_lshrrev_b32_e32 v175, 24, v17
	v_dot4c_i32_i8 v134, v16, v138
	v_lshlrev_b16 v150, 8, v174
	v_sub_nc_u16 v151, v151, v175
	v_lshrrev_b32_e32 v175, 16, v173
	v_sub_nc_u16 v173, v173, v17
	v_lshrrev_b32_e32 v17, 16, v17
	v_lshlrev_b16 v151, 8, v151
	v_or_b32_sdwa v150, v173, v150 dst_sel:DWORD dst_unused:UNUSED_PAD src0_sel:BYTE_0 src1_sel:DWORD
	v_sub_nc_u16 v17, v175, v17
	v_and_b32_e32 v175, 0x3030303, v4
	v_bfe_u32 v4, v4, 24, 2
	v_or_b32_sdwa v17, v17, v151 dst_sel:WORD_1 dst_unused:UNUSED_PAD src0_sel:BYTE_0 src1_sel:DWORD
	v_lshrrev_b16 v176, 8, v175
	v_or_b32_sdwa v17, v150, v17 dst_sel:DWORD dst_unused:UNUSED_PAD src0_sel:WORD_0 src1_sel:DWORD
	v_sub_nc_u16 v176, v176, v177
	v_lshrrev_b32_e32 v177, 24, v18
	v_dot4c_i32_i8 v134, v17, v139
	v_lshlrev_b16 v151, 8, v176
	v_sub_nc_u16 v4, v4, v177
	v_lshrrev_b32_e32 v177, 16, v175
	v_sub_nc_u16 v175, v175, v18
	v_lshrrev_b32_e32 v18, 16, v18
	v_lshlrev_b16 v4, 8, v4
	v_or_b32_sdwa v151, v175, v151 dst_sel:DWORD dst_unused:UNUSED_PAD src0_sel:BYTE_0 src1_sel:DWORD
	v_sub_nc_u16 v18, v177, v18
	v_and_b32_e32 v177, 0x3030303, v5
	v_bfe_u32 v5, v5, 24, 2
	v_or_b32_sdwa v4, v18, v4 dst_sel:WORD_1 dst_unused:UNUSED_PAD src0_sel:BYTE_0 src1_sel:DWORD
	v_lshrrev_b16 v178, 8, v177
	v_or_b32_sdwa v4, v151, v4 dst_sel:DWORD dst_unused:UNUSED_PAD src0_sel:WORD_0 src1_sel:DWORD
	v_sub_nc_u16 v178, v178, v179
	v_lshrrev_b32_e32 v179, 24, v19
	v_lshlrev_b16 v18, 8, v178
	v_sub_nc_u16 v5, v5, v179
	v_lshrrev_b32_e32 v179, 16, v177
	v_sub_nc_u16 v177, v177, v19
	v_lshrrev_b32_e32 v19, 16, v19
	v_lshlrev_b16 v5, 8, v5
	v_or_b32_sdwa v18, v177, v18 dst_sel:DWORD dst_unused:UNUSED_PAD src0_sel:BYTE_0 src1_sel:DWORD
	v_sub_nc_u16 v19, v179, v19
	v_and_b32_e32 v179, 0x3030303, v154
	v_bfe_u32 v154, v154, 24, 2
	v_or_b32_sdwa v5, v19, v5 dst_sel:WORD_1 dst_unused:UNUSED_PAD src0_sel:BYTE_0 src1_sel:DWORD
	v_lshrrev_b16 v180, 8, v179
	v_or_b32_sdwa v5, v18, v5 dst_sel:DWORD dst_unused:UNUSED_PAD src0_sel:WORD_0 src1_sel:DWORD
	v_sub_nc_u16 v180, v180, v181
	v_lshrrev_b32_e32 v181, 24, v8
	;; [unrolled: 15-line block ×5, first 2 shown]
	v_dot4c_i32_i8 v134, v18, v140
	v_lshlrev_b16 v152, 8, v186
	v_sub_nc_u16 v153, v153, v187
	v_lshrrev_b32_e32 v187, 16, v185
	v_sub_nc_u16 v185, v185, v143
	v_lshrrev_b32_e32 v143, 16, v143
	v_lshlrev_b16 v153, 8, v153
	v_or_b32_sdwa v152, v185, v152 dst_sel:DWORD dst_unused:UNUSED_PAD src0_sel:BYTE_0 src1_sel:DWORD
	v_sub_nc_u16 v143, v187, v143
	v_and_b32_e32 v187, 0x3030303, v6
	v_bfe_u32 v6, v6, 24, 2
	v_or_b32_sdwa v143, v143, v153 dst_sel:WORD_1 dst_unused:UNUSED_PAD src0_sel:BYTE_0 src1_sel:DWORD
	v_lshrrev_b16 v188, 8, v187
	v_or_b32_sdwa v19, v152, v143 dst_sel:DWORD dst_unused:UNUSED_PAD src0_sel:WORD_0 src1_sel:DWORD
	v_sub_nc_u16 v188, v188, v189
	v_lshrrev_b32_e32 v189, 24, v20
	v_dot4c_i32_i8 v134, v19, v141
	v_lshlrev_b16 v153, 8, v188
	v_sub_nc_u16 v6, v6, v189
	v_lshrrev_b32_e32 v189, 16, v187
	v_sub_nc_u16 v187, v187, v20
	v_lshrrev_b32_e32 v20, 16, v20
	v_lshlrev_b16 v6, 8, v6
	v_or_b32_sdwa v153, v187, v153 dst_sel:DWORD dst_unused:UNUSED_PAD src0_sel:BYTE_0 src1_sel:DWORD
	v_sub_nc_u16 v20, v189, v20
	v_and_b32_e32 v189, 0x3030303, v7
	v_bfe_u32 v7, v7, 24, 2
	v_or_b32_sdwa v6, v20, v6 dst_sel:WORD_1 dst_unused:UNUSED_PAD src0_sel:BYTE_0 src1_sel:DWORD
	v_lshrrev_b16 v190, 8, v189
	v_or_b32_sdwa v6, v153, v6 dst_sel:DWORD dst_unused:UNUSED_PAD src0_sel:WORD_0 src1_sel:DWORD
	v_sub_nc_u16 v190, v190, v191
	v_lshrrev_b32_e32 v191, 24, v21
	v_lshlrev_b16 v20, 8, v190
	v_sub_nc_u16 v7, v7, v191
	v_lshrrev_b32_e32 v191, 16, v189
	v_sub_nc_u16 v189, v189, v21
	v_lshrrev_b32_e32 v21, 16, v21
	v_lshlrev_b16 v7, 8, v7
	v_or_b32_sdwa v20, v189, v20 dst_sel:DWORD dst_unused:UNUSED_PAD src0_sel:BYTE_0 src1_sel:DWORD
	v_sub_nc_u16 v21, v191, v21
	v_or_b32_sdwa v7, v21, v7 dst_sel:WORD_1 dst_unused:UNUSED_PAD src0_sel:BYTE_0 src1_sel:DWORD
	v_mov_b32_e32 v21, 0
	v_or_b32_sdwa v7, v20, v7 dst_sel:DWORD dst_unused:UNUSED_PAD src0_sel:WORD_0 src1_sel:DWORD
	v_mov_b32_e32 v20, 0
	v_dot4c_i32_i8 v21, v10, v138
	v_add_nc_u32_e32 v10, s21, v94
	v_dot4c_i32_i8 v20, v14, v138
	v_mov_b32_e32 v14, 0
	v_dot4c_i32_i8 v21, v11, v139
	v_dot4c_i32_i8 v20, v15, v139
	;; [unrolled: 1-line block ×3, first 2 shown]
	v_add_nc_u32_e32 v4, s21, v92
	ds_read_u16 v10, v10 offset:25346
	ds_read_u16 v4, v4 offset:27394
	v_dot4c_i32_i8 v14, v5, v139
	v_bfe_i32 v5, v144, 0, 8
	v_dot4c_i32_i8 v21, v12, v140
	v_lshrrev_b16 v12, 8, v131
	v_bfe_i32 v131, v131, 0, 8
	v_dot4c_i32_i8 v14, v6, v140
	v_mul_lo_u32 v5, v147, v5
	v_dot4c_i32_i8 v20, v8, v140
	v_dot4c_i32_i8 v21, v13, v141
	ds_read_b32 v16, v130
	v_dot4c_i32_i8 v14, v7, v141
	v_mul_lo_u32 v7, v159, v131
	v_dot4c_i32_i8 v20, v9, v141
	v_bfe_i32 v12, v12, 0, 8
	v_add_nc_u32_e32 v130, 4, v130
	s_mov_b32 s21, s20
	s_waitcnt lgkmcnt(2)
	v_lshrrev_b16 v11, 8, v10
	v_bfe_i32 v10, v10, 0, 8
	s_waitcnt lgkmcnt(1)
	v_lshrrev_b16 v15, 8, v4
	v_bfe_i32 v17, v4, 0, 8
	v_lshrrev_b16 v4, 8, v144
	v_bfe_i32 v11, v11, 0, 8
	v_bfe_i32 v15, v15, 0, 8
	v_mul_lo_u32 v6, v145, v17
	v_bfe_i32 v135, v4, 0, 8
	v_mul_lo_u32 v4, v164, v10
	v_mad_u64_u32 v[8:9], null, v21, v11, v[4:5]
	v_mad_u64_u32 v[9:10], null, v20, v135, v[5:6]
	;; [unrolled: 1-line block ×3, first 2 shown]
	s_waitcnt lgkmcnt(0)
	v_mul_f32_e32 v4, v16, v133
	v_mul_f32_e32 v5, v16, v146
	v_mad_u64_u32 v[11:12], null, v14, v12, v[7:8]
	v_mul_f32_e32 v6, v16, v132
	v_mul_f32_e32 v7, v16, v156
	v_cvt_f32_i32_e32 v8, v8
	v_cvt_f32_i32_e32 v9, v9
	;; [unrolled: 1-line block ×4, first 2 shown]
	v_fmac_f32_e32 v23, v4, v8
	v_fmac_f32_e32 v85, v5, v9
	;; [unrolled: 1-line block ×4, first 2 shown]
	s_cbranch_scc1 .LBB229_19
; %bb.20:                               ;   in Loop: Header=BB229_5 Depth=1
	s_or_b32 s1, s4, 0x100
	s_cmp_ge_i32 s1, s15
	s_barrier
	buffer_gl0_inv
	s_cbranch_scc1 .LBB229_4
; %bb.21:                               ;   in Loop: Header=BB229_5 Depth=1
	v_add_nc_u32_e32 v4, s5, v87
	v_cmp_gt_i32_e64 s1, s9, v4
	s_and_b32 s19, s0, s1
	s_and_saveexec_b32 s1, s19
	s_cbranch_execz .LBB229_23
; %bb.22:                               ;   in Loop: Header=BB229_5 Depth=1
	v_add_nc_u32_e32 v4, v89, v4
	v_mad_i64_i32 v[4:5], null, v4, 36, v[1:2]
	global_load_dword v4, v[4:5], off offset:4
	s_waitcnt vmcnt(0)
	ds_write_b32 v83, v4
.LBB229_23:                             ;   in Loop: Header=BB229_5 Depth=1
	s_or_b32 exec_lo, exec_lo, s1
	s_and_saveexec_b32 s19, vcc_lo
	s_cbranch_execz .LBB229_26
; %bb.24:                               ;   in Loop: Header=BB229_5 Depth=1
	v_or_b32_e32 v4, 8, v128
	v_cmp_gt_i32_e64 s1, s9, v4
	s_and_b32 s1, s0, s1
	s_and_b32 exec_lo, exec_lo, s1
	s_cbranch_execz .LBB229_26
; %bb.25:                               ;   in Loop: Header=BB229_5 Depth=1
	v_ashrrev_i32_e32 v4, 31, v128
	v_add_co_u32 v5, s1, v89, v128
	v_add_co_ci_u32_e64 v6, null, v95, v4, s1
	v_mad_u64_u32 v[4:5], null, v5, 36, s[2:3]
	v_mad_i32_i24 v5, v6, 36, v5
	global_load_dword v4, v[4:5], off offset:288
	s_waitcnt vmcnt(0)
	v_cvt_f32_f16_e32 v4, v4
	ds_write_b32 v84, v4
.LBB229_26:                             ;   in Loop: Header=BB229_5 Depth=1
	s_or_b32 exec_lo, exec_lo, s19
	v_mov_b32_e32 v129, v80
	v_mov_b32_e32 v130, v81
	s_mov_b32 s1, 16
	s_mov_b32 s21, 14
	;; [unrolled: 1-line block ×3, first 2 shown]
	s_waitcnt lgkmcnt(0)
	s_barrier
	buffer_gl0_inv
.LBB229_27:                             ;   Parent Loop BB229_5 Depth=1
                                        ; =>  This Inner Loop Header: Depth=2
	s_add_i32 s20, s21, 2
	s_add_i32 s22, s21, -14
	s_lshr_b32 s23, s20, 4
	s_and_b32 s24, s20, 0x3ffffff8
	s_lshl_b32 s25, s23, 5
	v_lshl_add_u32 v131, s24, 2, v90
	s_add_i32 s24, s25, 0x4200
	s_lshl_b32 s23, s23, 2
	v_add3_u32 v8, s24, v112, v113
	v_add3_u32 v9, s24, v115, v116
	;; [unrolled: 1-line block ×3, first 2 shown]
	v_add_nc_u32_e32 v21, 0x1080, v131
	ds_read2_b32 v[18:19], v131 offset1:1
	ds_read2_b32 v[16:17], v131 offset0:2 offset1:3
	ds_read2_b32 v[4:5], v131 offset0:4 offset1:5
	;; [unrolled: 1-line block ×3, first 2 shown]
	ds_read2_b32 v[133:134], v8 offset1:1
	ds_read2_b32 v[135:136], v8 offset0:2 offset1:3
	ds_read2_b32 v[137:138], v9 offset1:1
	ds_read2_b32 v[139:140], v9 offset0:2 offset1:3
	ds_read2_b32 v[146:147], v132 offset0:2 offset1:3
	;; [unrolled: 1-line block ×5, first 2 shown]
	ds_read2_b32 v[148:149], v21 offset1:1
	ds_read2_b32 v[8:9], v9 offset0:6 offset1:7
	v_add_nc_u32_e32 v20, 0x2100, v131
	s_addk_i32 s23, 0x7380
	v_add_nc_u32_e32 v152, 0x2118, v131
	s_waitcnt lgkmcnt(13)
	v_ashrrev_i32_e32 v156, s22, v18
	v_ashrrev_i32_e32 v157, s22, v19
	s_waitcnt lgkmcnt(12)
	v_ashrrev_i32_e32 v158, s22, v16
	v_ashrrev_i32_e32 v159, s22, v17
	s_waitcnt lgkmcnt(9)
	v_ashrrev_i32_e32 v160, s19, v133
	v_and_b32_e32 v172, 0x3030303, v156
	v_ashrrev_i32_e32 v161, s19, v134
	v_bfe_u32 v156, v156, 24, 2
	ds_read2_b32 v[16:17], v132 offset0:4 offset1:5
	ds_read2_b32 v[150:151], v20 offset1:1
	ds_read2_b32 v[18:19], v132 offset1:1
	v_lshlrev_b32_e32 v160, 2, v160
	v_lshrrev_b16 v173, 8, v172
	v_lshlrev_b32_e32 v161, 2, v161
	s_waitcnt lgkmcnt(11)
	v_ashrrev_i32_e32 v162, s19, v135
	v_add3_u32 v20, s24, v123, v124
	v_and_b32_e32 v160, 0x4040404, v160
	v_ashrrev_i32_e32 v163, s19, v136
	v_and_b32_e32 v161, 0x4040404, v161
	v_lshlrev_b32_e32 v162, 2, v162
	s_waitcnt lgkmcnt(10)
	v_ashrrev_i32_e32 v144, s19, v138
	v_lshrrev_b16 v174, 8, v160
	s_waitcnt lgkmcnt(9)
	v_ashrrev_i32_e32 v143, s19, v139
	v_lshrrev_b16 v176, 8, v161
	v_and_b32_e32 v162, 0x4040404, v162
	v_ashrrev_i32_e32 v142, s19, v140
	v_sub_nc_u16 v173, v173, v174
	v_lshrrev_b32_e32 v174, 24, v160
	s_waitcnt lgkmcnt(8)
	v_ashrrev_i32_e32 v139, s19, v146
	v_lshrrev_b16 v178, 8, v162
	s_waitcnt lgkmcnt(0)
	v_ashrrev_i32_e32 v141, s19, v18
	v_add_nc_u32_e32 v18, 0x3180, v131
	v_sub_nc_u16 v156, v156, v174
	v_lshrrev_b32_e32 v174, 16, v172
	v_sub_nc_u16 v172, v172, v160
	v_lshrrev_b32_e32 v160, 16, v160
	v_ashrrev_i32_e32 v140, s19, v19
	v_ashrrev_i32_e32 v138, s19, v147
	ds_read2_b32 v[146:147], v18 offset1:1
	ds_read2_b32 v[18:19], v20 offset1:1
	v_lshlrev_b32_e32 v163, 2, v163
	v_sub_nc_u16 v160, v174, v160
	v_and_b32_e32 v174, 0x3030303, v157
	v_bfe_u32 v157, v157, 24, 2
	v_ashrrev_i32_e32 v145, s19, v137
	v_and_b32_e32 v163, 0x4040404, v163
	v_ashrrev_i32_e32 v164, s22, v148
	v_lshrrev_b16 v175, 8, v174
	v_add_nc_u32_e32 v148, 0x1088, v131
	v_lshlrev_b32_e32 v145, 2, v145
	v_lshrrev_b16 v180, 8, v163
	v_ashrrev_i32_e32 v165, s22, v149
	v_sub_nc_u16 v175, v175, v176
	v_lshrrev_b32_e32 v176, 24, v161
	v_and_b32_e32 v145, 0x4040404, v145
	v_lshlrev_b32_e32 v144, 2, v144
	v_lshlrev_b32_e32 v143, 2, v143
	;; [unrolled: 1-line block ×3, first 2 shown]
	v_sub_nc_u16 v157, v157, v176
	v_lshrrev_b32_e32 v176, 16, v174
	v_sub_nc_u16 v174, v174, v161
	v_lshrrev_b32_e32 v161, 16, v161
	s_waitcnt lgkmcnt(0)
	v_ashrrev_i32_e32 v137, s19, v18
	v_ashrrev_i32_e32 v135, s19, v19
	ds_read2_b32 v[133:134], v20 offset0:2 offset1:3
	ds_read2_b32 v[18:19], v20 offset0:4 offset1:5
	;; [unrolled: 1-line block ×3, first 2 shown]
	v_lshrrev_b16 v182, 8, v145
	v_sub_nc_u16 v161, v176, v161
	v_and_b32_e32 v176, 0x3030303, v158
	v_bfe_u32 v158, v158, 24, 2
	ds_read2_b32 v[148:149], v148 offset1:1
	v_and_b32_e32 v144, 0x4040404, v144
	v_and_b32_e32 v143, 0x4040404, v143
	v_lshrrev_b16 v177, 8, v176
	v_and_b32_e32 v142, 0x4040404, v142
	v_ashrrev_i32_e32 v168, s22, v150
	v_lshrrev_b16 v184, 8, v144
	v_lshrrev_b16 v186, 8, v143
	v_sub_nc_u16 v177, v177, v178
	v_lshrrev_b32_e32 v178, 24, v162
	v_lshrrev_b16 v188, 8, v142
	v_lshlrev_b32_e32 v141, 2, v141
	v_add_nc_u32_e32 v150, 0x2110, v131
	s_waitcnt lgkmcnt(3)
	v_ashrrev_i32_e32 v136, s19, v133
	v_sub_nc_u16 v158, v158, v178
	v_lshrrev_b32_e32 v178, 16, v176
	v_sub_nc_u16 v176, v176, v162
	v_lshrrev_b32_e32 v162, 16, v162
	v_add3_u32 v133, s23, v125, v114
	v_and_b32_e32 v141, 0x4040404, v141
	s_waitcnt lgkmcnt(0)
	v_ashrrev_i32_e32 v166, s22, v148
	v_ashrrev_i32_e32 v167, s22, v149
	v_sub_nc_u16 v162, v178, v162
	v_and_b32_e32 v178, 0x3030303, v159
	v_bfe_u32 v159, v159, 24, 2
	ds_read_b32 v133, v133
	v_lshrrev_b16 v190, 8, v141
	v_add_nc_u32_e32 v148, 0x2108, v131
	v_lshrrev_b16 v179, 8, v178
	v_ashrrev_i32_e32 v169, s22, v151
	v_lshlrev_b32_e32 v140, 2, v140
	ds_read2_b32 v[148:149], v148 offset1:1
	ds_read2_b32 v[150:151], v150 offset1:1
	;; [unrolled: 1-line block ×3, first 2 shown]
	ds_read2_b32 v[154:155], v132 offset0:6 offset1:7
	v_sub_nc_u16 v179, v179, v180
	v_lshrrev_b32_e32 v180, 24, v163
	v_and_b32_e32 v140, 0x4040404, v140
	v_lshlrev_b32_e32 v139, 2, v139
	v_lshlrev_b32_e32 v138, 2, v138
	v_ashrrev_i32_e32 v170, s22, v146
	v_sub_nc_u16 v159, v159, v180
	v_lshrrev_b32_e32 v180, 16, v178
	v_sub_nc_u16 v178, v178, v163
	v_lshrrev_b32_e32 v163, 16, v163
	v_lshrrev_b16 v192, 8, v140
	v_and_b32_e32 v139, 0x4040404, v139
	v_and_b32_e32 v138, 0x4040404, v138
	v_lshlrev_b32_e32 v137, 2, v137
	v_sub_nc_u16 v163, v180, v163
	v_and_b32_e32 v180, 0x3030303, v164
	v_bfe_u32 v164, v164, 24, 2
	s_waitcnt lgkmcnt(3)
	v_ashrrev_i32_e32 v148, s22, v148
	v_lshrrev_b16 v194, 8, v139
	v_ashrrev_i32_e32 v149, s22, v149
	v_lshrrev_b16 v181, 8, v180
	v_lshrrev_b16 v196, 8, v138
	v_and_b32_e32 v137, 0x4040404, v137
	v_add3_u32 v132, s23, v121, v122
	v_add_nc_u32_e32 v146, 0x3188, v131
	v_sub_nc_u16 v181, v181, v182
	v_lshrrev_b32_e32 v182, 24, v145
	v_lshrrev_b16 v198, 8, v137
	ds_read_b32 v132, v132
	v_ashrrev_i32_e32 v171, s22, v147
	ds_read2_b32 v[146:147], v146 offset1:1
	v_sub_nc_u16 v164, v164, v182
	v_lshrrev_b32_e32 v182, 16, v180
	v_sub_nc_u16 v180, v180, v145
	v_lshrrev_b32_e32 v145, 16, v145
	v_lshlrev_b32_e32 v135, 2, v135
	v_lshlrev_b32_e32 v136, 2, v136
	v_ashrrev_i32_e32 v134, s19, v134
	v_lshlrev_b16 v156, 8, v156
	v_sub_nc_u16 v145, v182, v145
	v_and_b32_e32 v182, 0x3030303, v165
	v_bfe_u32 v165, v165, 24, 2
	v_and_b32_e32 v135, 0x4040404, v135
	v_and_b32_e32 v136, 0x4040404, v136
	v_lshlrev_b32_e32 v134, 2, v134
	v_lshrrev_b16 v183, 8, v182
	v_lshlrev_b16 v157, 8, v157
	v_lshrrev_b16 v200, 8, v135
	v_lshrrev_b16 v202, 8, v136
	v_and_b32_e32 v134, 0x4040404, v134
	v_sub_nc_u16 v183, v183, v184
	v_lshrrev_b32_e32 v184, 24, v144
	s_waitcnt lgkmcnt(0)
	v_ashrrev_i32_e32 v146, s22, v146
	v_ashrrev_i32_e32 v147, s22, v147
	v_lshrrev_b16 v204, 8, v134
	v_lshlrev_b16 v158, 8, v158
	v_sub_nc_u16 v165, v165, v184
	v_lshrrev_b32_e32 v184, 16, v182
	v_sub_nc_u16 v182, v182, v144
	v_lshrrev_b32_e32 v144, 16, v144
	v_lshlrev_b16 v159, 8, v159
	v_lshlrev_b16 v173, 8, v173
	v_or_b32_sdwa v156, v160, v156 dst_sel:WORD_1 dst_unused:UNUSED_PAD src0_sel:BYTE_0 src1_sel:DWORD
	v_lshlrev_b16 v160, 8, v175
	v_sub_nc_u16 v144, v184, v144
	v_and_b32_e32 v184, 0x3030303, v166
	v_bfe_u32 v166, v166, 24, 2
	v_or_b32_sdwa v157, v161, v157 dst_sel:WORD_1 dst_unused:UNUSED_PAD src0_sel:BYTE_0 src1_sel:DWORD
	v_lshlrev_b16 v161, 8, v177
	v_or_b32_sdwa v158, v162, v158 dst_sel:WORD_1 dst_unused:UNUSED_PAD src0_sel:BYTE_0 src1_sel:DWORD
	v_lshrrev_b16 v185, 8, v184
	v_lshlrev_b16 v162, 8, v179
	v_or_b32_sdwa v159, v163, v159 dst_sel:WORD_1 dst_unused:UNUSED_PAD src0_sel:BYTE_0 src1_sel:DWORD
	v_lshlrev_b16 v163, 8, v181
	v_lshlrev_b16 v164, 8, v164
	v_sub_nc_u16 v185, v185, v186
	v_lshrrev_b32_e32 v186, 24, v143
	v_or_b32_sdwa v172, v172, v173 dst_sel:DWORD dst_unused:UNUSED_PAD src0_sel:BYTE_0 src1_sel:DWORD
	v_or_b32_sdwa v160, v174, v160 dst_sel:DWORD dst_unused:UNUSED_PAD src0_sel:BYTE_0 src1_sel:DWORD
	v_or_b32_sdwa v161, v176, v161 dst_sel:DWORD dst_unused:UNUSED_PAD src0_sel:BYTE_0 src1_sel:DWORD
	v_or_b32_sdwa v162, v178, v162 dst_sel:DWORD dst_unused:UNUSED_PAD src0_sel:BYTE_0 src1_sel:DWORD
	v_sub_nc_u16 v166, v166, v186
	v_lshrrev_b32_e32 v186, 16, v184
	v_sub_nc_u16 v184, v184, v143
	v_lshrrev_b32_e32 v143, 16, v143
	v_or_b32_sdwa v163, v180, v163 dst_sel:DWORD dst_unused:UNUSED_PAD src0_sel:BYTE_0 src1_sel:DWORD
	v_or_b32_sdwa v145, v145, v164 dst_sel:WORD_1 dst_unused:UNUSED_PAD src0_sel:BYTE_0 src1_sel:DWORD
	v_lshlrev_b16 v164, 8, v183
	v_lshlrev_b16 v165, 8, v165
	v_sub_nc_u16 v143, v186, v143
	v_and_b32_e32 v186, 0x3030303, v167
	v_bfe_u32 v167, v167, 24, 2
	v_or_b32_sdwa v145, v163, v145 dst_sel:DWORD dst_unused:UNUSED_PAD src0_sel:WORD_0 src1_sel:DWORD
	v_or_b32_sdwa v164, v182, v164 dst_sel:DWORD dst_unused:UNUSED_PAD src0_sel:BYTE_0 src1_sel:DWORD
	v_or_b32_sdwa v144, v144, v165 dst_sel:WORD_1 dst_unused:UNUSED_PAD src0_sel:BYTE_0 src1_sel:DWORD
	v_lshrrev_b16 v187, 8, v186
	v_ashrrev_i32_e32 v10, s19, v10
	v_ashrrev_i32_e32 v11, s19, v11
	v_lshlrev_b16 v165, 8, v185
	v_or_b32_sdwa v144, v164, v144 dst_sel:DWORD dst_unused:UNUSED_PAD src0_sel:WORD_0 src1_sel:DWORD
	v_sub_nc_u16 v187, v187, v188
	v_lshrrev_b32_e32 v188, 24, v142
	v_mov_b32_e32 v164, 0
	v_lshlrev_b32_e32 v10, 2, v10
	v_lshlrev_b32_e32 v11, 2, v11
	v_lshlrev_b16 v166, 8, v166
	v_sub_nc_u16 v167, v167, v188
	v_lshrrev_b32_e32 v188, 16, v186
	v_sub_nc_u16 v186, v186, v142
	v_lshrrev_b32_e32 v142, 16, v142
	v_and_b32_e32 v10, 0x4040404, v10
	v_lshlrev_b16 v167, 8, v167
	v_and_b32_e32 v11, 0x4040404, v11
	v_or_b32_sdwa v165, v184, v165 dst_sel:DWORD dst_unused:UNUSED_PAD src0_sel:BYTE_0 src1_sel:DWORD
	v_sub_nc_u16 v142, v188, v142
	v_and_b32_e32 v188, 0x3030303, v168
	v_bfe_u32 v168, v168, 24, 2
	v_or_b32_sdwa v143, v143, v166 dst_sel:WORD_1 dst_unused:UNUSED_PAD src0_sel:BYTE_0 src1_sel:DWORD
	v_ashrrev_i32_e32 v12, s19, v12
	v_or_b32_sdwa v142, v142, v167 dst_sel:WORD_1 dst_unused:UNUSED_PAD src0_sel:BYTE_0 src1_sel:DWORD
	v_lshrrev_b16 v189, 8, v188
	s_and_b32 s24, s1, -16
	v_or_b32_sdwa v143, v165, v143 dst_sel:DWORD dst_unused:UNUSED_PAD src0_sel:WORD_0 src1_sel:DWORD
	v_lshlrev_b32_e32 v12, 2, v12
	s_add_i32 s21, s21, s24
	v_sub_nc_u16 v189, v189, v190
	v_lshrrev_b32_e32 v190, 24, v141
	v_lshlrev_b16 v166, 8, v187
	v_and_b32_e32 v12, 0x4040404, v12
	v_ashrrev_i32_e32 v13, s19, v13
	v_lshlrev_b16 v167, 8, v189
	v_sub_nc_u16 v168, v168, v190
	v_lshrrev_b32_e32 v190, 16, v188
	v_sub_nc_u16 v188, v188, v141
	v_lshrrev_b32_e32 v141, 16, v141
	v_or_b32_sdwa v166, v186, v166 dst_sel:DWORD dst_unused:UNUSED_PAD src0_sel:BYTE_0 src1_sel:DWORD
	v_lshlrev_b16 v168, 8, v168
	v_lshrrev_b16 v165, 8, v12
	v_or_b32_sdwa v167, v188, v167 dst_sel:DWORD dst_unused:UNUSED_PAD src0_sel:BYTE_0 src1_sel:DWORD
	v_sub_nc_u16 v141, v190, v141
	v_and_b32_e32 v190, 0x3030303, v169
	v_bfe_u32 v169, v169, 24, 2
	v_or_b32_sdwa v142, v166, v142 dst_sel:DWORD dst_unused:UNUSED_PAD src0_sel:WORD_0 src1_sel:DWORD
	v_lshlrev_b32_e32 v13, 2, v13
	v_or_b32_sdwa v141, v141, v168 dst_sel:WORD_1 dst_unused:UNUSED_PAD src0_sel:BYTE_0 src1_sel:DWORD
	v_lshrrev_b16 v191, 8, v190
	v_ashrrev_i32_e32 v14, s19, v14
	v_ashrrev_i32_e32 v15, s19, v15
	v_and_b32_e32 v13, 0x4040404, v13
	v_ashrrev_i32_e32 v16, s19, v16
	v_sub_nc_u16 v191, v191, v192
	v_lshrrev_b32_e32 v192, 24, v140
	v_lshlrev_b32_e32 v14, 2, v14
	v_lshlrev_b32_e32 v15, 2, v15
	v_ashrrev_i32_e32 v150, s22, v150
	v_lshlrev_b16 v168, 8, v191
	v_sub_nc_u16 v169, v169, v192
	v_lshrrev_b32_e32 v192, 16, v190
	v_sub_nc_u16 v190, v190, v140
	v_lshrrev_b32_e32 v140, 16, v140
	v_and_b32_e32 v14, 0x4040404, v14
	v_lshlrev_b16 v169, 8, v169
	v_and_b32_e32 v15, 0x4040404, v15
	v_or_b32_sdwa v168, v190, v168 dst_sel:DWORD dst_unused:UNUSED_PAD src0_sel:BYTE_0 src1_sel:DWORD
	v_sub_nc_u16 v140, v192, v140
	v_and_b32_e32 v192, 0x3030303, v148
	v_bfe_u32 v148, v148, 24, 2
	v_lshlrev_b32_e32 v16, 2, v16
	v_ashrrev_i32_e32 v17, s19, v17
	v_or_b32_sdwa v140, v140, v169 dst_sel:WORD_1 dst_unused:UNUSED_PAD src0_sel:BYTE_0 src1_sel:DWORD
	v_lshrrev_b16 v193, 8, v192
	v_ashrrev_i32_e32 v151, s22, v151
	v_and_b32_e32 v16, 0x4040404, v16
	v_lshlrev_b32_e32 v17, 2, v17
	v_ashrrev_i32_e32 v18, s19, v18
	v_sub_nc_u16 v193, v193, v194
	v_lshrrev_b32_e32 v194, 24, v139
	v_lshrrev_b16 v173, 8, v16
	v_and_b32_e32 v17, 0x4040404, v17
	v_lshlrev_b32_e32 v18, 2, v18
	v_lshlrev_b16 v169, 8, v193
	v_sub_nc_u16 v148, v148, v194
	v_lshrrev_b32_e32 v194, 16, v192
	v_sub_nc_u16 v192, v192, v139
	v_lshrrev_b32_e32 v139, 16, v139
	v_lshrrev_b16 v175, 8, v17
	v_lshlrev_b16 v148, 8, v148
	v_and_b32_e32 v18, 0x4040404, v18
	v_or_b32_sdwa v169, v192, v169 dst_sel:DWORD dst_unused:UNUSED_PAD src0_sel:BYTE_0 src1_sel:DWORD
	v_sub_nc_u16 v139, v194, v139
	v_and_b32_e32 v194, 0x3030303, v149
	v_bfe_u32 v149, v149, 24, 2
	v_lshrrev_b16 v177, 8, v18
	v_ashrrev_i32_e32 v19, s19, v19
	v_or_b32_sdwa v139, v139, v148 dst_sel:WORD_1 dst_unused:UNUSED_PAD src0_sel:BYTE_0 src1_sel:DWORD
	v_lshrrev_b16 v195, 8, v194
	v_ashrrev_i32_e32 v8, s19, v8
	v_ashrrev_i32_e32 v9, s19, v9
	v_lshlrev_b32_e32 v19, 2, v19
	v_ashrrev_i32_e32 v152, s22, v152
	v_sub_nc_u16 v195, v195, v196
	v_lshrrev_b32_e32 v196, 24, v138
	v_lshlrev_b32_e32 v8, 2, v8
	v_and_b32_e32 v19, 0x4040404, v19
	v_lshlrev_b32_e32 v9, 2, v9
	v_lshlrev_b16 v148, 8, v195
	v_sub_nc_u16 v149, v149, v196
	v_lshrrev_b32_e32 v196, 16, v194
	v_sub_nc_u16 v194, v194, v138
	v_lshrrev_b32_e32 v138, 16, v138
	v_lshrrev_b16 v179, 8, v19
	v_lshlrev_b16 v149, 8, v149
	v_and_b32_e32 v8, 0x4040404, v8
	v_or_b32_sdwa v148, v194, v148 dst_sel:DWORD dst_unused:UNUSED_PAD src0_sel:BYTE_0 src1_sel:DWORD
	v_sub_nc_u16 v138, v196, v138
	v_and_b32_e32 v196, 0x3030303, v170
	v_bfe_u32 v170, v170, 24, 2
	v_lshrrev_b16 v181, 8, v8
	v_and_b32_e32 v9, 0x4040404, v9
	v_or_b32_sdwa v138, v138, v149 dst_sel:WORD_1 dst_unused:UNUSED_PAD src0_sel:BYTE_0 src1_sel:DWORD
	v_lshrrev_b16 v197, 8, v196
	v_ashrrev_i32_e32 v153, s22, v153
	v_ashrrev_i32_e32 v20, s19, v20
	v_lshrrev_b16 v183, 8, v9
	v_or_b32_sdwa v148, v148, v138 dst_sel:DWORD dst_unused:UNUSED_PAD src0_sel:WORD_0 src1_sel:DWORD
	v_sub_nc_u16 v197, v197, v198
	v_lshrrev_b32_e32 v198, 24, v137
	v_lshlrev_b32_e32 v20, 2, v20
	v_ashrrev_i32_e32 v21, s19, v21
	s_add_i32 s1, s1, 2
	v_lshlrev_b16 v149, 8, v197
	v_sub_nc_u16 v170, v170, v198
	v_lshrrev_b32_e32 v198, 16, v196
	v_sub_nc_u16 v196, v196, v137
	v_lshrrev_b32_e32 v137, 16, v137
	v_and_b32_e32 v20, 0x4040404, v20
	v_lshlrev_b16 v170, 8, v170
	v_lshlrev_b32_e32 v21, 2, v21
	v_or_b32_sdwa v149, v196, v149 dst_sel:DWORD dst_unused:UNUSED_PAD src0_sel:BYTE_0 src1_sel:DWORD
	v_sub_nc_u16 v137, v198, v137
	v_and_b32_e32 v198, 0x3030303, v171
	v_bfe_u32 v171, v171, 24, 2
	v_lshrrev_b16 v189, 8, v20
	v_and_b32_e32 v21, 0x4040404, v21
	v_or_b32_sdwa v137, v137, v170 dst_sel:WORD_1 dst_unused:UNUSED_PAD src0_sel:BYTE_0 src1_sel:DWORD
	v_lshrrev_b16 v199, 8, v198
	v_lshrrev_b16 v191, 8, v21
	v_or_b32_sdwa v149, v149, v137 dst_sel:DWORD dst_unused:UNUSED_PAD src0_sel:WORD_0 src1_sel:DWORD
	v_sub_nc_u16 v199, v199, v200
	v_lshrrev_b32_e32 v200, 24, v135
	v_lshlrev_b16 v170, 8, v199
	v_sub_nc_u16 v171, v171, v200
	v_lshrrev_b32_e32 v200, 16, v198
	v_sub_nc_u16 v198, v198, v135
	v_lshrrev_b32_e32 v135, 16, v135
	v_lshlrev_b16 v171, 8, v171
	v_or_b32_sdwa v170, v198, v170 dst_sel:DWORD dst_unused:UNUSED_PAD src0_sel:BYTE_0 src1_sel:DWORD
	v_sub_nc_u16 v135, v200, v135
	v_and_b32_e32 v200, 0x3030303, v146
	v_bfe_u32 v146, v146, 24, 2
	v_or_b32_sdwa v135, v135, v171 dst_sel:WORD_1 dst_unused:UNUSED_PAD src0_sel:BYTE_0 src1_sel:DWORD
	v_lshrrev_b16 v201, 8, v200
	v_sub_nc_u16 v201, v201, v202
	v_lshrrev_b32_e32 v202, 24, v136
	v_lshlrev_b16 v171, 8, v201
	v_sub_nc_u16 v146, v146, v202
	v_lshrrev_b32_e32 v202, 16, v200
	v_sub_nc_u16 v200, v200, v136
	v_lshrrev_b32_e32 v136, 16, v136
	v_lshlrev_b16 v146, 8, v146
	v_or_b32_sdwa v171, v200, v171 dst_sel:DWORD dst_unused:UNUSED_PAD src0_sel:BYTE_0 src1_sel:DWORD
	v_sub_nc_u16 v136, v202, v136
	v_and_b32_e32 v202, 0x3030303, v147
	v_bfe_u32 v147, v147, 24, 2
	v_or_b32_sdwa v136, v136, v146 dst_sel:WORD_1 dst_unused:UNUSED_PAD src0_sel:BYTE_0 src1_sel:DWORD
	v_lshrrev_b16 v203, 8, v202
	v_or_b32_sdwa v163, v171, v136 dst_sel:DWORD dst_unused:UNUSED_PAD src0_sel:WORD_0 src1_sel:DWORD
	v_sub_nc_u16 v203, v203, v204
	v_lshrrev_b32_e32 v204, 24, v134
	v_lshrrev_b16 v171, 8, v15
	v_lshlrev_b16 v146, 8, v203
	v_sub_nc_u16 v147, v147, v204
	v_lshrrev_b32_e32 v204, 16, v202
	v_sub_nc_u16 v202, v202, v134
	v_lshrrev_b32_e32 v134, 16, v134
	v_lshlrev_b16 v147, 8, v147
	v_or_b32_sdwa v146, v202, v146 dst_sel:DWORD dst_unused:UNUSED_PAD src0_sel:BYTE_0 src1_sel:DWORD
	v_sub_nc_u16 v134, v204, v134
	v_or_b32_sdwa v134, v134, v147 dst_sel:WORD_1 dst_unused:UNUSED_PAD src0_sel:BYTE_0 src1_sel:DWORD
	v_or_b32_sdwa v147, v172, v156 dst_sel:DWORD dst_unused:UNUSED_PAD src0_sel:WORD_0 src1_sel:DWORD
	v_or_b32_sdwa v156, v160, v157 dst_sel:DWORD dst_unused:UNUSED_PAD src0_sel:WORD_0 src1_sel:DWORD
	;; [unrolled: 1-line block ×9, first 2 shown]
	ds_read_b128 v[134:137], v129
	ds_read_b128 v[138:141], v129 offset:16
	v_lshrrev_b16 v167, 8, v13
	v_lshrrev_b16 v169, 8, v14
	v_add_nc_u32_e32 v129, 32, v129
	s_waitcnt lgkmcnt(1)
	v_dot4c_i32_i8 v164, v147, v134
	v_mov_b32_e32 v147, 0
	v_dot4c_i32_i8 v164, v156, v135
	v_dot4c_i32_i8 v147, v145, v134
	v_mov_b32_e32 v145, 0
	v_dot4c_i32_i8 v164, v157, v136
	v_dot4c_i32_i8 v147, v144, v135
	;; [unrolled: 1-line block ×3, first 2 shown]
	v_mov_b32_e32 v159, 0
	v_dot4c_i32_i8 v164, v158, v137
	v_dot4c_i32_i8 v147, v143, v136
	;; [unrolled: 1-line block ×4, first 2 shown]
	v_ashrrev_i32_e32 v134, s22, v4
	v_lshrrev_b16 v160, 8, v10
	v_add_nc_u32_e32 v4, s21, v93
	v_dot4c_i32_i8 v145, v161, v136
	v_dot4c_i32_i8 v159, v162, v135
	v_and_b32_e32 v157, 0x3030303, v134
	v_bfe_u32 v134, v134, 24, 2
	v_ashrrev_i32_e32 v135, s22, v5
	v_lshrrev_b16 v162, 8, v11
	v_dot4c_i32_i8 v159, v163, v136
	v_lshrrev_b16 v158, 8, v157
	v_ashrrev_i32_e32 v136, s22, v6
	ds_read_u16 v144, v4 offset:26354
	v_add3_u32 v4, s23, v117, v118
	v_dot4c_i32_i8 v159, v146, v137
	v_sub_nc_u16 v158, v158, v160
	v_lshrrev_b32_e32 v160, 24, v10
	v_add_nc_u32_e32 v6, 0x1098, v131
	ds_read_b32 v146, v4
	v_add_nc_u32_e32 v4, 0x1090, v131
	v_dot4c_i32_i8 v147, v142, v137
	v_sub_nc_u16 v134, v134, v160
	v_lshrrev_b32_e32 v160, 16, v157
	v_sub_nc_u16 v157, v157, v10
	v_lshrrev_b32_e32 v10, 16, v10
	v_dot4c_i32_i8 v145, v148, v137
	v_ashrrev_i32_e32 v137, s22, v7
	ds_read2_b32 v[4:5], v4 offset1:1
	ds_read2_b32 v[6:7], v6 offset1:1
	v_ashrrev_i32_e32 v142, s19, v154
	v_sub_nc_u16 v10, v160, v10
	v_and_b32_e32 v160, 0x3030303, v135
	v_bfe_u32 v135, v135, 24, 2
	v_ashrrev_i32_e32 v143, s19, v155
	v_lshlrev_b32_e32 v142, 2, v142
	v_lshlrev_b16 v158, 8, v158
	v_lshrrev_b16 v161, 8, v160
	v_lshlrev_b16 v134, 8, v134
	v_lshlrev_b32_e32 v143, 2, v143
	v_and_b32_e32 v142, 0x4040404, v142
	v_or_b32_sdwa v157, v157, v158 dst_sel:DWORD dst_unused:UNUSED_PAD src0_sel:BYTE_0 src1_sel:DWORD
	v_sub_nc_u16 v161, v161, v162
	v_lshrrev_b32_e32 v162, 24, v11
	v_and_b32_e32 v143, 0x4040404, v143
	v_lshrrev_b16 v185, 8, v142
	v_or_b32_sdwa v10, v10, v134 dst_sel:WORD_1 dst_unused:UNUSED_PAD src0_sel:BYTE_0 src1_sel:DWORD
	v_lshlrev_b16 v134, 8, v161
	v_sub_nc_u16 v135, v135, v162
	v_lshrrev_b32_e32 v162, 16, v160
	v_sub_nc_u16 v160, v160, v11
	v_lshrrev_b32_e32 v11, 16, v11
	s_waitcnt lgkmcnt(1)
	v_ashrrev_i32_e32 v148, s22, v4
	v_ashrrev_i32_e32 v149, s22, v5
	v_add_nc_u32_e32 v5, s21, v91
	s_waitcnt lgkmcnt(0)
	v_ashrrev_i32_e32 v154, s22, v6
	v_sub_nc_u16 v11, v162, v11
	v_and_b32_e32 v162, 0x3030303, v136
	v_bfe_u32 v136, v136, 24, 2
	v_add_nc_u32_e32 v4, 0x3190, v131
	v_add_nc_u32_e32 v6, 0x3198, v131
	ds_read_u16 v131, v5 offset:28402
	v_lshrrev_b16 v163, 8, v162
	v_add3_u32 v5, s23, v126, v127
	v_ashrrev_i32_e32 v155, s22, v7
	ds_read_b32 v156, v5
	ds_read2_b32 v[4:5], v4 offset1:1
	ds_read2_b32 v[6:7], v6 offset1:1
	v_sub_nc_u16 v163, v163, v165
	v_lshrrev_b32_e32 v165, 24, v12
	v_lshrrev_b16 v187, 8, v143
	v_or_b32_sdwa v10, v157, v10 dst_sel:DWORD dst_unused:UNUSED_PAD src0_sel:WORD_0 src1_sel:DWORD
	v_lshlrev_b16 v135, 8, v135
	v_or_b32_sdwa v134, v160, v134 dst_sel:DWORD dst_unused:UNUSED_PAD src0_sel:BYTE_0 src1_sel:DWORD
	v_sub_nc_u16 v136, v136, v165
	v_lshrrev_b32_e32 v165, 16, v162
	v_sub_nc_u16 v162, v162, v12
	v_lshrrev_b32_e32 v12, 16, v12
	v_or_b32_sdwa v11, v11, v135 dst_sel:WORD_1 dst_unused:UNUSED_PAD src0_sel:BYTE_0 src1_sel:DWORD
	v_lshlrev_b16 v135, 8, v163
	v_lshlrev_b16 v136, 8, v136
	s_add_i32 s19, s19, 1
	v_sub_nc_u16 v12, v165, v12
	v_and_b32_e32 v165, 0x3030303, v137
	v_bfe_u32 v137, v137, 24, 2
	v_or_b32_sdwa v11, v134, v11 dst_sel:DWORD dst_unused:UNUSED_PAD src0_sel:WORD_0 src1_sel:DWORD
	s_waitcnt lgkmcnt(1)
	v_ashrrev_i32_e32 v4, s22, v4
	v_ashrrev_i32_e32 v5, s22, v5
	v_lshrrev_b16 v166, 8, v165
	s_waitcnt lgkmcnt(0)
	v_ashrrev_i32_e32 v6, s22, v6
	v_ashrrev_i32_e32 v7, s22, v7
	v_mov_b32_e32 v134, 0
	v_or_b32_sdwa v135, v162, v135 dst_sel:DWORD dst_unused:UNUSED_PAD src0_sel:BYTE_0 src1_sel:DWORD
	v_sub_nc_u16 v166, v166, v167
	v_lshrrev_b32_e32 v167, 24, v13
	v_or_b32_sdwa v12, v12, v136 dst_sel:WORD_1 dst_unused:UNUSED_PAD src0_sel:BYTE_0 src1_sel:DWORD
	s_cmp_lt_u32 s20, 22
	v_lshlrev_b16 v136, 8, v166
	v_sub_nc_u16 v137, v137, v167
	v_lshrrev_b32_e32 v167, 16, v165
	v_sub_nc_u16 v165, v165, v13
	v_lshrrev_b32_e32 v13, 16, v13
	v_or_b32_sdwa v12, v135, v12 dst_sel:DWORD dst_unused:UNUSED_PAD src0_sel:WORD_0 src1_sel:DWORD
	v_lshlrev_b16 v137, 8, v137
	v_or_b32_sdwa v136, v165, v136 dst_sel:DWORD dst_unused:UNUSED_PAD src0_sel:BYTE_0 src1_sel:DWORD
	v_sub_nc_u16 v13, v167, v13
	v_and_b32_e32 v167, 0x3030303, v148
	v_bfe_u32 v148, v148, 24, 2
	v_or_b32_sdwa v13, v13, v137 dst_sel:WORD_1 dst_unused:UNUSED_PAD src0_sel:BYTE_0 src1_sel:DWORD
	v_lshrrev_b16 v168, 8, v167
	v_or_b32_sdwa v13, v136, v13 dst_sel:DWORD dst_unused:UNUSED_PAD src0_sel:WORD_0 src1_sel:DWORD
	v_sub_nc_u16 v168, v168, v169
	v_lshrrev_b32_e32 v169, 24, v14
	v_lshlrev_b16 v137, 8, v168
	v_sub_nc_u16 v148, v148, v169
	v_lshrrev_b32_e32 v169, 16, v167
	v_sub_nc_u16 v167, v167, v14
	v_lshrrev_b32_e32 v14, 16, v14
	v_lshlrev_b16 v148, 8, v148
	v_or_b32_sdwa v137, v167, v137 dst_sel:DWORD dst_unused:UNUSED_PAD src0_sel:BYTE_0 src1_sel:DWORD
	v_sub_nc_u16 v14, v169, v14
	v_and_b32_e32 v169, 0x3030303, v149
	v_bfe_u32 v149, v149, 24, 2
	v_or_b32_sdwa v14, v14, v148 dst_sel:WORD_1 dst_unused:UNUSED_PAD src0_sel:BYTE_0 src1_sel:DWORD
	v_lshrrev_b16 v170, 8, v169
	v_or_b32_sdwa v14, v137, v14 dst_sel:DWORD dst_unused:UNUSED_PAD src0_sel:WORD_0 src1_sel:DWORD
	v_sub_nc_u16 v170, v170, v171
	v_lshrrev_b32_e32 v171, 24, v15
	v_lshlrev_b16 v148, 8, v170
	v_sub_nc_u16 v149, v149, v171
	v_lshrrev_b32_e32 v171, 16, v169
	v_sub_nc_u16 v169, v169, v15
	v_lshrrev_b32_e32 v15, 16, v15
	;; [unrolled: 15-line block ×3, first 2 shown]
	v_lshlrev_b16 v150, 8, v150
	v_or_b32_sdwa v149, v171, v149 dst_sel:DWORD dst_unused:UNUSED_PAD src0_sel:BYTE_0 src1_sel:DWORD
	v_sub_nc_u16 v16, v173, v16
	v_and_b32_e32 v173, 0x3030303, v151
	v_bfe_u32 v151, v151, 24, 2
	v_or_b32_sdwa v16, v16, v150 dst_sel:WORD_1 dst_unused:UNUSED_PAD src0_sel:BYTE_0 src1_sel:DWORD
	v_lshrrev_b16 v174, 8, v173
	v_or_b32_sdwa v16, v149, v16 dst_sel:DWORD dst_unused:UNUSED_PAD src0_sel:WORD_0 src1_sel:DWORD
	v_sub_nc_u16 v174, v174, v175
	v_lshrrev_b32_e32 v175, 24, v17
	v_dot4c_i32_i8 v134, v16, v138
	v_lshlrev_b16 v150, 8, v174
	v_sub_nc_u16 v151, v151, v175
	v_lshrrev_b32_e32 v175, 16, v173
	v_sub_nc_u16 v173, v173, v17
	v_lshrrev_b32_e32 v17, 16, v17
	v_lshlrev_b16 v151, 8, v151
	v_or_b32_sdwa v150, v173, v150 dst_sel:DWORD dst_unused:UNUSED_PAD src0_sel:BYTE_0 src1_sel:DWORD
	v_sub_nc_u16 v17, v175, v17
	v_and_b32_e32 v175, 0x3030303, v4
	v_bfe_u32 v4, v4, 24, 2
	v_or_b32_sdwa v17, v17, v151 dst_sel:WORD_1 dst_unused:UNUSED_PAD src0_sel:BYTE_0 src1_sel:DWORD
	v_lshrrev_b16 v176, 8, v175
	v_or_b32_sdwa v17, v150, v17 dst_sel:DWORD dst_unused:UNUSED_PAD src0_sel:WORD_0 src1_sel:DWORD
	v_sub_nc_u16 v176, v176, v177
	v_lshrrev_b32_e32 v177, 24, v18
	v_dot4c_i32_i8 v134, v17, v139
	v_lshlrev_b16 v151, 8, v176
	v_sub_nc_u16 v4, v4, v177
	v_lshrrev_b32_e32 v177, 16, v175
	v_sub_nc_u16 v175, v175, v18
	v_lshrrev_b32_e32 v18, 16, v18
	v_lshlrev_b16 v4, 8, v4
	v_or_b32_sdwa v151, v175, v151 dst_sel:DWORD dst_unused:UNUSED_PAD src0_sel:BYTE_0 src1_sel:DWORD
	v_sub_nc_u16 v18, v177, v18
	v_and_b32_e32 v177, 0x3030303, v5
	v_bfe_u32 v5, v5, 24, 2
	v_or_b32_sdwa v4, v18, v4 dst_sel:WORD_1 dst_unused:UNUSED_PAD src0_sel:BYTE_0 src1_sel:DWORD
	v_lshrrev_b16 v178, 8, v177
	v_or_b32_sdwa v4, v151, v4 dst_sel:DWORD dst_unused:UNUSED_PAD src0_sel:WORD_0 src1_sel:DWORD
	v_sub_nc_u16 v178, v178, v179
	v_lshrrev_b32_e32 v179, 24, v19
	v_lshlrev_b16 v18, 8, v178
	v_sub_nc_u16 v5, v5, v179
	v_lshrrev_b32_e32 v179, 16, v177
	v_sub_nc_u16 v177, v177, v19
	v_lshrrev_b32_e32 v19, 16, v19
	v_lshlrev_b16 v5, 8, v5
	v_or_b32_sdwa v18, v177, v18 dst_sel:DWORD dst_unused:UNUSED_PAD src0_sel:BYTE_0 src1_sel:DWORD
	v_sub_nc_u16 v19, v179, v19
	v_and_b32_e32 v179, 0x3030303, v154
	v_bfe_u32 v154, v154, 24, 2
	v_or_b32_sdwa v5, v19, v5 dst_sel:WORD_1 dst_unused:UNUSED_PAD src0_sel:BYTE_0 src1_sel:DWORD
	v_lshrrev_b16 v180, 8, v179
	v_or_b32_sdwa v5, v18, v5 dst_sel:DWORD dst_unused:UNUSED_PAD src0_sel:WORD_0 src1_sel:DWORD
	v_sub_nc_u16 v180, v180, v181
	v_lshrrev_b32_e32 v181, 24, v8
	;; [unrolled: 15-line block ×5, first 2 shown]
	v_dot4c_i32_i8 v134, v18, v140
	v_lshlrev_b16 v152, 8, v186
	v_sub_nc_u16 v153, v153, v187
	v_lshrrev_b32_e32 v187, 16, v185
	v_sub_nc_u16 v185, v185, v143
	v_lshrrev_b32_e32 v143, 16, v143
	v_lshlrev_b16 v153, 8, v153
	v_or_b32_sdwa v152, v185, v152 dst_sel:DWORD dst_unused:UNUSED_PAD src0_sel:BYTE_0 src1_sel:DWORD
	v_sub_nc_u16 v143, v187, v143
	v_and_b32_e32 v187, 0x3030303, v6
	v_bfe_u32 v6, v6, 24, 2
	v_or_b32_sdwa v143, v143, v153 dst_sel:WORD_1 dst_unused:UNUSED_PAD src0_sel:BYTE_0 src1_sel:DWORD
	v_lshrrev_b16 v188, 8, v187
	v_or_b32_sdwa v19, v152, v143 dst_sel:DWORD dst_unused:UNUSED_PAD src0_sel:WORD_0 src1_sel:DWORD
	v_sub_nc_u16 v188, v188, v189
	v_lshrrev_b32_e32 v189, 24, v20
	v_dot4c_i32_i8 v134, v19, v141
	v_lshlrev_b16 v153, 8, v188
	v_sub_nc_u16 v6, v6, v189
	v_lshrrev_b32_e32 v189, 16, v187
	v_sub_nc_u16 v187, v187, v20
	v_lshrrev_b32_e32 v20, 16, v20
	v_lshlrev_b16 v6, 8, v6
	v_or_b32_sdwa v153, v187, v153 dst_sel:DWORD dst_unused:UNUSED_PAD src0_sel:BYTE_0 src1_sel:DWORD
	v_sub_nc_u16 v20, v189, v20
	v_and_b32_e32 v189, 0x3030303, v7
	v_bfe_u32 v7, v7, 24, 2
	v_or_b32_sdwa v6, v20, v6 dst_sel:WORD_1 dst_unused:UNUSED_PAD src0_sel:BYTE_0 src1_sel:DWORD
	v_lshrrev_b16 v190, 8, v189
	v_or_b32_sdwa v6, v153, v6 dst_sel:DWORD dst_unused:UNUSED_PAD src0_sel:WORD_0 src1_sel:DWORD
	v_sub_nc_u16 v190, v190, v191
	v_lshrrev_b32_e32 v191, 24, v21
	v_lshlrev_b16 v20, 8, v190
	v_sub_nc_u16 v7, v7, v191
	v_lshrrev_b32_e32 v191, 16, v189
	v_sub_nc_u16 v189, v189, v21
	v_lshrrev_b32_e32 v21, 16, v21
	v_lshlrev_b16 v7, 8, v7
	v_or_b32_sdwa v20, v189, v20 dst_sel:DWORD dst_unused:UNUSED_PAD src0_sel:BYTE_0 src1_sel:DWORD
	v_sub_nc_u16 v21, v191, v21
	v_or_b32_sdwa v7, v21, v7 dst_sel:WORD_1 dst_unused:UNUSED_PAD src0_sel:BYTE_0 src1_sel:DWORD
	v_mov_b32_e32 v21, 0
	v_or_b32_sdwa v7, v20, v7 dst_sel:DWORD dst_unused:UNUSED_PAD src0_sel:WORD_0 src1_sel:DWORD
	v_mov_b32_e32 v20, 0
	v_dot4c_i32_i8 v21, v10, v138
	v_add_nc_u32_e32 v10, s21, v94
	v_dot4c_i32_i8 v20, v14, v138
	v_mov_b32_e32 v14, 0
	v_dot4c_i32_i8 v21, v11, v139
	v_dot4c_i32_i8 v20, v15, v139
	;; [unrolled: 1-line block ×3, first 2 shown]
	v_add_nc_u32_e32 v4, s21, v92
	ds_read_u16 v10, v10 offset:25330
	ds_read_u16 v4, v4 offset:27378
	v_dot4c_i32_i8 v14, v5, v139
	v_bfe_i32 v5, v144, 0, 8
	v_dot4c_i32_i8 v21, v12, v140
	v_lshrrev_b16 v12, 8, v131
	v_bfe_i32 v131, v131, 0, 8
	v_dot4c_i32_i8 v14, v6, v140
	v_mul_lo_u32 v5, v147, v5
	v_dot4c_i32_i8 v20, v8, v140
	v_dot4c_i32_i8 v21, v13, v141
	ds_read_b32 v16, v130
	v_dot4c_i32_i8 v14, v7, v141
	v_mul_lo_u32 v7, v159, v131
	v_dot4c_i32_i8 v20, v9, v141
	v_bfe_i32 v12, v12, 0, 8
	v_add_nc_u32_e32 v130, 4, v130
	s_mov_b32 s21, s20
	s_waitcnt lgkmcnt(2)
	v_lshrrev_b16 v11, 8, v10
	v_bfe_i32 v10, v10, 0, 8
	s_waitcnt lgkmcnt(1)
	v_lshrrev_b16 v15, 8, v4
	v_bfe_i32 v17, v4, 0, 8
	v_lshrrev_b16 v4, 8, v144
	v_bfe_i32 v11, v11, 0, 8
	v_bfe_i32 v15, v15, 0, 8
	v_mul_lo_u32 v6, v145, v17
	v_bfe_i32 v135, v4, 0, 8
	v_mul_lo_u32 v4, v164, v10
	v_mad_u64_u32 v[8:9], null, v21, v11, v[4:5]
	v_mad_u64_u32 v[9:10], null, v20, v135, v[5:6]
	;; [unrolled: 1-line block ×3, first 2 shown]
	s_waitcnt lgkmcnt(0)
	v_mul_f32_e32 v4, v16, v133
	v_mul_f32_e32 v5, v16, v146
	v_mad_u64_u32 v[11:12], null, v14, v12, v[7:8]
	v_mul_f32_e32 v6, v16, v132
	v_mul_f32_e32 v7, v16, v156
	v_cvt_f32_i32_e32 v8, v8
	v_cvt_f32_i32_e32 v9, v9
	;; [unrolled: 1-line block ×4, first 2 shown]
	v_fmac_f32_e32 v23, v4, v8
	v_fmac_f32_e32 v85, v5, v9
	;; [unrolled: 1-line block ×4, first 2 shown]
	s_cbranch_scc1 .LBB229_27
; %bb.28:                               ;   in Loop: Header=BB229_5 Depth=1
	s_or_b32 s1, s4, 0x180
	s_cmp_ge_i32 s1, s15
	s_barrier
	buffer_gl0_inv
	s_cbranch_scc1 .LBB229_4
; %bb.29:                               ;   in Loop: Header=BB229_5 Depth=1
	v_add_nc_u32_e32 v4, s5, v88
	v_cmp_gt_i32_e64 s1, s9, v4
	s_and_b32 s4, s0, s1
	s_and_saveexec_b32 s1, s4
	s_cbranch_execz .LBB229_31
; %bb.30:                               ;   in Loop: Header=BB229_5 Depth=1
	v_add_nc_u32_e32 v4, v89, v4
	v_mad_i64_i32 v[4:5], null, v4, 36, v[1:2]
	global_load_dword v4, v[4:5], off offset:4
	s_waitcnt vmcnt(0)
	ds_write_b32 v83, v4
.LBB229_31:                             ;   in Loop: Header=BB229_5 Depth=1
	s_or_b32 exec_lo, exec_lo, s1
	s_and_saveexec_b32 s4, vcc_lo
	s_cbranch_execz .LBB229_34
; %bb.32:                               ;   in Loop: Header=BB229_5 Depth=1
	v_or_b32_e32 v4, 12, v128
	v_cmp_gt_i32_e64 s1, s9, v4
	s_and_b32 s1, s0, s1
	s_and_b32 exec_lo, exec_lo, s1
	s_cbranch_execz .LBB229_34
; %bb.33:                               ;   in Loop: Header=BB229_5 Depth=1
	v_ashrrev_i32_e32 v4, 31, v128
	v_add_co_u32 v5, s1, v89, v128
	v_add_co_ci_u32_e64 v6, null, v95, v4, s1
	v_mad_u64_u32 v[4:5], null, v5, 36, s[2:3]
	v_mad_i32_i24 v5, v6, 36, v5
	global_load_dword v4, v[4:5], off offset:432
	s_waitcnt vmcnt(0)
	v_cvt_f32_f16_e32 v4, v4
	ds_write_b32 v84, v4
.LBB229_34:                             ;   in Loop: Header=BB229_5 Depth=1
	s_or_b32 exec_lo, exec_lo, s4
	v_mov_b32_e32 v128, v80
	v_mov_b32_e32 v129, v81
	s_mov_b32 s1, 24
	s_mov_b32 s19, 22
	;; [unrolled: 1-line block ×3, first 2 shown]
	s_waitcnt lgkmcnt(0)
	s_barrier
	buffer_gl0_inv
.LBB229_35:                             ;   Parent Loop BB229_5 Depth=1
                                        ; =>  This Inner Loop Header: Depth=2
	s_add_i32 s5, s19, 2
	s_sub_i32 s20, s19, 22
	s_lshr_b32 s21, s5, 4
	s_and_b32 s22, s5, 0x3ffffff8
	s_lshl_b32 s23, s21, 5
	v_lshl_add_u32 v130, s22, 2, v90
	s_add_i32 s22, s23, 0x4200
	s_lshl_b32 s21, s21, 2
	v_add3_u32 v8, s22, v112, v113
	v_add3_u32 v9, s22, v115, v116
	v_add3_u32 v131, s22, v119, v120
	v_add_nc_u32_e32 v21, 0x1080, v130
	ds_read2_b32 v[18:19], v130 offset1:1
	ds_read2_b32 v[16:17], v130 offset0:2 offset1:3
	ds_read2_b32 v[4:5], v130 offset0:4 offset1:5
	;; [unrolled: 1-line block ×3, first 2 shown]
	ds_read2_b32 v[132:133], v8 offset1:1
	ds_read2_b32 v[134:135], v8 offset0:2 offset1:3
	ds_read2_b32 v[136:137], v9 offset1:1
	ds_read2_b32 v[138:139], v9 offset0:2 offset1:3
	ds_read2_b32 v[145:146], v131 offset0:2 offset1:3
	;; [unrolled: 1-line block ×5, first 2 shown]
	ds_read2_b32 v[147:148], v21 offset1:1
	ds_read2_b32 v[8:9], v9 offset0:6 offset1:7
	v_add_nc_u32_e32 v20, 0x2100, v130
	s_addk_i32 s21, 0x7380
	v_add_nc_u32_e32 v151, 0x2118, v130
	s_waitcnt lgkmcnt(13)
	v_ashrrev_i32_e32 v155, s20, v18
	v_ashrrev_i32_e32 v156, s20, v19
	s_waitcnt lgkmcnt(12)
	v_ashrrev_i32_e32 v157, s20, v16
	v_ashrrev_i32_e32 v158, s20, v17
	s_waitcnt lgkmcnt(9)
	v_ashrrev_i32_e32 v159, s4, v132
	v_and_b32_e32 v171, 0x3030303, v155
	v_ashrrev_i32_e32 v160, s4, v133
	v_bfe_u32 v155, v155, 24, 2
	ds_read2_b32 v[16:17], v131 offset0:4 offset1:5
	ds_read2_b32 v[149:150], v20 offset1:1
	ds_read2_b32 v[18:19], v131 offset1:1
	v_lshlrev_b32_e32 v159, 2, v159
	v_lshrrev_b16 v172, 8, v171
	v_lshlrev_b32_e32 v160, 2, v160
	s_waitcnt lgkmcnt(11)
	v_ashrrev_i32_e32 v161, s4, v134
	v_add3_u32 v20, s22, v123, v124
	v_and_b32_e32 v159, 0x4040404, v159
	v_ashrrev_i32_e32 v162, s4, v135
	v_and_b32_e32 v160, 0x4040404, v160
	v_lshlrev_b32_e32 v161, 2, v161
	s_waitcnt lgkmcnt(10)
	v_ashrrev_i32_e32 v143, s4, v137
	v_lshrrev_b16 v173, 8, v159
	s_waitcnt lgkmcnt(9)
	v_ashrrev_i32_e32 v142, s4, v138
	v_lshrrev_b16 v175, 8, v160
	v_and_b32_e32 v161, 0x4040404, v161
	v_ashrrev_i32_e32 v141, s4, v139
	v_sub_nc_u16 v172, v172, v173
	v_lshrrev_b32_e32 v173, 24, v159
	s_waitcnt lgkmcnt(8)
	v_ashrrev_i32_e32 v138, s4, v145
	v_lshrrev_b16 v177, 8, v161
	s_waitcnt lgkmcnt(0)
	v_ashrrev_i32_e32 v140, s4, v18
	v_add_nc_u32_e32 v18, 0x3180, v130
	v_sub_nc_u16 v155, v155, v173
	v_lshrrev_b32_e32 v173, 16, v171
	v_sub_nc_u16 v171, v171, v159
	v_lshrrev_b32_e32 v159, 16, v159
	v_ashrrev_i32_e32 v139, s4, v19
	v_ashrrev_i32_e32 v137, s4, v146
	ds_read2_b32 v[145:146], v18 offset1:1
	ds_read2_b32 v[18:19], v20 offset1:1
	v_lshlrev_b32_e32 v162, 2, v162
	v_sub_nc_u16 v159, v173, v159
	v_and_b32_e32 v173, 0x3030303, v156
	v_bfe_u32 v156, v156, 24, 2
	v_ashrrev_i32_e32 v144, s4, v136
	v_and_b32_e32 v162, 0x4040404, v162
	v_ashrrev_i32_e32 v163, s20, v147
	v_lshrrev_b16 v174, 8, v173
	v_add_nc_u32_e32 v147, 0x1088, v130
	v_lshlrev_b32_e32 v144, 2, v144
	v_lshrrev_b16 v179, 8, v162
	v_ashrrev_i32_e32 v164, s20, v148
	v_sub_nc_u16 v174, v174, v175
	v_lshrrev_b32_e32 v175, 24, v160
	v_and_b32_e32 v144, 0x4040404, v144
	v_lshlrev_b32_e32 v143, 2, v143
	v_lshlrev_b32_e32 v142, 2, v142
	;; [unrolled: 1-line block ×3, first 2 shown]
	v_sub_nc_u16 v156, v156, v175
	v_lshrrev_b32_e32 v175, 16, v173
	v_sub_nc_u16 v173, v173, v160
	v_lshrrev_b32_e32 v160, 16, v160
	s_waitcnt lgkmcnt(0)
	v_ashrrev_i32_e32 v136, s4, v18
	v_ashrrev_i32_e32 v134, s4, v19
	ds_read2_b32 v[132:133], v20 offset0:2 offset1:3
	ds_read2_b32 v[18:19], v20 offset0:4 offset1:5
	;; [unrolled: 1-line block ×3, first 2 shown]
	v_lshrrev_b16 v181, 8, v144
	v_sub_nc_u16 v160, v175, v160
	v_and_b32_e32 v175, 0x3030303, v157
	v_bfe_u32 v157, v157, 24, 2
	ds_read2_b32 v[147:148], v147 offset1:1
	v_and_b32_e32 v143, 0x4040404, v143
	v_and_b32_e32 v142, 0x4040404, v142
	v_lshrrev_b16 v176, 8, v175
	v_and_b32_e32 v141, 0x4040404, v141
	v_ashrrev_i32_e32 v167, s20, v149
	v_lshrrev_b16 v183, 8, v143
	v_lshrrev_b16 v185, 8, v142
	v_sub_nc_u16 v176, v176, v177
	v_lshrrev_b32_e32 v177, 24, v161
	v_lshrrev_b16 v187, 8, v141
	v_lshlrev_b32_e32 v140, 2, v140
	v_add_nc_u32_e32 v149, 0x2110, v130
	s_waitcnt lgkmcnt(3)
	v_ashrrev_i32_e32 v135, s4, v132
	v_sub_nc_u16 v157, v157, v177
	v_lshrrev_b32_e32 v177, 16, v175
	v_sub_nc_u16 v175, v175, v161
	v_lshrrev_b32_e32 v161, 16, v161
	v_add3_u32 v132, s21, v125, v114
	v_and_b32_e32 v140, 0x4040404, v140
	s_waitcnt lgkmcnt(0)
	v_ashrrev_i32_e32 v165, s20, v147
	v_ashrrev_i32_e32 v166, s20, v148
	v_sub_nc_u16 v161, v177, v161
	v_and_b32_e32 v177, 0x3030303, v158
	v_bfe_u32 v158, v158, 24, 2
	ds_read_b32 v132, v132
	v_lshrrev_b16 v189, 8, v140
	v_add_nc_u32_e32 v147, 0x2108, v130
	v_lshrrev_b16 v178, 8, v177
	v_ashrrev_i32_e32 v168, s20, v150
	v_lshlrev_b32_e32 v139, 2, v139
	ds_read2_b32 v[147:148], v147 offset1:1
	ds_read2_b32 v[149:150], v149 offset1:1
	;; [unrolled: 1-line block ×3, first 2 shown]
	ds_read2_b32 v[153:154], v131 offset0:6 offset1:7
	v_sub_nc_u16 v178, v178, v179
	v_lshrrev_b32_e32 v179, 24, v162
	v_and_b32_e32 v139, 0x4040404, v139
	v_lshlrev_b32_e32 v138, 2, v138
	v_lshlrev_b32_e32 v137, 2, v137
	v_ashrrev_i32_e32 v169, s20, v145
	v_sub_nc_u16 v158, v158, v179
	v_lshrrev_b32_e32 v179, 16, v177
	v_sub_nc_u16 v177, v177, v162
	v_lshrrev_b32_e32 v162, 16, v162
	v_lshrrev_b16 v191, 8, v139
	v_and_b32_e32 v138, 0x4040404, v138
	v_and_b32_e32 v137, 0x4040404, v137
	v_lshlrev_b32_e32 v136, 2, v136
	v_sub_nc_u16 v162, v179, v162
	v_and_b32_e32 v179, 0x3030303, v163
	v_bfe_u32 v163, v163, 24, 2
	s_waitcnt lgkmcnt(3)
	v_ashrrev_i32_e32 v147, s20, v147
	v_lshrrev_b16 v193, 8, v138
	v_ashrrev_i32_e32 v148, s20, v148
	v_lshrrev_b16 v180, 8, v179
	v_lshrrev_b16 v195, 8, v137
	v_and_b32_e32 v136, 0x4040404, v136
	v_add3_u32 v131, s21, v121, v122
	v_add_nc_u32_e32 v145, 0x3188, v130
	v_sub_nc_u16 v180, v180, v181
	v_lshrrev_b32_e32 v181, 24, v144
	v_lshrrev_b16 v197, 8, v136
	ds_read_b32 v131, v131
	v_ashrrev_i32_e32 v170, s20, v146
	ds_read2_b32 v[145:146], v145 offset1:1
	v_sub_nc_u16 v163, v163, v181
	v_lshrrev_b32_e32 v181, 16, v179
	v_sub_nc_u16 v179, v179, v144
	v_lshrrev_b32_e32 v144, 16, v144
	v_lshlrev_b32_e32 v134, 2, v134
	v_lshlrev_b32_e32 v135, 2, v135
	v_ashrrev_i32_e32 v133, s4, v133
	v_lshlrev_b16 v155, 8, v155
	v_sub_nc_u16 v144, v181, v144
	v_and_b32_e32 v181, 0x3030303, v164
	v_bfe_u32 v164, v164, 24, 2
	v_and_b32_e32 v134, 0x4040404, v134
	v_and_b32_e32 v135, 0x4040404, v135
	v_lshlrev_b32_e32 v133, 2, v133
	v_lshrrev_b16 v182, 8, v181
	v_lshlrev_b16 v156, 8, v156
	v_lshrrev_b16 v199, 8, v134
	v_lshrrev_b16 v201, 8, v135
	v_and_b32_e32 v133, 0x4040404, v133
	v_sub_nc_u16 v182, v182, v183
	v_lshrrev_b32_e32 v183, 24, v143
	s_waitcnt lgkmcnt(0)
	v_ashrrev_i32_e32 v145, s20, v145
	v_ashrrev_i32_e32 v146, s20, v146
	v_lshrrev_b16 v203, 8, v133
	v_lshlrev_b16 v157, 8, v157
	v_sub_nc_u16 v164, v164, v183
	v_lshrrev_b32_e32 v183, 16, v181
	v_sub_nc_u16 v181, v181, v143
	v_lshrrev_b32_e32 v143, 16, v143
	v_lshlrev_b16 v158, 8, v158
	v_lshlrev_b16 v172, 8, v172
	v_or_b32_sdwa v155, v159, v155 dst_sel:WORD_1 dst_unused:UNUSED_PAD src0_sel:BYTE_0 src1_sel:DWORD
	v_lshlrev_b16 v159, 8, v174
	v_sub_nc_u16 v143, v183, v143
	v_and_b32_e32 v183, 0x3030303, v165
	v_bfe_u32 v165, v165, 24, 2
	v_or_b32_sdwa v156, v160, v156 dst_sel:WORD_1 dst_unused:UNUSED_PAD src0_sel:BYTE_0 src1_sel:DWORD
	v_lshlrev_b16 v160, 8, v176
	v_or_b32_sdwa v157, v161, v157 dst_sel:WORD_1 dst_unused:UNUSED_PAD src0_sel:BYTE_0 src1_sel:DWORD
	v_lshrrev_b16 v184, 8, v183
	v_lshlrev_b16 v161, 8, v178
	v_or_b32_sdwa v158, v162, v158 dst_sel:WORD_1 dst_unused:UNUSED_PAD src0_sel:BYTE_0 src1_sel:DWORD
	v_lshlrev_b16 v162, 8, v180
	v_lshlrev_b16 v163, 8, v163
	v_sub_nc_u16 v184, v184, v185
	v_lshrrev_b32_e32 v185, 24, v142
	v_or_b32_sdwa v171, v171, v172 dst_sel:DWORD dst_unused:UNUSED_PAD src0_sel:BYTE_0 src1_sel:DWORD
	v_or_b32_sdwa v159, v173, v159 dst_sel:DWORD dst_unused:UNUSED_PAD src0_sel:BYTE_0 src1_sel:DWORD
	;; [unrolled: 1-line block ×4, first 2 shown]
	v_sub_nc_u16 v165, v165, v185
	v_lshrrev_b32_e32 v185, 16, v183
	v_sub_nc_u16 v183, v183, v142
	v_lshrrev_b32_e32 v142, 16, v142
	v_or_b32_sdwa v162, v179, v162 dst_sel:DWORD dst_unused:UNUSED_PAD src0_sel:BYTE_0 src1_sel:DWORD
	v_or_b32_sdwa v144, v144, v163 dst_sel:WORD_1 dst_unused:UNUSED_PAD src0_sel:BYTE_0 src1_sel:DWORD
	v_lshlrev_b16 v163, 8, v182
	v_lshlrev_b16 v164, 8, v164
	v_sub_nc_u16 v142, v185, v142
	v_and_b32_e32 v185, 0x3030303, v166
	v_bfe_u32 v166, v166, 24, 2
	v_or_b32_sdwa v144, v162, v144 dst_sel:DWORD dst_unused:UNUSED_PAD src0_sel:WORD_0 src1_sel:DWORD
	v_or_b32_sdwa v163, v181, v163 dst_sel:DWORD dst_unused:UNUSED_PAD src0_sel:BYTE_0 src1_sel:DWORD
	v_or_b32_sdwa v143, v143, v164 dst_sel:WORD_1 dst_unused:UNUSED_PAD src0_sel:BYTE_0 src1_sel:DWORD
	v_lshrrev_b16 v186, 8, v185
	v_ashrrev_i32_e32 v10, s4, v10
	v_ashrrev_i32_e32 v11, s4, v11
	v_lshlrev_b16 v164, 8, v184
	v_or_b32_sdwa v143, v163, v143 dst_sel:DWORD dst_unused:UNUSED_PAD src0_sel:WORD_0 src1_sel:DWORD
	v_sub_nc_u16 v186, v186, v187
	v_lshrrev_b32_e32 v187, 24, v141
	v_mov_b32_e32 v163, 0
	v_lshlrev_b32_e32 v10, 2, v10
	v_lshlrev_b32_e32 v11, 2, v11
	v_lshlrev_b16 v165, 8, v165
	v_sub_nc_u16 v166, v166, v187
	v_lshrrev_b32_e32 v187, 16, v185
	v_sub_nc_u16 v185, v185, v141
	v_lshrrev_b32_e32 v141, 16, v141
	v_and_b32_e32 v10, 0x4040404, v10
	v_lshlrev_b16 v166, 8, v166
	v_and_b32_e32 v11, 0x4040404, v11
	v_or_b32_sdwa v164, v183, v164 dst_sel:DWORD dst_unused:UNUSED_PAD src0_sel:BYTE_0 src1_sel:DWORD
	v_sub_nc_u16 v141, v187, v141
	v_and_b32_e32 v187, 0x3030303, v167
	v_bfe_u32 v167, v167, 24, 2
	v_or_b32_sdwa v142, v142, v165 dst_sel:WORD_1 dst_unused:UNUSED_PAD src0_sel:BYTE_0 src1_sel:DWORD
	v_ashrrev_i32_e32 v12, s4, v12
	v_or_b32_sdwa v141, v141, v166 dst_sel:WORD_1 dst_unused:UNUSED_PAD src0_sel:BYTE_0 src1_sel:DWORD
	v_lshrrev_b16 v188, 8, v187
	s_and_b32 s22, s1, -16
	v_or_b32_sdwa v142, v164, v142 dst_sel:DWORD dst_unused:UNUSED_PAD src0_sel:WORD_0 src1_sel:DWORD
	v_lshlrev_b32_e32 v12, 2, v12
	s_add_i32 s19, s19, s22
	v_sub_nc_u16 v188, v188, v189
	v_lshrrev_b32_e32 v189, 24, v140
	v_lshlrev_b16 v165, 8, v186
	v_and_b32_e32 v12, 0x4040404, v12
	v_ashrrev_i32_e32 v13, s4, v13
	v_lshlrev_b16 v166, 8, v188
	v_sub_nc_u16 v167, v167, v189
	v_lshrrev_b32_e32 v189, 16, v187
	v_sub_nc_u16 v187, v187, v140
	v_lshrrev_b32_e32 v140, 16, v140
	v_or_b32_sdwa v165, v185, v165 dst_sel:DWORD dst_unused:UNUSED_PAD src0_sel:BYTE_0 src1_sel:DWORD
	v_lshlrev_b16 v167, 8, v167
	v_lshrrev_b16 v164, 8, v12
	v_or_b32_sdwa v166, v187, v166 dst_sel:DWORD dst_unused:UNUSED_PAD src0_sel:BYTE_0 src1_sel:DWORD
	v_sub_nc_u16 v140, v189, v140
	v_and_b32_e32 v189, 0x3030303, v168
	v_bfe_u32 v168, v168, 24, 2
	v_or_b32_sdwa v141, v165, v141 dst_sel:DWORD dst_unused:UNUSED_PAD src0_sel:WORD_0 src1_sel:DWORD
	v_lshlrev_b32_e32 v13, 2, v13
	v_or_b32_sdwa v140, v140, v167 dst_sel:WORD_1 dst_unused:UNUSED_PAD src0_sel:BYTE_0 src1_sel:DWORD
	v_lshrrev_b16 v190, 8, v189
	v_ashrrev_i32_e32 v14, s4, v14
	v_ashrrev_i32_e32 v15, s4, v15
	v_and_b32_e32 v13, 0x4040404, v13
	v_ashrrev_i32_e32 v16, s4, v16
	v_sub_nc_u16 v190, v190, v191
	v_lshrrev_b32_e32 v191, 24, v139
	v_lshlrev_b32_e32 v14, 2, v14
	v_lshlrev_b32_e32 v15, 2, v15
	v_ashrrev_i32_e32 v149, s20, v149
	v_lshlrev_b16 v167, 8, v190
	v_sub_nc_u16 v168, v168, v191
	v_lshrrev_b32_e32 v191, 16, v189
	v_sub_nc_u16 v189, v189, v139
	v_lshrrev_b32_e32 v139, 16, v139
	v_and_b32_e32 v14, 0x4040404, v14
	v_lshlrev_b16 v168, 8, v168
	v_and_b32_e32 v15, 0x4040404, v15
	v_or_b32_sdwa v167, v189, v167 dst_sel:DWORD dst_unused:UNUSED_PAD src0_sel:BYTE_0 src1_sel:DWORD
	v_sub_nc_u16 v139, v191, v139
	v_and_b32_e32 v191, 0x3030303, v147
	v_bfe_u32 v147, v147, 24, 2
	v_lshlrev_b32_e32 v16, 2, v16
	v_ashrrev_i32_e32 v17, s4, v17
	v_or_b32_sdwa v139, v139, v168 dst_sel:WORD_1 dst_unused:UNUSED_PAD src0_sel:BYTE_0 src1_sel:DWORD
	v_lshrrev_b16 v192, 8, v191
	v_ashrrev_i32_e32 v150, s20, v150
	v_and_b32_e32 v16, 0x4040404, v16
	v_lshlrev_b32_e32 v17, 2, v17
	v_ashrrev_i32_e32 v18, s4, v18
	v_sub_nc_u16 v192, v192, v193
	v_lshrrev_b32_e32 v193, 24, v138
	v_lshrrev_b16 v172, 8, v16
	v_and_b32_e32 v17, 0x4040404, v17
	v_lshlrev_b32_e32 v18, 2, v18
	v_lshlrev_b16 v168, 8, v192
	v_sub_nc_u16 v147, v147, v193
	v_lshrrev_b32_e32 v193, 16, v191
	v_sub_nc_u16 v191, v191, v138
	v_lshrrev_b32_e32 v138, 16, v138
	v_lshrrev_b16 v174, 8, v17
	v_lshlrev_b16 v147, 8, v147
	v_and_b32_e32 v18, 0x4040404, v18
	v_or_b32_sdwa v168, v191, v168 dst_sel:DWORD dst_unused:UNUSED_PAD src0_sel:BYTE_0 src1_sel:DWORD
	v_sub_nc_u16 v138, v193, v138
	v_and_b32_e32 v193, 0x3030303, v148
	v_bfe_u32 v148, v148, 24, 2
	v_lshrrev_b16 v176, 8, v18
	v_ashrrev_i32_e32 v19, s4, v19
	v_or_b32_sdwa v138, v138, v147 dst_sel:WORD_1 dst_unused:UNUSED_PAD src0_sel:BYTE_0 src1_sel:DWORD
	v_lshrrev_b16 v194, 8, v193
	v_ashrrev_i32_e32 v8, s4, v8
	v_ashrrev_i32_e32 v9, s4, v9
	v_lshlrev_b32_e32 v19, 2, v19
	v_ashrrev_i32_e32 v151, s20, v151
	v_sub_nc_u16 v194, v194, v195
	v_lshrrev_b32_e32 v195, 24, v137
	v_lshlrev_b32_e32 v8, 2, v8
	v_and_b32_e32 v19, 0x4040404, v19
	v_lshlrev_b32_e32 v9, 2, v9
	v_lshlrev_b16 v147, 8, v194
	v_sub_nc_u16 v148, v148, v195
	v_lshrrev_b32_e32 v195, 16, v193
	v_sub_nc_u16 v193, v193, v137
	v_lshrrev_b32_e32 v137, 16, v137
	v_lshrrev_b16 v178, 8, v19
	v_lshlrev_b16 v148, 8, v148
	v_and_b32_e32 v8, 0x4040404, v8
	v_or_b32_sdwa v147, v193, v147 dst_sel:DWORD dst_unused:UNUSED_PAD src0_sel:BYTE_0 src1_sel:DWORD
	v_sub_nc_u16 v137, v195, v137
	v_and_b32_e32 v195, 0x3030303, v169
	v_bfe_u32 v169, v169, 24, 2
	v_lshrrev_b16 v180, 8, v8
	v_and_b32_e32 v9, 0x4040404, v9
	v_or_b32_sdwa v137, v137, v148 dst_sel:WORD_1 dst_unused:UNUSED_PAD src0_sel:BYTE_0 src1_sel:DWORD
	v_lshrrev_b16 v196, 8, v195
	v_ashrrev_i32_e32 v152, s20, v152
	v_ashrrev_i32_e32 v20, s4, v20
	v_lshrrev_b16 v182, 8, v9
	v_or_b32_sdwa v147, v147, v137 dst_sel:DWORD dst_unused:UNUSED_PAD src0_sel:WORD_0 src1_sel:DWORD
	v_sub_nc_u16 v196, v196, v197
	v_lshrrev_b32_e32 v197, 24, v136
	v_lshlrev_b32_e32 v20, 2, v20
	v_ashrrev_i32_e32 v21, s4, v21
	s_add_i32 s1, s1, 2
	v_lshlrev_b16 v148, 8, v196
	v_sub_nc_u16 v169, v169, v197
	v_lshrrev_b32_e32 v197, 16, v195
	v_sub_nc_u16 v195, v195, v136
	v_lshrrev_b32_e32 v136, 16, v136
	v_and_b32_e32 v20, 0x4040404, v20
	v_lshlrev_b16 v169, 8, v169
	v_lshlrev_b32_e32 v21, 2, v21
	v_or_b32_sdwa v148, v195, v148 dst_sel:DWORD dst_unused:UNUSED_PAD src0_sel:BYTE_0 src1_sel:DWORD
	v_sub_nc_u16 v136, v197, v136
	v_and_b32_e32 v197, 0x3030303, v170
	v_bfe_u32 v170, v170, 24, 2
	v_lshrrev_b16 v188, 8, v20
	v_and_b32_e32 v21, 0x4040404, v21
	v_or_b32_sdwa v136, v136, v169 dst_sel:WORD_1 dst_unused:UNUSED_PAD src0_sel:BYTE_0 src1_sel:DWORD
	v_lshrrev_b16 v198, 8, v197
	v_lshrrev_b16 v190, 8, v21
	v_or_b32_sdwa v148, v148, v136 dst_sel:DWORD dst_unused:UNUSED_PAD src0_sel:WORD_0 src1_sel:DWORD
	v_sub_nc_u16 v198, v198, v199
	v_lshrrev_b32_e32 v199, 24, v134
	v_lshlrev_b16 v169, 8, v198
	v_sub_nc_u16 v170, v170, v199
	v_lshrrev_b32_e32 v199, 16, v197
	v_sub_nc_u16 v197, v197, v134
	v_lshrrev_b32_e32 v134, 16, v134
	v_lshlrev_b16 v170, 8, v170
	v_or_b32_sdwa v169, v197, v169 dst_sel:DWORD dst_unused:UNUSED_PAD src0_sel:BYTE_0 src1_sel:DWORD
	v_sub_nc_u16 v134, v199, v134
	v_and_b32_e32 v199, 0x3030303, v145
	v_bfe_u32 v145, v145, 24, 2
	v_or_b32_sdwa v134, v134, v170 dst_sel:WORD_1 dst_unused:UNUSED_PAD src0_sel:BYTE_0 src1_sel:DWORD
	v_lshrrev_b16 v200, 8, v199
	v_sub_nc_u16 v200, v200, v201
	v_lshrrev_b32_e32 v201, 24, v135
	v_lshlrev_b16 v170, 8, v200
	v_sub_nc_u16 v145, v145, v201
	v_lshrrev_b32_e32 v201, 16, v199
	v_sub_nc_u16 v199, v199, v135
	v_lshrrev_b32_e32 v135, 16, v135
	v_lshlrev_b16 v145, 8, v145
	v_or_b32_sdwa v170, v199, v170 dst_sel:DWORD dst_unused:UNUSED_PAD src0_sel:BYTE_0 src1_sel:DWORD
	v_sub_nc_u16 v135, v201, v135
	v_and_b32_e32 v201, 0x3030303, v146
	v_bfe_u32 v146, v146, 24, 2
	v_or_b32_sdwa v135, v135, v145 dst_sel:WORD_1 dst_unused:UNUSED_PAD src0_sel:BYTE_0 src1_sel:DWORD
	v_lshrrev_b16 v202, 8, v201
	v_or_b32_sdwa v162, v170, v135 dst_sel:DWORD dst_unused:UNUSED_PAD src0_sel:WORD_0 src1_sel:DWORD
	v_sub_nc_u16 v202, v202, v203
	v_lshrrev_b32_e32 v203, 24, v133
	v_lshrrev_b16 v170, 8, v15
	v_lshlrev_b16 v145, 8, v202
	v_sub_nc_u16 v146, v146, v203
	v_lshrrev_b32_e32 v203, 16, v201
	v_sub_nc_u16 v201, v201, v133
	v_lshrrev_b32_e32 v133, 16, v133
	v_lshlrev_b16 v146, 8, v146
	v_or_b32_sdwa v145, v201, v145 dst_sel:DWORD dst_unused:UNUSED_PAD src0_sel:BYTE_0 src1_sel:DWORD
	v_sub_nc_u16 v133, v203, v133
	v_or_b32_sdwa v133, v133, v146 dst_sel:WORD_1 dst_unused:UNUSED_PAD src0_sel:BYTE_0 src1_sel:DWORD
	v_or_b32_sdwa v146, v171, v155 dst_sel:DWORD dst_unused:UNUSED_PAD src0_sel:WORD_0 src1_sel:DWORD
	v_or_b32_sdwa v155, v159, v156 dst_sel:DWORD dst_unused:UNUSED_PAD src0_sel:WORD_0 src1_sel:DWORD
	;; [unrolled: 1-line block ×9, first 2 shown]
	ds_read_b128 v[133:136], v128
	ds_read_b128 v[137:140], v128 offset:16
	v_lshrrev_b16 v166, 8, v13
	v_lshrrev_b16 v168, 8, v14
	v_add_nc_u32_e32 v128, 32, v128
	s_waitcnt lgkmcnt(1)
	v_dot4c_i32_i8 v163, v146, v133
	v_mov_b32_e32 v146, 0
	v_dot4c_i32_i8 v163, v155, v134
	v_dot4c_i32_i8 v146, v144, v133
	v_mov_b32_e32 v144, 0
	v_dot4c_i32_i8 v163, v156, v135
	v_dot4c_i32_i8 v146, v143, v134
	;; [unrolled: 1-line block ×3, first 2 shown]
	v_mov_b32_e32 v158, 0
	v_dot4c_i32_i8 v163, v157, v136
	v_dot4c_i32_i8 v146, v142, v135
	;; [unrolled: 1-line block ×4, first 2 shown]
	v_ashrrev_i32_e32 v133, s20, v4
	v_lshrrev_b16 v159, 8, v10
	v_add_nc_u32_e32 v4, s19, v93
	v_dot4c_i32_i8 v144, v160, v135
	v_dot4c_i32_i8 v158, v161, v134
	v_and_b32_e32 v156, 0x3030303, v133
	v_bfe_u32 v133, v133, 24, 2
	v_ashrrev_i32_e32 v134, s20, v5
	v_lshrrev_b16 v161, 8, v11
	v_dot4c_i32_i8 v158, v162, v135
	v_lshrrev_b16 v157, 8, v156
	v_ashrrev_i32_e32 v135, s20, v6
	ds_read_u16 v143, v4 offset:26354
	v_add3_u32 v4, s21, v117, v118
	v_dot4c_i32_i8 v158, v145, v136
	v_sub_nc_u16 v157, v157, v159
	v_lshrrev_b32_e32 v159, 24, v10
	v_add_nc_u32_e32 v6, 0x1098, v130
	ds_read_b32 v145, v4
	v_add_nc_u32_e32 v4, 0x1090, v130
	v_dot4c_i32_i8 v146, v141, v136
	v_sub_nc_u16 v133, v133, v159
	v_lshrrev_b32_e32 v159, 16, v156
	v_sub_nc_u16 v156, v156, v10
	v_lshrrev_b32_e32 v10, 16, v10
	v_dot4c_i32_i8 v144, v147, v136
	v_ashrrev_i32_e32 v136, s20, v7
	ds_read2_b32 v[4:5], v4 offset1:1
	ds_read2_b32 v[6:7], v6 offset1:1
	v_ashrrev_i32_e32 v141, s4, v153
	v_sub_nc_u16 v10, v159, v10
	v_and_b32_e32 v159, 0x3030303, v134
	v_bfe_u32 v134, v134, 24, 2
	v_ashrrev_i32_e32 v142, s4, v154
	v_lshlrev_b32_e32 v141, 2, v141
	v_lshlrev_b16 v157, 8, v157
	v_lshrrev_b16 v160, 8, v159
	v_lshlrev_b16 v133, 8, v133
	v_lshlrev_b32_e32 v142, 2, v142
	v_and_b32_e32 v141, 0x4040404, v141
	v_or_b32_sdwa v156, v156, v157 dst_sel:DWORD dst_unused:UNUSED_PAD src0_sel:BYTE_0 src1_sel:DWORD
	v_sub_nc_u16 v160, v160, v161
	v_lshrrev_b32_e32 v161, 24, v11
	v_and_b32_e32 v142, 0x4040404, v142
	v_lshrrev_b16 v184, 8, v141
	v_or_b32_sdwa v10, v10, v133 dst_sel:WORD_1 dst_unused:UNUSED_PAD src0_sel:BYTE_0 src1_sel:DWORD
	v_lshlrev_b16 v133, 8, v160
	v_sub_nc_u16 v134, v134, v161
	v_lshrrev_b32_e32 v161, 16, v159
	v_sub_nc_u16 v159, v159, v11
	v_lshrrev_b32_e32 v11, 16, v11
	s_waitcnt lgkmcnt(1)
	v_ashrrev_i32_e32 v147, s20, v4
	v_ashrrev_i32_e32 v148, s20, v5
	v_add_nc_u32_e32 v5, s19, v91
	s_waitcnt lgkmcnt(0)
	v_ashrrev_i32_e32 v153, s20, v6
	v_sub_nc_u16 v11, v161, v11
	v_and_b32_e32 v161, 0x3030303, v135
	v_bfe_u32 v135, v135, 24, 2
	v_add_nc_u32_e32 v4, 0x3190, v130
	v_add_nc_u32_e32 v6, 0x3198, v130
	ds_read_u16 v130, v5 offset:28402
	v_lshrrev_b16 v162, 8, v161
	v_add3_u32 v5, s21, v126, v127
	v_ashrrev_i32_e32 v154, s20, v7
	ds_read_b32 v155, v5
	ds_read2_b32 v[4:5], v4 offset1:1
	ds_read2_b32 v[6:7], v6 offset1:1
	v_sub_nc_u16 v162, v162, v164
	v_lshrrev_b32_e32 v164, 24, v12
	v_lshrrev_b16 v186, 8, v142
	v_or_b32_sdwa v10, v156, v10 dst_sel:DWORD dst_unused:UNUSED_PAD src0_sel:WORD_0 src1_sel:DWORD
	v_lshlrev_b16 v134, 8, v134
	v_or_b32_sdwa v133, v159, v133 dst_sel:DWORD dst_unused:UNUSED_PAD src0_sel:BYTE_0 src1_sel:DWORD
	v_sub_nc_u16 v135, v135, v164
	v_lshrrev_b32_e32 v164, 16, v161
	v_sub_nc_u16 v161, v161, v12
	v_lshrrev_b32_e32 v12, 16, v12
	v_or_b32_sdwa v11, v11, v134 dst_sel:WORD_1 dst_unused:UNUSED_PAD src0_sel:BYTE_0 src1_sel:DWORD
	v_lshlrev_b16 v134, 8, v162
	v_lshlrev_b16 v135, 8, v135
	s_add_i32 s4, s4, 1
	v_sub_nc_u16 v12, v164, v12
	v_and_b32_e32 v164, 0x3030303, v136
	v_bfe_u32 v136, v136, 24, 2
	v_or_b32_sdwa v11, v133, v11 dst_sel:DWORD dst_unused:UNUSED_PAD src0_sel:WORD_0 src1_sel:DWORD
	s_waitcnt lgkmcnt(1)
	v_ashrrev_i32_e32 v4, s20, v4
	v_ashrrev_i32_e32 v5, s20, v5
	v_lshrrev_b16 v165, 8, v164
	s_waitcnt lgkmcnt(0)
	v_ashrrev_i32_e32 v6, s20, v6
	v_ashrrev_i32_e32 v7, s20, v7
	v_mov_b32_e32 v133, 0
	v_or_b32_sdwa v134, v161, v134 dst_sel:DWORD dst_unused:UNUSED_PAD src0_sel:BYTE_0 src1_sel:DWORD
	v_sub_nc_u16 v165, v165, v166
	v_lshrrev_b32_e32 v166, 24, v13
	v_or_b32_sdwa v12, v12, v135 dst_sel:WORD_1 dst_unused:UNUSED_PAD src0_sel:BYTE_0 src1_sel:DWORD
	s_cmp_lt_u32 s5, 30
	v_lshlrev_b16 v135, 8, v165
	v_sub_nc_u16 v136, v136, v166
	v_lshrrev_b32_e32 v166, 16, v164
	v_sub_nc_u16 v164, v164, v13
	v_lshrrev_b32_e32 v13, 16, v13
	v_or_b32_sdwa v12, v134, v12 dst_sel:DWORD dst_unused:UNUSED_PAD src0_sel:WORD_0 src1_sel:DWORD
	v_lshlrev_b16 v136, 8, v136
	v_or_b32_sdwa v135, v164, v135 dst_sel:DWORD dst_unused:UNUSED_PAD src0_sel:BYTE_0 src1_sel:DWORD
	v_sub_nc_u16 v13, v166, v13
	v_and_b32_e32 v166, 0x3030303, v147
	v_bfe_u32 v147, v147, 24, 2
	v_or_b32_sdwa v13, v13, v136 dst_sel:WORD_1 dst_unused:UNUSED_PAD src0_sel:BYTE_0 src1_sel:DWORD
	v_lshrrev_b16 v167, 8, v166
	v_or_b32_sdwa v13, v135, v13 dst_sel:DWORD dst_unused:UNUSED_PAD src0_sel:WORD_0 src1_sel:DWORD
	v_sub_nc_u16 v167, v167, v168
	v_lshrrev_b32_e32 v168, 24, v14
	v_lshlrev_b16 v136, 8, v167
	v_sub_nc_u16 v147, v147, v168
	v_lshrrev_b32_e32 v168, 16, v166
	v_sub_nc_u16 v166, v166, v14
	v_lshrrev_b32_e32 v14, 16, v14
	v_lshlrev_b16 v147, 8, v147
	v_or_b32_sdwa v136, v166, v136 dst_sel:DWORD dst_unused:UNUSED_PAD src0_sel:BYTE_0 src1_sel:DWORD
	v_sub_nc_u16 v14, v168, v14
	v_and_b32_e32 v168, 0x3030303, v148
	v_bfe_u32 v148, v148, 24, 2
	v_or_b32_sdwa v14, v14, v147 dst_sel:WORD_1 dst_unused:UNUSED_PAD src0_sel:BYTE_0 src1_sel:DWORD
	v_lshrrev_b16 v169, 8, v168
	v_or_b32_sdwa v14, v136, v14 dst_sel:DWORD dst_unused:UNUSED_PAD src0_sel:WORD_0 src1_sel:DWORD
	v_sub_nc_u16 v169, v169, v170
	v_lshrrev_b32_e32 v170, 24, v15
	v_lshlrev_b16 v147, 8, v169
	v_sub_nc_u16 v148, v148, v170
	v_lshrrev_b32_e32 v170, 16, v168
	v_sub_nc_u16 v168, v168, v15
	v_lshrrev_b32_e32 v15, 16, v15
	;; [unrolled: 15-line block ×3, first 2 shown]
	v_lshlrev_b16 v149, 8, v149
	v_or_b32_sdwa v148, v170, v148 dst_sel:DWORD dst_unused:UNUSED_PAD src0_sel:BYTE_0 src1_sel:DWORD
	v_sub_nc_u16 v16, v172, v16
	v_and_b32_e32 v172, 0x3030303, v150
	v_bfe_u32 v150, v150, 24, 2
	v_or_b32_sdwa v16, v16, v149 dst_sel:WORD_1 dst_unused:UNUSED_PAD src0_sel:BYTE_0 src1_sel:DWORD
	v_lshrrev_b16 v173, 8, v172
	v_or_b32_sdwa v16, v148, v16 dst_sel:DWORD dst_unused:UNUSED_PAD src0_sel:WORD_0 src1_sel:DWORD
	v_sub_nc_u16 v173, v173, v174
	v_lshrrev_b32_e32 v174, 24, v17
	v_dot4c_i32_i8 v133, v16, v137
	v_lshlrev_b16 v149, 8, v173
	v_sub_nc_u16 v150, v150, v174
	v_lshrrev_b32_e32 v174, 16, v172
	v_sub_nc_u16 v172, v172, v17
	v_lshrrev_b32_e32 v17, 16, v17
	v_lshlrev_b16 v150, 8, v150
	v_or_b32_sdwa v149, v172, v149 dst_sel:DWORD dst_unused:UNUSED_PAD src0_sel:BYTE_0 src1_sel:DWORD
	v_sub_nc_u16 v17, v174, v17
	v_and_b32_e32 v174, 0x3030303, v4
	v_bfe_u32 v4, v4, 24, 2
	v_or_b32_sdwa v17, v17, v150 dst_sel:WORD_1 dst_unused:UNUSED_PAD src0_sel:BYTE_0 src1_sel:DWORD
	v_lshrrev_b16 v175, 8, v174
	v_or_b32_sdwa v17, v149, v17 dst_sel:DWORD dst_unused:UNUSED_PAD src0_sel:WORD_0 src1_sel:DWORD
	v_sub_nc_u16 v175, v175, v176
	v_lshrrev_b32_e32 v176, 24, v18
	v_dot4c_i32_i8 v133, v17, v138
	v_lshlrev_b16 v150, 8, v175
	v_sub_nc_u16 v4, v4, v176
	v_lshrrev_b32_e32 v176, 16, v174
	v_sub_nc_u16 v174, v174, v18
	v_lshrrev_b32_e32 v18, 16, v18
	v_lshlrev_b16 v4, 8, v4
	v_or_b32_sdwa v150, v174, v150 dst_sel:DWORD dst_unused:UNUSED_PAD src0_sel:BYTE_0 src1_sel:DWORD
	v_sub_nc_u16 v18, v176, v18
	v_and_b32_e32 v176, 0x3030303, v5
	v_bfe_u32 v5, v5, 24, 2
	v_or_b32_sdwa v4, v18, v4 dst_sel:WORD_1 dst_unused:UNUSED_PAD src0_sel:BYTE_0 src1_sel:DWORD
	v_lshrrev_b16 v177, 8, v176
	v_or_b32_sdwa v4, v150, v4 dst_sel:DWORD dst_unused:UNUSED_PAD src0_sel:WORD_0 src1_sel:DWORD
	v_sub_nc_u16 v177, v177, v178
	v_lshrrev_b32_e32 v178, 24, v19
	v_lshlrev_b16 v18, 8, v177
	v_sub_nc_u16 v5, v5, v178
	v_lshrrev_b32_e32 v178, 16, v176
	v_sub_nc_u16 v176, v176, v19
	v_lshrrev_b32_e32 v19, 16, v19
	v_lshlrev_b16 v5, 8, v5
	v_or_b32_sdwa v18, v176, v18 dst_sel:DWORD dst_unused:UNUSED_PAD src0_sel:BYTE_0 src1_sel:DWORD
	v_sub_nc_u16 v19, v178, v19
	v_and_b32_e32 v178, 0x3030303, v153
	v_bfe_u32 v153, v153, 24, 2
	v_or_b32_sdwa v5, v19, v5 dst_sel:WORD_1 dst_unused:UNUSED_PAD src0_sel:BYTE_0 src1_sel:DWORD
	v_lshrrev_b16 v179, 8, v178
	v_or_b32_sdwa v5, v18, v5 dst_sel:DWORD dst_unused:UNUSED_PAD src0_sel:WORD_0 src1_sel:DWORD
	v_sub_nc_u16 v179, v179, v180
	v_lshrrev_b32_e32 v180, 24, v8
	;; [unrolled: 15-line block ×5, first 2 shown]
	v_dot4c_i32_i8 v133, v18, v139
	v_lshlrev_b16 v151, 8, v185
	v_sub_nc_u16 v152, v152, v186
	v_lshrrev_b32_e32 v186, 16, v184
	v_sub_nc_u16 v184, v184, v142
	v_lshrrev_b32_e32 v142, 16, v142
	v_lshlrev_b16 v152, 8, v152
	v_or_b32_sdwa v151, v184, v151 dst_sel:DWORD dst_unused:UNUSED_PAD src0_sel:BYTE_0 src1_sel:DWORD
	v_sub_nc_u16 v142, v186, v142
	v_and_b32_e32 v186, 0x3030303, v6
	v_bfe_u32 v6, v6, 24, 2
	v_or_b32_sdwa v142, v142, v152 dst_sel:WORD_1 dst_unused:UNUSED_PAD src0_sel:BYTE_0 src1_sel:DWORD
	v_lshrrev_b16 v187, 8, v186
	v_or_b32_sdwa v19, v151, v142 dst_sel:DWORD dst_unused:UNUSED_PAD src0_sel:WORD_0 src1_sel:DWORD
	v_sub_nc_u16 v187, v187, v188
	v_lshrrev_b32_e32 v188, 24, v20
	v_dot4c_i32_i8 v133, v19, v140
	v_lshlrev_b16 v152, 8, v187
	v_sub_nc_u16 v6, v6, v188
	v_lshrrev_b32_e32 v188, 16, v186
	v_sub_nc_u16 v186, v186, v20
	v_lshrrev_b32_e32 v20, 16, v20
	v_lshlrev_b16 v6, 8, v6
	v_or_b32_sdwa v152, v186, v152 dst_sel:DWORD dst_unused:UNUSED_PAD src0_sel:BYTE_0 src1_sel:DWORD
	v_sub_nc_u16 v20, v188, v20
	v_and_b32_e32 v188, 0x3030303, v7
	v_bfe_u32 v7, v7, 24, 2
	v_or_b32_sdwa v6, v20, v6 dst_sel:WORD_1 dst_unused:UNUSED_PAD src0_sel:BYTE_0 src1_sel:DWORD
	v_lshrrev_b16 v189, 8, v188
	v_or_b32_sdwa v6, v152, v6 dst_sel:DWORD dst_unused:UNUSED_PAD src0_sel:WORD_0 src1_sel:DWORD
	v_sub_nc_u16 v189, v189, v190
	v_lshrrev_b32_e32 v190, 24, v21
	v_lshlrev_b16 v20, 8, v189
	v_sub_nc_u16 v7, v7, v190
	v_lshrrev_b32_e32 v190, 16, v188
	v_sub_nc_u16 v188, v188, v21
	v_lshrrev_b32_e32 v21, 16, v21
	v_lshlrev_b16 v7, 8, v7
	v_or_b32_sdwa v20, v188, v20 dst_sel:DWORD dst_unused:UNUSED_PAD src0_sel:BYTE_0 src1_sel:DWORD
	v_sub_nc_u16 v21, v190, v21
	v_or_b32_sdwa v7, v21, v7 dst_sel:WORD_1 dst_unused:UNUSED_PAD src0_sel:BYTE_0 src1_sel:DWORD
	v_mov_b32_e32 v21, 0
	v_or_b32_sdwa v7, v20, v7 dst_sel:DWORD dst_unused:UNUSED_PAD src0_sel:WORD_0 src1_sel:DWORD
	v_mov_b32_e32 v20, 0
	v_dot4c_i32_i8 v21, v10, v137
	v_add_nc_u32_e32 v10, s19, v94
	v_dot4c_i32_i8 v20, v14, v137
	v_mov_b32_e32 v14, 0
	v_dot4c_i32_i8 v21, v11, v138
	v_dot4c_i32_i8 v20, v15, v138
	;; [unrolled: 1-line block ×3, first 2 shown]
	v_add_nc_u32_e32 v4, s19, v92
	ds_read_u16 v10, v10 offset:25330
	ds_read_u16 v4, v4 offset:27378
	v_dot4c_i32_i8 v14, v5, v138
	v_bfe_i32 v5, v143, 0, 8
	v_dot4c_i32_i8 v21, v12, v139
	v_lshrrev_b16 v12, 8, v130
	v_bfe_i32 v130, v130, 0, 8
	v_dot4c_i32_i8 v14, v6, v139
	v_mul_lo_u32 v5, v146, v5
	v_dot4c_i32_i8 v20, v8, v139
	v_dot4c_i32_i8 v21, v13, v140
	ds_read_b32 v16, v129
	v_dot4c_i32_i8 v14, v7, v140
	v_mul_lo_u32 v7, v158, v130
	v_dot4c_i32_i8 v20, v9, v140
	v_bfe_i32 v12, v12, 0, 8
	v_add_nc_u32_e32 v129, 4, v129
	s_mov_b32 s19, s5
	s_waitcnt lgkmcnt(2)
	v_lshrrev_b16 v11, 8, v10
	v_bfe_i32 v10, v10, 0, 8
	s_waitcnt lgkmcnt(1)
	v_lshrrev_b16 v15, 8, v4
	v_bfe_i32 v17, v4, 0, 8
	v_lshrrev_b16 v4, 8, v143
	v_bfe_i32 v11, v11, 0, 8
	v_bfe_i32 v15, v15, 0, 8
	v_mul_lo_u32 v6, v144, v17
	v_bfe_i32 v134, v4, 0, 8
	v_mul_lo_u32 v4, v163, v10
	v_mad_u64_u32 v[8:9], null, v21, v11, v[4:5]
	v_mad_u64_u32 v[9:10], null, v20, v134, v[5:6]
	;; [unrolled: 1-line block ×3, first 2 shown]
	s_waitcnt lgkmcnt(0)
	v_mul_f32_e32 v4, v16, v132
	v_mul_f32_e32 v5, v16, v145
	v_mad_u64_u32 v[11:12], null, v14, v12, v[7:8]
	v_mul_f32_e32 v6, v16, v131
	v_mul_f32_e32 v7, v16, v155
	v_cvt_f32_i32_e32 v8, v8
	v_cvt_f32_i32_e32 v9, v9
	;; [unrolled: 1-line block ×4, first 2 shown]
	v_fmac_f32_e32 v23, v4, v8
	v_fmac_f32_e32 v85, v5, v9
	;; [unrolled: 1-line block ×4, first 2 shown]
	s_cbranch_scc1 .LBB229_35
; %bb.36:                               ;   in Loop: Header=BB229_5 Depth=1
	s_barrier
	buffer_gl0_inv
	s_branch .LBB229_4
.LBB229_37:
	s_mul_i32 s0, s11, s8
	s_waitcnt vmcnt(0)
	v_cmp_gt_i32_e32 vcc_lo, s0, v22
	s_and_saveexec_b32 s0, vcc_lo
	s_cbranch_execz .LBB229_46
; %bb.38:
	v_add_nc_u32_e32 v1, s6, v0
	v_mul_lo_u32 v0, v22, s10
	s_mov_b32 s0, exec_lo
	v_cmpx_gt_u32_e64 s10, v1
	s_cbranch_execz .LBB229_40
; %bb.39:
	v_add_nc_u32_e32 v4, v0, v1
	v_mov_b32_e32 v5, 0
	v_bfe_u32 v2, v23, 16, 1
	v_cmp_o_f32_e32 vcc_lo, v23, v23
	v_mov_b32_e32 v6, 0x7fc0
	v_lshlrev_b64 v[4:5], 1, v[4:5]
	v_add3_u32 v2, v23, v2, 0x7fff
	v_cndmask_b32_sdwa v2, v6, v2, vcc_lo dst_sel:DWORD dst_unused:UNUSED_PAD src0_sel:DWORD src1_sel:WORD_1
	v_add_co_u32 v4, vcc_lo, s12, v4
	v_add_co_ci_u32_e64 v5, null, s13, v5, vcc_lo
	global_store_short v[4:5], v2, off
.LBB229_40:
	s_or_b32 exec_lo, exec_lo, s0
	v_add_nc_u32_e32 v2, 32, v1
	s_mov_b32 s0, exec_lo
	v_cmpx_gt_u32_e64 s10, v2
	s_cbranch_execz .LBB229_42
; %bb.41:
	v_add_nc_u32_e32 v4, v0, v2
	v_mov_b32_e32 v5, 0
	v_bfe_u32 v6, v85, 16, 1
	v_cmp_o_f32_e32 vcc_lo, v85, v85
	v_mov_b32_e32 v2, 0x7fc0
	v_lshlrev_b64 v[4:5], 1, v[4:5]
	v_add3_u32 v6, v85, v6, 0x7fff
	v_cndmask_b32_sdwa v2, v2, v6, vcc_lo dst_sel:DWORD dst_unused:UNUSED_PAD src0_sel:DWORD src1_sel:WORD_1
	v_add_co_u32 v4, vcc_lo, s12, v4
	v_add_co_ci_u32_e64 v5, null, s13, v5, vcc_lo
	global_store_short v[4:5], v2, off
.LBB229_42:
	s_or_b32 exec_lo, exec_lo, s0
	v_add_nc_u32_e32 v2, 64, v1
	;; [unrolled: 18-line block ×3, first 2 shown]
	v_cmp_gt_u32_e32 vcc_lo, s10, v1
	s_and_b32 exec_lo, exec_lo, vcc_lo
	s_cbranch_execz .LBB229_46
; %bb.45:
	v_add_nc_u32_e32 v0, v0, v1
	v_mov_b32_e32 v1, 0
	v_bfe_u32 v2, v3, 16, 1
	v_cmp_o_f32_e32 vcc_lo, v3, v3
	v_mov_b32_e32 v4, 0x7fc0
	v_lshlrev_b64 v[0:1], 1, v[0:1]
	v_add3_u32 v2, v3, v2, 0x7fff
	v_cndmask_b32_sdwa v2, v4, v2, vcc_lo dst_sel:DWORD dst_unused:UNUSED_PAD src0_sel:DWORD src1_sel:WORD_1
	v_add_co_u32 v0, vcc_lo, s12, v0
	v_add_co_ci_u32_e64 v1, null, s13, v1, vcc_lo
	global_store_short v[0:1], v2, off
.LBB229_46:
	s_endpgm
	.section	.rodata,"a",@progbits
	.p2align	6, 0x0
	.amdhsa_kernel _ZL8moe_q3_KIN3c108BFloat16ELb0EEvPKvS3_PT_PKiS7_S7_iiiiiii
		.amdhsa_group_segment_fixed_size 31776
		.amdhsa_private_segment_fixed_size 0
		.amdhsa_kernarg_size 76
		.amdhsa_user_sgpr_count 6
		.amdhsa_user_sgpr_private_segment_buffer 1
		.amdhsa_user_sgpr_dispatch_ptr 0
		.amdhsa_user_sgpr_queue_ptr 0
		.amdhsa_user_sgpr_kernarg_segment_ptr 1
		.amdhsa_user_sgpr_dispatch_id 0
		.amdhsa_user_sgpr_flat_scratch_init 0
		.amdhsa_user_sgpr_private_segment_size 0
		.amdhsa_wavefront_size32 1
		.amdhsa_uses_dynamic_stack 0
		.amdhsa_system_sgpr_private_segment_wavefront_offset 0
		.amdhsa_system_sgpr_workgroup_id_x 1
		.amdhsa_system_sgpr_workgroup_id_y 1
		.amdhsa_system_sgpr_workgroup_id_z 0
		.amdhsa_system_sgpr_workgroup_info 0
		.amdhsa_system_vgpr_workitem_id 1
		.amdhsa_next_free_vgpr 248
		.amdhsa_next_free_sgpr 26
		.amdhsa_reserve_vcc 1
		.amdhsa_reserve_flat_scratch 0
		.amdhsa_float_round_mode_32 0
		.amdhsa_float_round_mode_16_64 0
		.amdhsa_float_denorm_mode_32 3
		.amdhsa_float_denorm_mode_16_64 3
		.amdhsa_dx10_clamp 1
		.amdhsa_ieee_mode 1
		.amdhsa_fp16_overflow 0
		.amdhsa_workgroup_processor_mode 1
		.amdhsa_memory_ordered 1
		.amdhsa_forward_progress 1
		.amdhsa_shared_vgpr_count 0
		.amdhsa_exception_fp_ieee_invalid_op 0
		.amdhsa_exception_fp_denorm_src 0
		.amdhsa_exception_fp_ieee_div_zero 0
		.amdhsa_exception_fp_ieee_overflow 0
		.amdhsa_exception_fp_ieee_underflow 0
		.amdhsa_exception_fp_ieee_inexact 0
		.amdhsa_exception_int_div_zero 0
	.end_amdhsa_kernel
	.section	.text._ZL8moe_q3_KIN3c108BFloat16ELb0EEvPKvS3_PT_PKiS7_S7_iiiiiii,"axG",@progbits,_ZL8moe_q3_KIN3c108BFloat16ELb0EEvPKvS3_PT_PKiS7_S7_iiiiiii,comdat
.Lfunc_end229:
	.size	_ZL8moe_q3_KIN3c108BFloat16ELb0EEvPKvS3_PT_PKiS7_S7_iiiiiii, .Lfunc_end229-_ZL8moe_q3_KIN3c108BFloat16ELb0EEvPKvS3_PT_PKiS7_S7_iiiiiii
                                        ; -- End function
	.set _ZL8moe_q3_KIN3c108BFloat16ELb0EEvPKvS3_PT_PKiS7_S7_iiiiiii.num_vgpr, 248
	.set _ZL8moe_q3_KIN3c108BFloat16ELb0EEvPKvS3_PT_PKiS7_S7_iiiiiii.num_agpr, 0
	.set _ZL8moe_q3_KIN3c108BFloat16ELb0EEvPKvS3_PT_PKiS7_S7_iiiiiii.numbered_sgpr, 26
	.set _ZL8moe_q3_KIN3c108BFloat16ELb0EEvPKvS3_PT_PKiS7_S7_iiiiiii.num_named_barrier, 0
	.set _ZL8moe_q3_KIN3c108BFloat16ELb0EEvPKvS3_PT_PKiS7_S7_iiiiiii.private_seg_size, 0
	.set _ZL8moe_q3_KIN3c108BFloat16ELb0EEvPKvS3_PT_PKiS7_S7_iiiiiii.uses_vcc, 1
	.set _ZL8moe_q3_KIN3c108BFloat16ELb0EEvPKvS3_PT_PKiS7_S7_iiiiiii.uses_flat_scratch, 0
	.set _ZL8moe_q3_KIN3c108BFloat16ELb0EEvPKvS3_PT_PKiS7_S7_iiiiiii.has_dyn_sized_stack, 0
	.set _ZL8moe_q3_KIN3c108BFloat16ELb0EEvPKvS3_PT_PKiS7_S7_iiiiiii.has_recursion, 0
	.set _ZL8moe_q3_KIN3c108BFloat16ELb0EEvPKvS3_PT_PKiS7_S7_iiiiiii.has_indirect_call, 0
	.section	.AMDGPU.csdata,"",@progbits
; Kernel info:
; codeLenInByte = 26532
; TotalNumSgprs: 28
; NumVgprs: 248
; ScratchSize: 0
; MemoryBound: 0
; FloatMode: 240
; IeeeMode: 1
; LDSByteSize: 31776 bytes/workgroup (compile time only)
; SGPRBlocks: 0
; VGPRBlocks: 30
; NumSGPRsForWavesPerEU: 28
; NumVGPRsForWavesPerEU: 248
; Occupancy: 4
; WaveLimiterHint : 1
; COMPUTE_PGM_RSRC2:SCRATCH_EN: 0
; COMPUTE_PGM_RSRC2:USER_SGPR: 6
; COMPUTE_PGM_RSRC2:TRAP_HANDLER: 0
; COMPUTE_PGM_RSRC2:TGID_X_EN: 1
; COMPUTE_PGM_RSRC2:TGID_Y_EN: 1
; COMPUTE_PGM_RSRC2:TGID_Z_EN: 0
; COMPUTE_PGM_RSRC2:TIDIG_COMP_CNT: 1
	.section	.text._ZL8moe_q3_KIN3c108BFloat16ELb1EEvPKvS3_PT_PKiS7_S7_iiiiiii,"axG",@progbits,_ZL8moe_q3_KIN3c108BFloat16ELb1EEvPKvS3_PT_PKiS7_S7_iiiiiii,comdat
	.globl	_ZL8moe_q3_KIN3c108BFloat16ELb1EEvPKvS3_PT_PKiS7_S7_iiiiiii ; -- Begin function _ZL8moe_q3_KIN3c108BFloat16ELb1EEvPKvS3_PT_PKiS7_S7_iiiiiii
	.p2align	8
	.type	_ZL8moe_q3_KIN3c108BFloat16ELb1EEvPKvS3_PT_PKiS7_S7_iiiiiii,@function
_ZL8moe_q3_KIN3c108BFloat16ELb1EEvPKvS3_PT_PKiS7_S7_iiiiiii: ; @_ZL8moe_q3_KIN3c108BFloat16ELb1EEvPKvS3_PT_PKiS7_S7_iiiiiii
; %bb.0:
	s_load_dwordx4 s[0:3], s[4:5], 0x18
	s_mov_b32 s8, s7
	s_mov_b32 s9, 0
	s_lshl_b64 s[10:11], s[8:9], 2
	s_waitcnt lgkmcnt(0)
	s_add_u32 s2, s2, s10
	s_addc_u32 s3, s3, s11
	s_load_dword s7, s[2:3], 0x0
	s_waitcnt lgkmcnt(0)
	s_cmpk_gt_u32 s7, 0xff
	s_cbranch_scc1 .LBB230_46
; %bb.1:
	s_load_dwordx2 s[2:3], s[4:5], 0x28
	s_waitcnt lgkmcnt(0)
	s_load_dword s3, s[2:3], 0x0
	s_lshl_b32 s2, s8, 3
	s_waitcnt lgkmcnt(0)
	s_cmp_gt_u32 s2, s3
	s_cbranch_scc1 .LBB230_46
; %bb.2:
	v_add_nc_u32_e32 v17, s2, v1
	v_mov_b32_e32 v18, 0
	s_lshl_b32 s6, s6, 7
	v_lshlrev_b64 v[2:3], 2, v[17:18]
	v_mov_b32_e32 v82, v18
	v_mov_b32_e32 v86, v18
	;; [unrolled: 1-line block ×3, first 2 shown]
	v_add_co_u32 v2, vcc_lo, s0, v2
	v_add_co_ci_u32_e64 v3, null, s1, v3, vcc_lo
	global_load_dword v39, v[2:3], off
	s_clause 0x1
	s_load_dwordx8 s[8:15], s[4:5], 0x30
	s_load_dwordx2 s[16:17], s[4:5], 0x10
	s_waitcnt lgkmcnt(0)
	s_cmpk_lt_i32 s9, 0x100
	s_cbranch_scc1 .LBB230_37
; %bb.3:
	s_load_dwordx4 s[0:3], s[4:5], 0x0
	s_ashr_i32 s4, s9, 31
	v_lshlrev_b32_e32 v21, 4, v1
	s_lshr_b32 s4, s4, 24
	v_lshrrev_b32_e32 v51, 1, v0
	s_ashr_i32 s5, s12, 31
	s_add_i32 s4, s9, s4
	s_lshr_b32 s5, s5, 27
	s_mul_i32 s15, s7, s8
	s_ashr_i32 s7, s4, 8
	s_add_i32 s4, s12, s5
	v_add_nc_u32_e32 v15, v51, v21
	s_mul_i32 s5, s7, s6
	s_ashr_i32 s18, s15, 31
	s_ashr_i32 s8, s4, 5
	s_mul_hi_i32 s4, s5, 0x6e
	s_mulk_i32 s5, 0x6e
	v_and_b32_e32 v15, 0x7f, v15
	v_and_b32_e32 v20, 15, v0
	;; [unrolled: 1-line block ×3, first 2 shown]
	s_waitcnt lgkmcnt(0)
	s_add_u32 s0, s0, s15
	s_addc_u32 s1, s1, s18
	s_add_u32 s12, s0, s5
	s_addc_u32 s15, s1, s4
	s_not_b32 s0, s6
	s_abs_i32 s1, s14
	s_add_i32 s0, s10, s0
	v_cvt_f32_u32_e32 v73, s1
	v_min_i32_e32 v22, s0, v15
	v_lshlrev_b32_e32 v26, 2, v59
	v_cmp_lt_u32_e32 vcc_lo, 7, v20
	v_and_b32_e32 v77, 3, v0
	v_rcp_iflag_f32_e32 v76, v73
	v_ashrrev_i32_e32 v18, 31, v22
	v_lshrrev_b32_e32 v70, 3, v0
	v_cndmask_b32_e64 v62, 0, 1, vcc_lo
	v_add_nc_u16 v74, v77, -2
	v_cmp_gt_u32_e32 vcc_lo, 2, v77
	v_lshrrev_b32_e32 v18, 28, v18
	v_lshl_add_u32 v78, v1, 2, v70
	v_mov_b32_e32 v81, 2
	s_sub_i32 s4, 0, s1
	v_cndmask_b32_e32 v80, v74, v77, vcc_lo
	v_add_nc_u32_e32 v18, v22, v18
	v_min_i32_e32 v79, s0, v78
	v_add_nc_u32_e32 v2, 8, v1
	v_add_nc_u32_e32 v4, 16, v1
	;; [unrolled: 1-line block ×3, first 2 shown]
	v_ashrrev_i32_e32 v18, 4, v18
	v_ashrrev_i32_e32 v75, 31, v79
	v_add_nc_u32_e32 v8, 32, v1
	v_lshlrev_b32_e32 v19, 2, v0
	v_min_i32_e32 v3, s0, v1
	v_lshlrev_b32_e32 v25, 2, v18
	v_add_nc_u32_e32 v9, 40, v1
	v_min_i32_e32 v5, s0, v2
	v_add_nc_u32_e32 v10, 48, v1
	s_waitcnt vmcnt(0)
	v_sub_nc_u32_e32 v87, 0, v39
	v_add3_u32 v25, v25, v26, 0x7380
	v_and_b32_e32 v26, 7, v0
	v_min_i32_e32 v6, s0, v4
	v_add_nc_u32_e32 v11, 56, v1
	v_lshrrev_b32_e32 v82, 30, v75
	v_min_i32_e32 v7, s0, v7
	v_lshlrev_b32_e32 v63, 2, v26
	v_cmp_lt_u32_e32 vcc_lo, 3, v26
	v_mul_f32_e32 v26, 0x4f7ffffe, v76
	v_lshlrev_b32_sdwa v76, v81, v80 dst_sel:DWORD dst_unused:UNUSED_PAD src0_sel:DWORD src1_sel:BYTE_0
	v_add_nc_u32_e32 v81, 32, v78
	v_add_nc_u32_e32 v12, 64, v1
	v_min_i32_e32 v8, s0, v8
	v_cvt_u32_f32_e32 v26, v26
	v_add_nc_u32_e32 v13, 0x48, v1
	v_min_i32_e32 v81, s0, v81
	v_mul_lo_u32 v43, v3, s7
	v_mad_u64_u32 v[2:3], null, 0x84, v3, v[19:20]
	v_mul_lo_u32 v83, s4, v26
	v_ashrrev_i32_e32 v85, 31, v81
	v_min_i32_e32 v9, s0, v9
	v_add_nc_u32_e32 v14, 0x50, v1
	v_mad_u64_u32 v[3:4], null, 0x84, v5, v[19:20]
	v_lshrrev_b32_e32 v85, 30, v85
	v_min_i32_e32 v10, s0, v10
	v_mul_hi_u32 v83, v26, v83
	v_add_nc_u32_e32 v16, 0x58, v1
	v_add_nc_u32_e32 v17, 0x60, v1
	v_max_i32_e32 v87, v39, v87
	v_mul_lo_u32 v44, v5, s7
	v_mad_u64_u32 v[4:5], null, 0x84, v6, v[19:20]
	v_min_i32_e32 v11, s0, v11
	v_add_nc_u32_e32 v26, v26, v83
	v_add_nc_u32_e32 v80, v79, v82
	;; [unrolled: 1-line block ×3, first 2 shown]
	v_mul_lo_u32 v45, v6, s7
	v_mad_u64_u32 v[5:6], null, 0x84, v7, v[19:20]
	v_min_i32_e32 v12, s0, v12
	v_mul_lo_u32 v46, v7, s7
	v_mad_u64_u32 v[6:7], null, 0x84, v8, v[19:20]
	v_min_i32_e32 v13, s0, v13
	v_add_nc_u32_e32 v85, v81, v85
	v_mul_lo_u32 v47, v8, s7
	v_mad_u64_u32 v[7:8], null, 0x84, v9, v[19:20]
	v_min_i32_e32 v14, s0, v14
	v_mul_lo_u32 v48, v9, s7
	v_mad_u64_u32 v[8:9], null, 0x84, v10, v[19:20]
	v_min_i32_e32 v16, s0, v16
	v_min_i32_e32 v15, s0, v17
	v_add_nc_u32_e32 v17, 0x68, v1
	v_mul_hi_u32 v26, v87, v26
	v_lshrrev_b32_e32 v41, 4, v0
	v_mul_lo_u32 v49, v10, s7
	v_mad_u64_u32 v[9:10], null, 0x84, v11, v[19:20]
	v_and_b32_e32 v80, -4, v80
	v_min_i32_e32 v82, s0, v82
	v_add_nc_u32_e32 v84, 0x60, v78
	v_mul_lo_u32 v50, v11, s7
	v_mad_u64_u32 v[10:11], null, 0x84, v12, v[19:20]
	v_mul_lo_u32 v52, v12, s7
	v_mad_u64_u32 v[11:12], null, 0x84, v13, v[19:20]
	v_and_b32_e32 v85, -4, v85
	v_mul_lo_u32 v53, v13, s7
	v_mad_u64_u32 v[12:13], null, 0x84, v14, v[19:20]
	v_mul_lo_u32 v54, v14, s7
	v_mul_lo_u32 v55, v16, s7
	v_mad_u64_u32 v[13:14], null, 0x84, v16, v[19:20]
	v_min_i32_e32 v16, s0, v17
	v_add_nc_u32_e32 v17, 0x70, v1
	v_add_nc_u32_e32 v23, 0x78, v1
	v_lshl_add_u32 v24, v1, 1, v41
	v_add3_u32 v86, v80, v63, 0x6300
	v_ashrrev_i32_e32 v80, 31, v82
	v_min_i32_e32 v84, s0, v84
	v_add3_u32 v110, v85, v63, 0x6300
	v_mul_lo_u32 v85, v26, s1
	v_min_i32_e32 v17, s0, v17
	v_min_i32_e32 v23, s0, v23
	v_add_nc_u32_e32 v29, 32, v24
	v_mul_lo_u32 v78, v79, s7
	v_lshlrev_b32_e32 v108, 5, v79
	v_lshrrev_b32_e32 v79, 30, v80
	v_ashrrev_i32_e32 v80, 31, v84
	v_mul_lo_u32 v56, v15, s7
	v_mad_u64_u32 v[14:15], null, 0x84, v15, v[19:20]
	v_mul_lo_u32 v57, v16, s7
	v_mad_u64_u32 v[15:16], null, 0x84, v16, v[19:20]
	;; [unrolled: 2-line block ×3, first 2 shown]
	v_lshlrev_b32_e32 v42, 2, v20
	v_min_i32_e32 v27, s0, v24
	v_add_nc_u32_e32 v28, 16, v24
	v_mad_u64_u32 v[17:18], null, 0x84, v23, v[19:20]
	v_min_i32_e32 v20, s0, v29
	v_add_nc_u32_e32 v29, 48, v24
	v_add_nc_u32_e32 v32, 64, v24
	;; [unrolled: 1-line block ×5, first 2 shown]
	v_lshrrev_b32_e32 v80, 30, v80
	v_sub_nc_u32_e32 v87, v87, v85
	v_mul_lo_u32 v60, v23, s7
	v_min_i32_e32 v23, s0, v28
	v_min_i32_e32 v29, s0, v29
	;; [unrolled: 1-line block ×6, first 2 shown]
	v_add_nc_u32_e32 v83, v82, v79
	v_mul_lo_u32 v79, v81, s7
	v_add_nc_u32_e32 v88, v84, v80
	v_lshlrev_b32_e32 v111, 5, v81
	v_mul_lo_u32 v81, v84, s7
	v_lshlrev_b32_e32 v114, 5, v84
	v_add_nc_u32_e32 v85, 1, v26
	v_add_nc_u32_e32 v84, 0x7ba0, v21
	v_subrev_nc_u32_e32 v21, s1, v87
	v_cmp_le_u32_e64 s0, s1, v87
	v_and_b32_e32 v101, 28, v19
	v_lshrrev_b32_e32 v18, 31, v27
	v_lshrrev_b32_e32 v28, 31, v23
	;; [unrolled: 1-line block ×3, first 2 shown]
	v_cndmask_b32_e64 v26, v26, v85, s0
	v_cndmask_b32_e64 v21, v87, v21, s0
	v_add_nc_u32_e32 v85, v84, v19
	v_xor_b32_e32 v19, s14, v39
	v_add_lshl_u32 v18, v27, v18, 1
	v_add_nc_u32_e32 v87, 1, v26
	v_cmp_le_u32_e64 s0, s1, v21
	v_add_lshl_u32 v28, v23, v28, 1
	v_ashrrev_i32_e32 v19, 31, v19
	v_lshrrev_b32_e32 v31, 31, v29
	v_lshrrev_b32_e32 v34, 31, v32
	v_cndmask_b32_e64 v21, v26, v87, s0
	v_lshrrev_b32_e32 v36, 31, v33
	v_lshrrev_b32_e32 v37, 31, v35
	;; [unrolled: 1-line block ×3, first 2 shown]
	v_and_b32_e32 v83, -4, v83
	v_xor_b32_e32 v21, v21, v19
	v_and_b32_e32 v18, -4, v18
	v_and_b32_e32 v28, -4, v28
	v_add_lshl_u32 v30, v20, v30, 1
	v_add_lshl_u32 v31, v29, v31, 1
	;; [unrolled: 1-line block ×6, first 2 shown]
	v_add3_u32 v112, v83, v63, 0x6300
	v_and_b32_e32 v83, -4, v88
	v_and_b32_e32 v88, 31, v0
	v_lshl_add_u32 v1, v1, 7, 0x77a0
	v_add_nc_u32_e32 v96, 32, v0
	v_add_nc_u32_e32 v97, 64, v0
	;; [unrolled: 1-line block ×3, first 2 shown]
	v_sub_nc_u32_e32 v19, v21, v19
	v_mul_lo_u32 v61, v22, s7
	v_lshlrev_b32_e32 v22, 3, v22
	v_mul_lo_u32 v64, v27, s7
	v_add3_u32 v18, v18, v42, 0x4200
	v_lshlrev_b32_e32 v27, 6, v27
	v_mul_lo_u32 v65, v23, s7
	v_add3_u32 v28, v28, v42, 0x4200
	v_lshlrev_b32_e32 v23, 6, v23
	v_and_b32_e32 v30, -4, v30
	v_and_b32_e32 v31, -4, v31
	v_and_b32_e32 v34, -4, v34
	v_and_b32_e32 v36, -4, v36
	v_and_b32_e32 v37, -4, v37
	v_and_b32_e32 v38, -4, v38
	v_add3_u32 v113, v83, v63, 0x6300
	v_lshl_add_u32 v83, v88, 2, v1
	v_lshlrev_b32_e32 v26, 5, v0
	v_and_b32_e32 v21, 0x1fc, v98
	v_and_b32_e32 v88, 0x1fc, v97
	;; [unrolled: 1-line block ×4, first 2 shown]
	v_mul_lo_u32 v99, v19, s8
	v_mul_lo_u32 v66, v20, s7
	v_add3_u32 v30, v30, v42, 0x4200
	v_lshlrev_b32_e32 v20, 6, v20
	v_mul_lo_u32 v67, v29, s7
	v_add3_u32 v31, v31, v42, 0x4200
	v_lshlrev_b32_e32 v29, 6, v29
	;; [unrolled: 3-line block ×6, first 2 shown]
	v_lshlrev_b32_e32 v73, 1, v0
	v_mul_lo_u32 v80, v82, s7
	v_lshlrev_b32_e32 v82, 5, v82
	v_mul_u32_u24_e32 v102, 33, v0
	v_lshlrev_b32_e32 v115, 4, v0
	v_lshlrev_b32_e32 v116, 4, v96
	v_lshrrev_b32_e32 v117, 1, v96
	v_lshlrev_b32_e32 v118, 1, v96
	v_lshrrev_b32_e32 v119, 4, v96
	;; [unrolled: 2-line block ×3, first 2 shown]
	v_add_nc_u32_e32 v87, v26, v21
	v_add_nc_u32_e32 v88, v26, v88
	;; [unrolled: 1-line block ×4, first 2 shown]
	v_lshlrev_b32_e32 v21, 1, v97
	v_add_nc_u32_e32 v91, v25, v22
	v_lshrrev_b32_e32 v22, 4, v97
	v_add_nc_u32_e32 v92, v18, v27
	v_lshlrev_b32_e32 v18, 4, v98
	v_add_nc_u32_e32 v93, v28, v23
	v_lshrrev_b32_e32 v23, 1, v98
	v_lshlrev_b32_e32 v25, 1, v98
	v_lshrrev_b32_e32 v26, 4, v98
	v_cndmask_b32_e64 v74, 0, 1, vcc_lo
	v_cmp_gt_u32_e32 vcc_lo, 4, v0
	v_cmp_gt_i32_e64 s0, s11, v19
	v_add_co_u32 v19, s1, s2, v101
	v_mov_b32_e32 v40, 0
	v_and_b32_e32 v75, 4, v73
	v_lshlrev_b32_e32 v77, 1, v77
	v_add_nc_u32_e32 v94, v30, v20
	v_add_nc_u32_e32 v95, v31, v29
	v_lshrrev_b32_e32 v96, 3, v96
	v_lshrrev_b32_e32 v97, 3, v97
	;; [unrolled: 1-line block ×3, first 2 shown]
	v_add_nc_u32_e32 v100, v34, v32
	v_add_co_ci_u32_e64 v20, null, s3, 0, s1
	v_lshlrev_b32_e32 v101, 2, v102
	v_add_nc_u32_e32 v102, v36, v33
	v_ashrrev_i32_e32 v103, 31, v99
	v_add_nc_u32_e32 v104, v37, v35
	v_add_nc_u32_e32 v105, 0x6f00, v87
	;; [unrolled: 1-line block ×10, first 2 shown]
	v_lshlrev_b32_e32 v114, 2, v115
	v_lshlrev_b32_e32 v115, 2, v117
	;; [unrolled: 1-line block ×13, first 2 shown]
	v_mov_b32_e32 v86, 0
	v_mov_b32_e32 v82, 0
	;; [unrolled: 1-line block ×3, first 2 shown]
	s_mov_b32 s10, 0
	s_and_b32 s18, vcc_lo, s0
	s_branch .LBB230_5
.LBB230_4:                              ;   in Loop: Header=BB230_5 Depth=1
	s_add_i32 s10, s10, 2
	s_cmp_ge_i32 s10, s7
	s_cbranch_scc1 .LBB230_37
.LBB230_5:                              ; =>This Loop Header: Depth=1
                                        ;     Child Loop BB230_11 Depth 2
                                        ;     Child Loop BB230_19 Depth 2
	;; [unrolled: 1-line block ×4, first 2 shown]
	s_mul_i32 s1, s10, 0x6e
	s_mul_hi_u32 s5, s10, 0x6e
	s_add_u32 s4, s12, s1
	s_addc_u32 s5, s15, s5
	v_mad_u64_u32 v[21:22], null, 0x6e, v41, s[4:5]
	v_mad_i64_i32 v[23:24], null, 0x6e, v43, v[21:22]
	v_mad_i64_i32 v[25:26], null, 0x6e, v44, v[21:22]
	;; [unrolled: 1-line block ×4, first 2 shown]
	v_add_co_u32 v23, s1, v23, v42
	v_mad_i64_i32 v[31:32], null, 0x6e, v47, v[21:22]
	v_add_co_ci_u32_e64 v24, null, 0, v24, s1
	v_add_co_u32 v25, s1, v25, v42
	v_mad_i64_i32 v[33:34], null, 0x6e, v48, v[21:22]
	v_add_co_ci_u32_e64 v26, null, 0, v26, s1
	;; [unrolled: 3-line block ×4, first 2 shown]
	v_add_co_u32 v31, s1, v31, v42
	v_add_co_ci_u32_e64 v32, null, 0, v32, s1
	v_add_co_u32 v33, s1, v33, v42
	v_add_co_ci_u32_e64 v34, null, 0, v34, s1
	;; [unrolled: 2-line block ×3, first 2 shown]
	v_add_co_u32 v37, s1, v37, v42
	v_mad_i64_i32 v[127:128], null, 0x6e, v52, v[21:22]
	v_add_co_ci_u32_e64 v38, null, 0, v38, s1
	s_clause 0x7
	global_load_dword v135, v[23:24], off offset:32
	global_load_dword v136, v[25:26], off offset:32
	;; [unrolled: 1-line block ×8, first 2 shown]
	v_mad_i64_i32 v[23:24], null, 0x6e, v53, v[21:22]
	v_mad_i64_i32 v[27:28], null, 0x6e, v54, v[21:22]
	;; [unrolled: 1-line block ×3, first 2 shown]
	v_add_co_u32 v25, s1, v127, v42
	v_mad_i64_i32 v[31:32], null, 0x6e, v56, v[21:22]
	v_add_co_ci_u32_e64 v26, null, 0, v128, s1
	v_add_co_u32 v23, s1, v23, v42
	v_mad_i64_i32 v[33:34], null, 0x6e, v57, v[21:22]
	v_add_co_ci_u32_e64 v24, null, 0, v24, s1
	;; [unrolled: 3-line block ×4, first 2 shown]
	v_add_co_u32 v31, s1, v31, v42
	v_add_co_ci_u32_e64 v32, null, 0, v32, s1
	v_add_co_u32 v33, s1, v33, v42
	v_add_co_ci_u32_e64 v34, null, 0, v34, s1
	v_add_co_u32 v35, s1, v35, v42
	v_mad_u64_u32 v[37:38], null, 0x6e, v62, s[4:5]
	v_add_co_ci_u32_e64 v36, null, 0, v36, s1
	v_add_co_u32 v21, s1, v21, v42
	v_add_co_ci_u32_e64 v22, null, 0, v22, s1
	s_clause 0x7
	global_load_dword v143, v[25:26], off offset:32
	global_load_dword v144, v[23:24], off offset:32
	;; [unrolled: 1-line block ×8, first 2 shown]
	v_mad_u64_u32 v[31:32], null, 0x6e, v74, s[4:5]
	v_mad_i64_i32 v[127:128], null, 0x6e, v61, s[4:5]
	v_add_co_u32 v37, s1, v37, v63
	v_add_co_ci_u32_e64 v38, null, 0, v38, s1
	v_mad_i64_i32 v[129:130], null, 0x6e, v81, v[31:32]
	v_mad_i64_i32 v[133:134], null, 0x6e, v78, v[31:32]
	;; [unrolled: 1-line block ×3, first 2 shown]
	v_mad_u64_u32 v[21:22], null, 0x6e, v59, v[127:128]
	v_mad_i64_i32 v[31:32], null, 0x6e, v79, v[31:32]
	v_mad_i64_i32 v[23:24], null, 0x6e, v64, v[37:38]
	;; [unrolled: 1-line block ×9, first 2 shown]
	s_clause 0x9
	global_load_dword v151, v[129:130], off offset:104
	global_load_dword v152, v[131:132], off offset:104
	global_load_ushort v153, v[21:22], off offset:108
	global_load_dword v154, v[23:24], off
	global_load_dword v155, v[25:26], off
	global_load_dword v156, v[27:28], off
	global_load_dword v29, v[29:30], off
	global_load_dword v30, v[33:34], off
	global_load_dword v33, v[35:36], off
	global_load_dword v34, v[127:128], off
	v_add_co_u32 v21, s1, v133, v76
	v_add_co_ci_u32_e64 v22, null, 0, v134, s1
	v_add_co_u32 v23, s1, v31, v76
	v_add_co_ci_u32_e64 v24, null, 0, v32, s1
	v_add_co_u32 v25, s1, v131, v76
	v_add_co_ci_u32_e64 v26, null, 0, v132, s1
	v_add_co_u32 v27, s1, v129, v76
	v_add_co_ci_u32_e64 v28, null, 0, v130, s1
	s_clause 0x6
	global_load_dword v35, v[37:38], off
	global_load_dword v21, v[21:22], off offset:96
	global_load_dword v22, v[31:32], off offset:104
	;; [unrolled: 1-line block ×6, first 2 shown]
	s_lshl_b32 s4, s10, 8
	s_cmp_lt_i32 s4, s9
	s_waitcnt vmcnt(16)
	v_ashrrev_i32_e32 v31, v77, v151
	s_waitcnt vmcnt(15)
	v_ashrrev_i32_e32 v28, v77, v152
	s_waitcnt vmcnt(14)
	v_cvt_f32_f16_e32 v27, v153
	ds_write_b32 v2, v135
	ds_write_b32 v3, v136
	;; [unrolled: 1-line block ×17, first 2 shown]
	s_waitcnt vmcnt(13)
	v_not_b32_e32 v27, v154
	v_lshlrev_b32_e32 v31, 4, v31
	v_lshlrev_b32_e32 v28, 4, v28
	s_waitcnt vmcnt(12)
	v_not_b32_e32 v32, v155
	s_waitcnt vmcnt(11)
	v_not_b32_e32 v36, v156
	;; [unrolled: 2-line block ×5, first 2 shown]
	ds_write_b32 v92, v27
	ds_write_b32 v93, v32
	ds_write_b32 v94, v36
	ds_write_b32 v95, v29
	ds_write_b32 v100, v30
	s_waitcnt vmcnt(7)
	v_not_b32_e32 v34, v34
	ds_write_b32 v102, v33
	ds_write_b32 v104, v34
	s_waitcnt vmcnt(6)
	v_not_b32_e32 v35, v35
	s_waitcnt vmcnt(5)
	v_ashrrev_i32_e32 v21, v75, v21
	s_waitcnt vmcnt(4)
	v_ashrrev_i32_e32 v22, v77, v22
	;; [unrolled: 2-line block ×6, first 2 shown]
	v_and_b32_e32 v21, 0xf0f0f0f, v21
	v_lshlrev_b32_e32 v22, 4, v22
	v_and_b32_e32 v23, 0xf0f0f0f, v23
	v_lshlrev_b32_e32 v24, 4, v24
	v_and_b32_e32 v25, 0xf0f0f0f, v25
	v_and_b32_e32 v26, 0xf0f0f0f, v26
	v_and_or_b32 v22, 0x30303030, v22, v23
	v_and_or_b32 v21, 0x30303030, v24, v21
	;; [unrolled: 1-line block ×4, first 2 shown]
	v_lshrrev_b32_e32 v27, 16, v22
	v_lshrrev_b32_e32 v25, 16, v21
	v_and_b32_e32 v26, 0x3f00, v21
	v_lshlrev_b16 v21, 8, v21
	v_lshrrev_b32_e32 v29, 16, v23
	v_and_b32_e32 v28, 0x3f00, v22
	v_lshlrev_b16 v22, 8, v22
	;; [unrolled: 3-line block ×3, first 2 shown]
	v_add_nc_u16 v21, 0xe000, v21
	v_and_b32_e32 v36, 0x3f00, v27
	v_lshlrev_b16 v27, 8, v27
	v_and_b32_e32 v37, 0x3f00, v29
	v_lshlrev_b16 v29, 8, v29
	v_add_nc_u16 v22, 0xe000, v22
	v_and_b32_e32 v38, 0x3f00, v31
	v_lshlrev_b16 v31, 8, v31
	v_add_nc_u16 v25, 0xe000, v25
	v_or_b32_sdwa v21, v26, v21 dst_sel:DWORD dst_unused:UNUSED_PAD src0_sel:DWORD src1_sel:BYTE_1
	v_add_nc_u16 v26, 0xe000, v27
	v_and_b32_e32 v30, 0x3f00, v23
	v_lshlrev_b16 v23, 8, v23
	v_add_nc_u16 v27, 0xe000, v29
	v_and_b32_e32 v32, 0x3f00, v24
	v_lshlrev_b16 v24, 8, v24
	v_or_b32_sdwa v22, v28, v22 dst_sel:DWORD dst_unused:UNUSED_PAD src0_sel:DWORD src1_sel:BYTE_1
	v_add_nc_u16 v28, 0xe000, v31
	v_or_b32_sdwa v25, v33, v25 dst_sel:DWORD dst_unused:UNUSED_PAD src0_sel:DWORD src1_sel:BYTE_1
	v_or_b32_sdwa v26, v36, v26 dst_sel:DWORD dst_unused:UNUSED_PAD src0_sel:DWORD src1_sel:BYTE_1
	v_add_nc_u16 v23, 0xe000, v23
	v_or_b32_sdwa v27, v37, v27 dst_sel:DWORD dst_unused:UNUSED_PAD src0_sel:DWORD src1_sel:BYTE_1
	v_add_nc_u16 v24, 0xe000, v24
	v_or_b32_sdwa v28, v38, v28 dst_sel:DWORD dst_unused:UNUSED_PAD src0_sel:DWORD src1_sel:BYTE_1
	v_add_nc_u16 v25, 0xe000, v25
	v_add_nc_u16 v26, 0xe000, v26
	v_or_b32_sdwa v23, v30, v23 dst_sel:DWORD dst_unused:UNUSED_PAD src0_sel:DWORD src1_sel:BYTE_1
	v_add_nc_u16 v27, 0xe000, v27
	v_or_b32_sdwa v24, v32, v24 dst_sel:DWORD dst_unused:UNUSED_PAD src0_sel:DWORD src1_sel:BYTE_1
	v_add_nc_u16 v28, 0xe000, v28
	v_add_nc_u16 v21, 0xe000, v21
	v_lshlrev_b32_e32 v25, 16, v25
	v_add_nc_u16 v22, 0xe000, v22
	v_lshlrev_b32_e32 v26, 16, v26
	;; [unrolled: 2-line block ×4, first 2 shown]
	v_or_b32_sdwa v21, v21, v25 dst_sel:DWORD dst_unused:UNUSED_PAD src0_sel:WORD_0 src1_sel:DWORD
	v_or_b32_sdwa v22, v22, v26 dst_sel:DWORD dst_unused:UNUSED_PAD src0_sel:WORD_0 src1_sel:DWORD
	;; [unrolled: 1-line block ×4, first 2 shown]
	ds_write_b32 v106, v35
	ds_write_b32 v108, v21
	;; [unrolled: 1-line block ×5, first 2 shown]
	s_cbranch_scc0 .LBB230_4
; %bb.6:                                ;   in Loop: Header=BB230_5 Depth=1
	s_lshl_b32 s5, s10, 3
	v_add_nc_u32_e32 v21, s5, v70
	v_cmp_gt_i32_e64 s1, s8, v21
	s_and_b32 s19, s0, s1
	s_and_saveexec_b32 s1, s19
	s_cbranch_execz .LBB230_8
; %bb.7:                                ;   in Loop: Header=BB230_5 Depth=1
	v_add_nc_u32_e32 v21, v99, v21
	v_mad_i64_i32 v[21:22], null, v21, 36, v[19:20]
	global_load_dword v21, v[21:22], off offset:4
	s_waitcnt vmcnt(0)
	ds_write_b32 v83, v21
.LBB230_8:                              ;   in Loop: Header=BB230_5 Depth=1
	s_or_b32 exec_lo, exec_lo, s1
	v_add_nc_u32_e32 v130, s5, v0
	v_cmp_gt_i32_e64 s1, s8, v130
	s_and_b32 s19, s18, s1
	s_and_saveexec_b32 s1, s19
	s_cbranch_execz .LBB230_10
; %bb.9:                                ;   in Loop: Header=BB230_5 Depth=1
	v_add_nc_u32_e32 v21, v99, v130
	v_mad_i64_i32 v[21:22], null, v21, 36, s[2:3]
	global_load_dword v21, v[21:22], off
	s_waitcnt vmcnt(0)
	v_cvt_f32_f16_e32 v21, v21
	ds_write_b32 v85, v21
.LBB230_10:                             ;   in Loop: Header=BB230_5 Depth=1
	s_or_b32 exec_lo, exec_lo, s1
	v_mov_b32_e32 v21, v84
	v_mov_b32_e32 v22, v1
	s_mov_b32 s21, -2
	s_mov_b32 s1, 0
	s_mov_b32 s19, 0
	s_waitcnt lgkmcnt(0)
	s_barrier
	buffer_gl0_inv
.LBB230_11:                             ;   Parent Loop BB230_5 Depth=1
                                        ; =>  This Inner Loop Header: Depth=2
	s_add_i32 s20, s21, 2
	s_and_b32 s23, s19, -16
	s_and_b32 s24, s20, 0x3ffffff8
	s_lshr_b32 s22, s20, 4
	v_lshlrev_b32_e32 v127, 2, v51
	v_lshl_add_u32 v23, s24, 2, v101
	s_add_i32 s21, s21, s23
	s_lshl_b32 s23, s22, 5
	s_lshl_b32 s22, s22, 2
	s_addk_i32 s23, 0x4200
	ds_read2_b32 v[29:30], v23 offset0:4 offset1:5
	ds_read2_b32 v[31:32], v23 offset0:6 offset1:7
	v_add3_u32 v27, s23, v127, v114
	v_add3_u32 v26, s23, v115, v116
	s_addk_i32 s22, 0x7380
	v_add3_u32 v25, s23, v123, v124
	v_add_nc_u32_e32 v24, s21, v109
	v_add_nc_u32_e32 v28, 0x1090, v23
	;; [unrolled: 1-line block ×5, first 2 shown]
	v_add3_u32 v143, s22, v117, v118
	ds_read2_b32 v[33:34], v27 offset0:4 offset1:5
	ds_read2_b32 v[35:36], v27 offset0:6 offset1:7
	;; [unrolled: 1-line block ×4, first 2 shown]
	ds_read2_b32 v[131:132], v28 offset1:1
	ds_read2_b32 v[133:134], v26 offset0:6 offset1:7
	ds_read2_b32 v[135:136], v135 offset1:1
	ds_read2_b32 v[137:138], v137 offset1:1
	;; [unrolled: 1-line block ×3, first 2 shown]
	ds_read2_b32 v[141:142], v25 offset0:6 offset1:7
	ds_read_u16 v28, v24 offset:2
	ds_read_b32 v24, v143
	s_add_i32 s19, s19, 2
	s_waitcnt lgkmcnt(13)
	v_ashrrev_i32_e32 v143, s20, v29
	s_waitcnt lgkmcnt(11)
	v_ashrrev_i32_e32 v147, s1, v33
	v_ashrrev_i32_e32 v148, s1, v34
	;; [unrolled: 1-line block ×3, first 2 shown]
	s_waitcnt lgkmcnt(10)
	v_ashrrev_i32_e32 v149, s1, v35
	v_and_b32_e32 v154, 0x3030303, v143
	v_lshlrev_b32_e32 v147, 2, v147
	v_bfe_u32 v143, v143, 24, 2
	v_lshlrev_b32_e32 v148, 2, v148
	v_ashrrev_i32_e32 v145, s20, v31
	v_lshrrev_b16 v155, 8, v154
	v_and_b32_e32 v147, 0x4040404, v147
	v_lshlrev_b32_e32 v149, 2, v149
	v_and_b32_e32 v148, 0x4040404, v148
	v_add3_u32 v31, s23, v119, v120
	v_ashrrev_i32_e32 v36, s1, v36
	v_lshrrev_b16 v156, 8, v147
	v_and_b32_e32 v149, 0x4040404, v149
	v_lshrrev_b16 v158, 8, v148
	ds_read2_b32 v[29:30], v31 offset0:4 offset1:5
	v_ashrrev_i32_e32 v146, s20, v32
	v_sub_nc_u16 v155, v155, v156
	v_lshrrev_b32_e32 v156, 24, v147
	v_lshrrev_b16 v160, 8, v149
	v_lshlrev_b32_e32 v36, 2, v36
	s_waitcnt lgkmcnt(10)
	v_ashrrev_i32_e32 v37, s1, v37
	s_waitcnt lgkmcnt(8)
	v_ashrrev_i32_e32 v131, s20, v131
	v_sub_nc_u16 v143, v143, v156
	v_lshrrev_b32_e32 v156, 16, v154
	v_sub_nc_u16 v154, v154, v147
	v_lshrrev_b32_e32 v147, 16, v147
	v_and_b32_e32 v36, 0x4040404, v36
	v_lshlrev_b32_e32 v37, 2, v37
	v_ashrrev_i32_e32 v38, s1, v38
	v_add_nc_u32_e32 v32, 0x3190, v23
	v_sub_nc_u16 v147, v156, v147
	v_and_b32_e32 v156, 0x3030303, v144
	v_bfe_u32 v144, v144, 24, 2
	v_lshrrev_b16 v162, 8, v36
	s_waitcnt lgkmcnt(0)
	v_ashrrev_i32_e32 v150, s1, v29
	v_ashrrev_i32_e32 v151, s1, v30
	v_lshrrev_b16 v157, 8, v156
	ds_read2_b32 v[29:30], v31 offset0:6 offset1:7
	v_and_b32_e32 v37, 0x4040404, v37
	v_add_nc_u32_e32 v34, 0x3198, v23
	v_ashrrev_i32_e32 v132, s20, v132
	v_sub_nc_u16 v157, v157, v158
	v_lshrrev_b32_e32 v158, 24, v148
	v_lshrrev_b16 v164, 8, v37
	v_lshlrev_b32_e32 v38, 2, v38
	v_ashrrev_i32_e32 v128, s1, v128
	v_ashrrev_i32_e32 v129, s1, v129
	v_sub_nc_u16 v144, v144, v158
	v_lshrrev_b32_e32 v158, 16, v156
	v_sub_nc_u16 v156, v156, v148
	v_lshrrev_b32_e32 v148, 16, v148
	v_and_b32_e32 v38, 0x4040404, v38
	v_lshlrev_b32_e32 v128, 2, v128
	v_lshlrev_b32_e32 v129, 2, v129
	v_ashrrev_i32_e32 v133, s1, v133
	v_sub_nc_u16 v148, v158, v148
	v_and_b32_e32 v158, 0x3030303, v145
	v_bfe_u32 v145, v145, 24, 2
	s_waitcnt lgkmcnt(0)
	v_ashrrev_i32_e32 v152, s1, v29
	v_add_nc_u32_e32 v29, s21, v105
	v_ashrrev_i32_e32 v153, s1, v30
	v_lshrrev_b16 v159, 8, v158
	v_lshrrev_b16 v166, 8, v38
	v_and_b32_e32 v128, 0x4040404, v128
	ds_read_u16 v30, v29 offset:2
	v_add3_u32 v29, s22, v125, v126
	v_sub_nc_u16 v159, v159, v160
	v_lshrrev_b32_e32 v160, 24, v149
	v_lshrrev_b16 v168, 8, v128
	v_and_b32_e32 v129, 0x4040404, v129
	ds_read_b32 v29, v29
	ds_read2_b32 v[32:33], v32 offset1:1
	ds_read2_b32 v[34:35], v34 offset1:1
	v_sub_nc_u16 v145, v145, v160
	v_lshrrev_b32_e32 v160, 16, v158
	v_sub_nc_u16 v158, v158, v149
	v_lshrrev_b32_e32 v149, 16, v149
	v_lshrrev_b16 v170, 8, v129
	v_ashrrev_i32_e32 v135, s20, v135
	v_lshlrev_b32_e32 v133, 2, v133
	v_ashrrev_i32_e32 v134, s1, v134
	v_sub_nc_u16 v149, v160, v149
	v_and_b32_e32 v160, 0x3030303, v146
	v_bfe_u32 v146, v146, 24, 2
	v_and_b32_e32 v133, 0x4040404, v133
	v_ashrrev_i32_e32 v136, s20, v136
	v_lshlrev_b32_e32 v134, 2, v134
	v_lshrrev_b16 v161, 8, v160
	v_ashrrev_i32_e32 v137, s20, v137
	v_lshrrev_b16 v172, 8, v133
	v_lshlrev_b32_e32 v150, 2, v150
	s_waitcnt lgkmcnt(1)
	v_ashrrev_i32_e32 v32, s20, v32
	v_sub_nc_u16 v161, v161, v162
	v_lshrrev_b32_e32 v162, 24, v36
	v_ashrrev_i32_e32 v33, s20, v33
	v_and_b32_e32 v134, 0x4040404, v134
	v_and_b32_e32 v150, 0x4040404, v150
	v_ashrrev_i32_e32 v138, s20, v138
	v_sub_nc_u16 v146, v146, v162
	v_lshrrev_b32_e32 v162, 16, v160
	v_sub_nc_u16 v160, v160, v36
	v_lshrrev_b32_e32 v36, 16, v36
	v_lshrrev_b16 v174, 8, v134
	v_lshrrev_b16 v176, 8, v150
	v_lshlrev_b32_e32 v151, 2, v151
	v_ashrrev_i32_e32 v139, s20, v139
	v_sub_nc_u16 v36, v162, v36
	v_and_b32_e32 v162, 0x3030303, v131
	v_bfe_u32 v131, v131, 24, 2
	v_and_b32_e32 v151, 0x4040404, v151
	v_lshlrev_b32_e32 v152, 2, v152
	v_ashrrev_i32_e32 v140, s20, v140
	v_lshrrev_b16 v163, 8, v162
	v_lshlrev_b32_e32 v153, 2, v153
	v_lshrrev_b16 v178, 8, v151
	v_and_b32_e32 v152, 0x4040404, v152
	v_ashrrev_i32_e32 v141, s1, v141
	v_sub_nc_u16 v163, v163, v164
	v_lshrrev_b32_e32 v164, 24, v37
	v_and_b32_e32 v153, 0x4040404, v153
	v_lshrrev_b16 v180, 8, v152
	s_waitcnt lgkmcnt(0)
	v_ashrrev_i32_e32 v34, s20, v34
	v_lshlrev_b32_e32 v141, 2, v141
	v_sub_nc_u16 v131, v131, v164
	v_lshrrev_b32_e32 v164, 16, v162
	v_sub_nc_u16 v162, v162, v37
	v_lshrrev_b32_e32 v37, 16, v37
	v_lshrrev_b16 v182, 8, v153
	v_and_b32_e32 v141, 0x4040404, v141
	v_ashrrev_i32_e32 v142, s1, v142
	v_ashrrev_i32_e32 v35, s20, v35
	v_sub_nc_u16 v37, v164, v37
	v_and_b32_e32 v164, 0x3030303, v132
	v_bfe_u32 v132, v132, 24, 2
	v_lshrrev_b16 v184, 8, v141
	v_lshlrev_b32_e32 v142, 2, v142
	v_lshlrev_b16 v143, 8, v143
	v_lshrrev_b16 v165, 8, v164
	v_lshlrev_b16 v145, 8, v145
	v_lshlrev_b16 v146, 8, v146
	v_and_b32_e32 v142, 0x4040404, v142
	v_lshlrev_b16 v131, 8, v131
	v_sub_nc_u16 v165, v165, v166
	v_lshrrev_b32_e32 v166, 24, v38
	v_lshlrev_b16 v155, 8, v155
	v_lshrrev_b16 v186, 8, v142
	v_or_b32_sdwa v143, v147, v143 dst_sel:WORD_1 dst_unused:UNUSED_PAD src0_sel:BYTE_0 src1_sel:DWORD
	v_lshlrev_b16 v147, 8, v157
	v_sub_nc_u16 v132, v132, v166
	v_lshrrev_b32_e32 v166, 16, v164
	v_sub_nc_u16 v164, v164, v38
	v_lshrrev_b32_e32 v38, 16, v38
	v_lshlrev_b16 v144, 8, v144
	v_lshlrev_b16 v132, 8, v132
	v_or_b32_sdwa v145, v149, v145 dst_sel:WORD_1 dst_unused:UNUSED_PAD src0_sel:BYTE_0 src1_sel:DWORD
	v_lshlrev_b16 v149, 8, v161
	v_sub_nc_u16 v38, v166, v38
	v_and_b32_e32 v166, 0x3030303, v32
	v_bfe_u32 v32, v32, 24, 2
	v_or_b32_sdwa v36, v36, v146 dst_sel:WORD_1 dst_unused:UNUSED_PAD src0_sel:BYTE_0 src1_sel:DWORD
	v_lshlrev_b16 v146, 8, v163
	v_or_b32_sdwa v37, v37, v131 dst_sel:WORD_1 dst_unused:UNUSED_PAD src0_sel:BYTE_0 src1_sel:DWORD
	v_lshrrev_b16 v167, 8, v166
	v_lshlrev_b16 v131, 8, v165
	v_or_b32_sdwa v38, v38, v132 dst_sel:WORD_1 dst_unused:UNUSED_PAD src0_sel:BYTE_0 src1_sel:DWORD
	v_or_b32_sdwa v154, v154, v155 dst_sel:DWORD dst_unused:UNUSED_PAD src0_sel:BYTE_0 src1_sel:DWORD
	v_or_b32_sdwa v147, v156, v147 dst_sel:DWORD dst_unused:UNUSED_PAD src0_sel:BYTE_0 src1_sel:DWORD
	v_sub_nc_u16 v167, v167, v168
	v_lshrrev_b32_e32 v168, 24, v128
	v_or_b32_sdwa v144, v148, v144 dst_sel:WORD_1 dst_unused:UNUSED_PAD src0_sel:BYTE_0 src1_sel:DWORD
	v_or_b32_sdwa v149, v160, v149 dst_sel:DWORD dst_unused:UNUSED_PAD src0_sel:BYTE_0 src1_sel:DWORD
	v_or_b32_sdwa v146, v162, v146 dst_sel:DWORD dst_unused:UNUSED_PAD src0_sel:BYTE_0 src1_sel:DWORD
	v_lshlrev_b16 v132, 8, v167
	v_sub_nc_u16 v32, v32, v168
	v_lshrrev_b32_e32 v168, 16, v166
	v_sub_nc_u16 v166, v166, v128
	v_lshrrev_b32_e32 v128, 16, v128
	v_or_b32_sdwa v131, v164, v131 dst_sel:DWORD dst_unused:UNUSED_PAD src0_sel:BYTE_0 src1_sel:DWORD
	v_lshlrev_b16 v32, 8, v32
	v_or_b32_sdwa v144, v147, v144 dst_sel:DWORD dst_unused:UNUSED_PAD src0_sel:WORD_0 src1_sel:DWORD
	v_or_b32_sdwa v132, v166, v132 dst_sel:DWORD dst_unused:UNUSED_PAD src0_sel:BYTE_0 src1_sel:DWORD
	v_sub_nc_u16 v128, v168, v128
	v_and_b32_e32 v168, 0x3030303, v33
	v_bfe_u32 v33, v33, 24, 2
	v_or_b32_sdwa v147, v149, v36 dst_sel:DWORD dst_unused:UNUSED_PAD src0_sel:WORD_0 src1_sel:DWORD
	v_or_b32_sdwa v36, v146, v37 dst_sel:DWORD dst_unused:UNUSED_PAD src0_sel:WORD_0 src1_sel:DWORD
	v_or_b32_sdwa v32, v128, v32 dst_sel:WORD_1 dst_unused:UNUSED_PAD src0_sel:BYTE_0 src1_sel:DWORD
	v_lshrrev_b16 v169, 8, v168
	v_or_b32_sdwa v37, v131, v38 dst_sel:DWORD dst_unused:UNUSED_PAD src0_sel:WORD_0 src1_sel:DWORD
	v_lshlrev_b16 v148, 8, v159
	v_or_b32_sdwa v143, v154, v143 dst_sel:DWORD dst_unused:UNUSED_PAD src0_sel:WORD_0 src1_sel:DWORD
	v_or_b32_sdwa v38, v132, v32 dst_sel:DWORD dst_unused:UNUSED_PAD src0_sel:WORD_0 src1_sel:DWORD
	v_sub_nc_u16 v169, v169, v170
	v_lshrrev_b32_e32 v170, 24, v129
	v_or_b32_sdwa v148, v158, v148 dst_sel:DWORD dst_unused:UNUSED_PAD src0_sel:BYTE_0 src1_sel:DWORD
	v_lshlrev_b16 v128, 8, v169
	v_sub_nc_u16 v33, v33, v170
	v_lshrrev_b32_e32 v170, 16, v168
	v_sub_nc_u16 v168, v168, v129
	v_lshrrev_b32_e32 v129, 16, v129
	v_or_b32_sdwa v145, v148, v145 dst_sel:DWORD dst_unused:UNUSED_PAD src0_sel:WORD_0 src1_sel:DWORD
	v_lshlrev_b16 v33, 8, v33
	v_or_b32_sdwa v128, v168, v128 dst_sel:DWORD dst_unused:UNUSED_PAD src0_sel:BYTE_0 src1_sel:DWORD
	v_sub_nc_u16 v129, v170, v129
	v_and_b32_e32 v170, 0x3030303, v135
	v_bfe_u32 v135, v135, 24, 2
	v_or_b32_sdwa v33, v129, v33 dst_sel:WORD_1 dst_unused:UNUSED_PAD src0_sel:BYTE_0 src1_sel:DWORD
	v_lshrrev_b16 v171, 8, v170
	v_or_b32_sdwa v131, v128, v33 dst_sel:DWORD dst_unused:UNUSED_PAD src0_sel:WORD_0 src1_sel:DWORD
	v_sub_nc_u16 v171, v171, v172
	v_lshrrev_b32_e32 v172, 24, v133
	v_lshlrev_b32_e32 v128, 2, v41
	v_lshlrev_b16 v129, 8, v171
	v_sub_nc_u16 v135, v135, v172
	v_lshrrev_b32_e32 v172, 16, v170
	v_sub_nc_u16 v170, v170, v133
	v_lshrrev_b32_e32 v133, 16, v133
	v_lshlrev_b16 v135, 8, v135
	v_or_b32_sdwa v129, v170, v129 dst_sel:DWORD dst_unused:UNUSED_PAD src0_sel:BYTE_0 src1_sel:DWORD
	v_sub_nc_u16 v133, v172, v133
	v_and_b32_e32 v172, 0x3030303, v136
	v_bfe_u32 v136, v136, 24, 2
	v_or_b32_sdwa v133, v133, v135 dst_sel:WORD_1 dst_unused:UNUSED_PAD src0_sel:BYTE_0 src1_sel:DWORD
	v_lshrrev_b16 v173, 8, v172
	v_or_b32_sdwa v132, v129, v133 dst_sel:DWORD dst_unused:UNUSED_PAD src0_sel:WORD_0 src1_sel:DWORD
	v_sub_nc_u16 v173, v173, v174
	v_lshrrev_b32_e32 v174, 24, v134
	v_lshlrev_b16 v135, 8, v173
	v_sub_nc_u16 v136, v136, v174
	v_lshrrev_b32_e32 v174, 16, v172
	v_sub_nc_u16 v172, v172, v134
	v_lshrrev_b32_e32 v134, 16, v134
	v_lshlrev_b16 v136, 8, v136
	v_or_b32_sdwa v135, v172, v135 dst_sel:DWORD dst_unused:UNUSED_PAD src0_sel:BYTE_0 src1_sel:DWORD
	v_sub_nc_u16 v134, v174, v134
	v_and_b32_e32 v174, 0x3030303, v137
	v_bfe_u32 v137, v137, 24, 2
	v_or_b32_sdwa v134, v134, v136 dst_sel:WORD_1 dst_unused:UNUSED_PAD src0_sel:BYTE_0 src1_sel:DWORD
	v_lshrrev_b16 v175, 8, v174
	v_or_b32_sdwa v135, v135, v134 dst_sel:DWORD dst_unused:UNUSED_PAD src0_sel:WORD_0 src1_sel:DWORD
	v_sub_nc_u16 v175, v175, v176
	v_lshrrev_b32_e32 v176, 24, v150
	;; [unrolled: 15-line block ×5, first 2 shown]
	v_mov_b32_e32 v139, 0
	v_lshlrev_b16 v152, 8, v181
	v_sub_nc_u16 v140, v140, v182
	v_lshrrev_b32_e32 v182, 16, v180
	v_sub_nc_u16 v180, v180, v153
	v_lshrrev_b32_e32 v153, 16, v153
	v_lshlrev_b16 v140, 8, v140
	v_or_b32_sdwa v152, v180, v152 dst_sel:DWORD dst_unused:UNUSED_PAD src0_sel:BYTE_0 src1_sel:DWORD
	v_sub_nc_u16 v153, v182, v153
	v_and_b32_e32 v182, 0x3030303, v34
	v_bfe_u32 v34, v34, 24, 2
	v_or_b32_sdwa v140, v153, v140 dst_sel:WORD_1 dst_unused:UNUSED_PAD src0_sel:BYTE_0 src1_sel:DWORD
	v_lshrrev_b16 v183, 8, v182
	v_or_b32_sdwa v137, v152, v140 dst_sel:DWORD dst_unused:UNUSED_PAD src0_sel:WORD_0 src1_sel:DWORD
	v_sub_nc_u16 v183, v183, v184
	v_lshrrev_b32_e32 v184, 24, v141
	v_mov_b32_e32 v140, 0
	v_lshlrev_b16 v153, 8, v183
	v_sub_nc_u16 v34, v34, v184
	v_lshrrev_b32_e32 v184, 16, v182
	v_sub_nc_u16 v182, v182, v141
	v_lshrrev_b32_e32 v141, 16, v141
	v_lshlrev_b16 v34, 8, v34
	v_or_b32_sdwa v153, v182, v153 dst_sel:DWORD dst_unused:UNUSED_PAD src0_sel:BYTE_0 src1_sel:DWORD
	v_sub_nc_u16 v141, v184, v141
	v_and_b32_e32 v184, 0x3030303, v35
	v_bfe_u32 v35, v35, 24, 2
	v_or_b32_sdwa v141, v141, v34 dst_sel:WORD_1 dst_unused:UNUSED_PAD src0_sel:BYTE_0 src1_sel:DWORD
	v_lshrrev_b16 v185, 8, v184
	v_or_b32_sdwa v136, v153, v141 dst_sel:DWORD dst_unused:UNUSED_PAD src0_sel:WORD_0 src1_sel:DWORD
	v_sub_nc_u16 v185, v185, v186
	v_lshrrev_b32_e32 v186, 24, v142
	v_mov_b32_e32 v141, 0
	v_lshlrev_b16 v34, 8, v185
	v_sub_nc_u16 v35, v35, v186
	v_lshrrev_b32_e32 v186, 16, v184
	v_sub_nc_u16 v184, v184, v142
	v_lshrrev_b32_e32 v142, 16, v142
	v_or_b32_sdwa v155, v184, v34 dst_sel:DWORD dst_unused:UNUSED_PAD src0_sel:BYTE_0 src1_sel:DWORD
	v_sub_nc_u16 v142, v186, v142
	v_lshlrev_b16 v34, 8, v35
	v_or_b32_sdwa v142, v142, v34 dst_sel:WORD_1 dst_unused:UNUSED_PAD src0_sel:BYTE_0 src1_sel:DWORD
	ds_read_b128 v[32:35], v22 offset:16
	v_or_b32_sdwa v138, v155, v142 dst_sel:DWORD dst_unused:UNUSED_PAD src0_sel:WORD_0 src1_sel:DWORD
	v_mov_b32_e32 v142, 0
	s_waitcnt lgkmcnt(0)
	v_dot4c_i32_i8 v139, v143, v32
	v_dot4c_i32_i8 v140, v36, v32
	;; [unrolled: 1-line block ×4, first 2 shown]
	v_lshlrev_b32_e32 v129, 2, v73
	v_dot4c_i32_i8 v139, v144, v33
	v_dot4c_i32_i8 v140, v37, v33
	;; [unrolled: 1-line block ×4, first 2 shown]
	v_add_nc_u32_e32 v143, 0x1080, v23
	v_dot4c_i32_i8 v139, v145, v34
	v_dot4c_i32_i8 v140, v132, v34
	v_dot4c_i32_i8 v141, v136, v34
	v_dot4c_i32_i8 v142, v134, v34
	v_add3_u32 v38, s22, v128, v129
	ds_read2_b32 v[36:37], v23 offset1:1
	ds_read2_b32 v[32:33], v23 offset0:2 offset1:3
	ds_read2_b32 v[131:132], v27 offset1:1
	v_dot4c_i32_i8 v139, v147, v35
	ds_read2_b32 v[133:134], v27 offset0:2 offset1:3
	v_dot4c_i32_i8 v140, v135, v35
	v_dot4c_i32_i8 v141, v138, v35
	ds_read2_b32 v[135:136], v26 offset0:2 offset1:3
	v_dot4c_i32_i8 v142, v137, v35
	ds_read2_b32 v[34:35], v25 offset0:2 offset1:3
	ds_read2_b32 v[137:138], v143 offset1:1
	ds_read2_b32 v[26:27], v26 offset1:1
	ds_read_b32 v38, v38
	s_waitcnt lgkmcnt(8)
	v_ashrrev_i32_e32 v36, s20, v36
	s_waitcnt lgkmcnt(7)
	v_ashrrev_i32_e32 v143, s20, v32
	v_ashrrev_i32_e32 v144, s20, v33
	s_waitcnt lgkmcnt(6)
	v_ashrrev_i32_e32 v131, s1, v131
	v_ashrrev_i32_e32 v132, s1, v132
	;; [unrolled: 1-line block ×3, first 2 shown]
	s_waitcnt lgkmcnt(3)
	v_ashrrev_i32_e32 v145, s1, v34
	v_ashrrev_i32_e32 v146, s1, v35
	s_waitcnt lgkmcnt(1)
	v_ashrrev_i32_e32 v147, s1, v26
	v_add_nc_u32_e32 v26, 0x1088, v23
	v_ashrrev_i32_e32 v148, s1, v27
	v_lshlrev_b32_e32 v132, 2, v132
	v_ashrrev_i32_e32 v133, s1, v133
	v_ashrrev_i32_e32 v134, s1, v134
	ds_read2_b32 v[26:27], v26 offset1:1
	v_ashrrev_i32_e32 v135, s1, v135
	v_and_b32_e32 v132, 0x4040404, v132
	v_lshlrev_b32_e32 v133, 2, v133
	v_lshlrev_b32_e32 v134, 2, v134
	v_ashrrev_i32_e32 v136, s1, v136
	v_lshlrev_b32_e32 v135, 2, v135
	v_lshrrev_b16 v161, 8, v132
	v_and_b32_e32 v133, 0x4040404, v133
	v_and_b32_e32 v134, 0x4040404, v134
	v_lshlrev_b32_e32 v136, 2, v136
	v_and_b32_e32 v135, 0x4040404, v135
	v_lshlrev_b32_e32 v145, 2, v145
	v_lshrrev_b16 v163, 8, v133
	v_lshrrev_b16 v165, 8, v134
	v_and_b32_e32 v136, 0x4040404, v136
	v_lshrrev_b16 v167, 8, v135
	v_and_b32_e32 v145, 0x4040404, v145
	v_lshlrev_b32_e32 v146, 2, v146
	v_ashrrev_i32_e32 v137, s20, v137
	s_waitcnt lgkmcnt(0)
	v_ashrrev_i32_e32 v149, s20, v26
	v_add_nc_u32_e32 v26, 0x2100, v23
	v_ashrrev_i32_e32 v150, s20, v27
	ds_read2_b32 v[26:27], v26 offset1:1
	ds_read2_b32 v[32:33], v31 offset1:1
	ds_read2_b32 v[34:35], v31 offset0:2 offset1:3
	v_add3_u32 v31, s22, v121, v122
	v_lshrrev_b16 v169, 8, v136
	v_lshrrev_b16 v171, 8, v145
	v_and_b32_e32 v146, 0x4040404, v146
	v_lshlrev_b32_e32 v147, 2, v147
	v_ashrrev_i32_e32 v138, s20, v138
	v_lshlrev_b32_e32 v148, 2, v148
	v_lshrrev_b16 v173, 8, v146
	v_and_b32_e32 v147, 0x4040404, v147
	v_and_b32_e32 v148, 0x4040404, v148
	v_lshrrev_b16 v175, 8, v147
	v_lshrrev_b16 v177, 8, v148
	s_waitcnt lgkmcnt(2)
	v_ashrrev_i32_e32 v151, s20, v26
	v_add_nc_u32_e32 v26, 0x2108, v23
	v_ashrrev_i32_e32 v152, s20, v27
	s_waitcnt lgkmcnt(1)
	v_ashrrev_i32_e32 v153, s1, v32
	v_ashrrev_i32_e32 v33, s1, v33
	s_waitcnt lgkmcnt(0)
	v_ashrrev_i32_e32 v34, s1, v34
	ds_read2_b32 v[26:27], v26 offset1:1
	v_ashrrev_i32_e32 v35, s1, v35
	v_lshlrev_b32_e32 v153, 2, v153
	v_lshlrev_b32_e32 v33, 2, v33
	;; [unrolled: 1-line block ×4, first 2 shown]
	v_and_b32_e32 v153, 0x4040404, v153
	v_and_b32_e32 v33, 0x4040404, v33
	v_and_b32_e32 v34, 0x4040404, v34
	v_and_b32_e32 v35, 0x4040404, v35
	v_lshrrev_b16 v179, 8, v153
	v_lshrrev_b16 v181, 8, v33
	;; [unrolled: 1-line block ×4, first 2 shown]
	s_waitcnt lgkmcnt(0)
	v_ashrrev_i32_e32 v154, s20, v26
	ds_read2_b32 v[25:26], v25 offset1:1
	ds_read_b32 v155, v31
	v_add_nc_u32_e32 v31, 0x3180, v23
	v_add_nc_u32_e32 v23, 0x3188, v23
	v_ashrrev_i32_e32 v27, s20, v27
	ds_read2_b32 v[31:32], v31 offset1:1
	s_waitcnt lgkmcnt(2)
	v_ashrrev_i32_e32 v156, s1, v25
	v_ashrrev_i32_e32 v157, s1, v26
	ds_read2_b32 v[25:26], v23 offset1:1
	s_add_i32 s1, s1, 1
	s_cmp_lt_u32 s20, 6
	v_lshlrev_b32_e32 v156, 2, v156
	v_lshlrev_b32_e32 v157, 2, v157
	s_waitcnt lgkmcnt(1)
	v_ashrrev_i32_e32 v31, s20, v31
	v_ashrrev_i32_e32 v32, s20, v32
	v_and_b32_e32 v156, 0x4040404, v156
	v_and_b32_e32 v157, 0x4040404, v157
	v_lshrrev_b16 v187, 8, v156
	v_lshrrev_b16 v189, 8, v157
	s_waitcnt lgkmcnt(0)
	v_ashrrev_i32_e32 v23, s20, v25
	v_ashrrev_i32_e32 v25, s20, v26
	v_lshlrev_b32_e32 v26, 2, v131
	v_and_b32_e32 v131, 0x3030303, v36
	v_bfe_u32 v36, v36, 24, 2
	v_and_b32_e32 v26, 0x4040404, v26
	v_lshrrev_b16 v158, 8, v131
	v_lshrrev_b16 v159, 8, v26
	v_sub_nc_u16 v158, v158, v159
	v_lshrrev_b32_e32 v159, 24, v26
	v_lshlrev_b16 v158, 8, v158
	v_sub_nc_u16 v36, v36, v159
	v_lshrrev_b32_e32 v159, 16, v131
	v_sub_nc_u16 v131, v131, v26
	v_lshrrev_b32_e32 v26, 16, v26
	v_lshlrev_b16 v36, 8, v36
	v_or_b32_sdwa v131, v131, v158 dst_sel:DWORD dst_unused:UNUSED_PAD src0_sel:BYTE_0 src1_sel:DWORD
	v_sub_nc_u16 v26, v159, v26
	v_and_b32_e32 v159, 0x3030303, v37
	v_bfe_u32 v37, v37, 24, 2
	v_or_b32_sdwa v26, v26, v36 dst_sel:WORD_1 dst_unused:UNUSED_PAD src0_sel:BYTE_0 src1_sel:DWORD
	v_lshrrev_b16 v160, 8, v159
	v_or_b32_sdwa v26, v131, v26 dst_sel:DWORD dst_unused:UNUSED_PAD src0_sel:WORD_0 src1_sel:DWORD
	v_sub_nc_u16 v160, v160, v161
	v_lshrrev_b32_e32 v161, 24, v132
	v_lshlrev_b16 v36, 8, v160
	v_sub_nc_u16 v37, v37, v161
	v_lshrrev_b32_e32 v161, 16, v159
	v_sub_nc_u16 v159, v159, v132
	v_lshrrev_b32_e32 v132, 16, v132
	v_lshlrev_b16 v37, 8, v37
	v_or_b32_sdwa v36, v159, v36 dst_sel:DWORD dst_unused:UNUSED_PAD src0_sel:BYTE_0 src1_sel:DWORD
	v_sub_nc_u16 v132, v161, v132
	v_and_b32_e32 v161, 0x3030303, v143
	v_bfe_u32 v143, v143, 24, 2
	v_or_b32_sdwa v37, v132, v37 dst_sel:WORD_1 dst_unused:UNUSED_PAD src0_sel:BYTE_0 src1_sel:DWORD
	v_lshrrev_b16 v162, 8, v161
	v_or_b32_sdwa v36, v36, v37 dst_sel:DWORD dst_unused:UNUSED_PAD src0_sel:WORD_0 src1_sel:DWORD
	;; [unrolled: 15-line block ×4, first 2 shown]
	v_sub_nc_u16 v166, v166, v167
	v_lshrrev_b32_e32 v167, 24, v135
	v_mov_b32_e32 v143, 0
	v_lshlrev_b16 v144, 8, v166
	v_sub_nc_u16 v149, v149, v167
	v_lshrrev_b32_e32 v167, 16, v165
	v_sub_nc_u16 v165, v165, v135
	v_lshrrev_b32_e32 v135, 16, v135
	v_lshlrev_b16 v149, 8, v149
	v_or_b32_sdwa v144, v165, v144 dst_sel:DWORD dst_unused:UNUSED_PAD src0_sel:BYTE_0 src1_sel:DWORD
	v_sub_nc_u16 v135, v167, v135
	v_and_b32_e32 v167, 0x3030303, v150
	v_bfe_u32 v150, v150, 24, 2
	v_or_b32_sdwa v135, v135, v149 dst_sel:WORD_1 dst_unused:UNUSED_PAD src0_sel:BYTE_0 src1_sel:DWORD
	v_lshrrev_b16 v168, 8, v167
	v_or_b32_sdwa v132, v144, v135 dst_sel:DWORD dst_unused:UNUSED_PAD src0_sel:WORD_0 src1_sel:DWORD
	v_sub_nc_u16 v168, v168, v169
	v_lshrrev_b32_e32 v169, 24, v136
	v_lshlrev_b16 v149, 8, v168
	v_sub_nc_u16 v150, v150, v169
	v_lshrrev_b32_e32 v169, 16, v167
	v_sub_nc_u16 v167, v167, v136
	v_lshrrev_b32_e32 v136, 16, v136
	v_lshlrev_b16 v150, 8, v150
	v_or_b32_sdwa v149, v167, v149 dst_sel:DWORD dst_unused:UNUSED_PAD src0_sel:BYTE_0 src1_sel:DWORD
	v_sub_nc_u16 v136, v169, v136
	v_and_b32_e32 v169, 0x3030303, v23
	v_bfe_u32 v23, v23, 24, 2
	v_or_b32_sdwa v136, v136, v150 dst_sel:WORD_1 dst_unused:UNUSED_PAD src0_sel:BYTE_0 src1_sel:DWORD
	v_lshrrev_b16 v170, 8, v169
	v_or_b32_sdwa v133, v149, v136 dst_sel:DWORD dst_unused:UNUSED_PAD src0_sel:WORD_0 src1_sel:DWORD
	v_sub_nc_u16 v170, v170, v171
	v_lshrrev_b32_e32 v171, 24, v145
	;; [unrolled: 15-line block ×11, first 2 shown]
	v_lshlrev_b16 v156, 8, v188
	v_sub_nc_u16 v32, v32, v189
	v_lshrrev_b32_e32 v189, 16, v187
	v_sub_nc_u16 v187, v187, v157
	v_lshrrev_b32_e32 v157, 16, v157
	v_lshlrev_b16 v32, 8, v32
	v_or_b32_sdwa v156, v187, v156 dst_sel:DWORD dst_unused:UNUSED_PAD src0_sel:BYTE_0 src1_sel:DWORD
	v_sub_nc_u16 v157, v189, v157
	v_or_b32_sdwa v32, v157, v32 dst_sel:WORD_1 dst_unused:UNUSED_PAD src0_sel:BYTE_0 src1_sel:DWORD
	v_or_b32_sdwa v144, v156, v32 dst_sel:DWORD dst_unused:UNUSED_PAD src0_sel:WORD_0 src1_sel:DWORD
	ds_read_b128 v[31:34], v22
	v_add_nc_u32_e32 v22, 32, v22
	s_waitcnt lgkmcnt(0)
	v_dot4c_i32_i8 v143, v26, v31
	v_mov_b32_e32 v26, 0
	v_dot4c_i32_i8 v143, v36, v32
	v_dot4c_i32_i8 v26, v134, v31
	v_mov_b32_e32 v134, 0
	v_dot4c_i32_i8 v143, v37, v33
	v_dot4c_i32_i8 v26, v135, v32
	;; [unrolled: 1-line block ×3, first 2 shown]
	v_mov_b32_e32 v136, 0
	v_lshrrev_b16 v37, 8, v28
	v_dot4c_i32_i8 v143, v131, v34
	v_dot4c_i32_i8 v26, v132, v33
	;; [unrolled: 1-line block ×4, first 2 shown]
	v_add_nc_u32_e32 v31, s21, v111
	ds_read_b32 v35, v21
	v_bfe_i32 v28, v28, 0, 8
	v_dot4c_i32_i8 v134, v138, v33
	v_dot4c_i32_i8 v136, v144, v32
	v_add_nc_u32_e32 v32, s21, v107
	ds_read_u16 v31, v31 offset:2
	ds_read_u16 v32, v32 offset:2
	v_dot4c_i32_i8 v136, v23, v33
	v_lshrrev_b16 v23, 8, v30
	v_bfe_i32 v30, v30, 0, 8
	v_dot4c_i32_i8 v26, v133, v34
	v_dot4c_i32_i8 v134, v27, v34
	;; [unrolled: 1-line block ×3, first 2 shown]
	v_add_nc_u32_e32 v21, 4, v21
	s_mov_b32 s21, s20
	v_mul_lo_u32 v25, v26, v28
	v_mul_lo_u32 v27, v136, v30
	s_waitcnt lgkmcnt(1)
	v_lshrrev_b16 v36, 8, v31
	v_bfe_i32 v31, v31, 0, 8
	s_waitcnt lgkmcnt(0)
	v_lshrrev_b16 v132, 8, v32
	v_bfe_i32 v32, v32, 0, 8
	v_bfe_i32 v33, v36, 0, 8
	;; [unrolled: 1-line block ×5, first 2 shown]
	v_mul_lo_u32 v23, v143, v31
	v_mul_lo_u32 v26, v134, v32
	v_mad_u64_u32 v[30:31], null, v139, v33, v[23:24]
	v_mad_u64_u32 v[31:32], null, v140, v36, v[25:26]
	;; [unrolled: 1-line block ×4, first 2 shown]
	v_mul_f32_e32 v23, v35, v38
	v_mul_f32_e32 v24, v35, v24
	;; [unrolled: 1-line block ×4, first 2 shown]
	v_cvt_f32_i32_e32 v29, v30
	v_cvt_f32_i32_e32 v30, v31
	v_cvt_f32_i32_e32 v25, v25
	v_cvt_f32_i32_e32 v26, v26
	v_fmac_f32_e32 v40, v23, v29
	v_fmac_f32_e32 v86, v24, v30
	;; [unrolled: 1-line block ×4, first 2 shown]
	s_cbranch_scc1 .LBB230_11
; %bb.12:                               ;   in Loop: Header=BB230_5 Depth=1
	s_or_b32 s1, s4, 0x80
	s_cmp_ge_i32 s1, s9
	s_barrier
	buffer_gl0_inv
	s_cbranch_scc1 .LBB230_4
; %bb.13:                               ;   in Loop: Header=BB230_5 Depth=1
	v_add_nc_u32_e32 v21, s5, v96
	v_cmp_gt_i32_e64 s1, s8, v21
	s_and_b32 s19, s0, s1
	s_and_saveexec_b32 s1, s19
	s_cbranch_execz .LBB230_15
; %bb.14:                               ;   in Loop: Header=BB230_5 Depth=1
	v_add_nc_u32_e32 v21, v99, v21
	v_mad_i64_i32 v[21:22], null, v21, 36, v[19:20]
	global_load_dword v21, v[21:22], off offset:4
	s_waitcnt vmcnt(0)
	ds_write_b32 v83, v21
.LBB230_15:                             ;   in Loop: Header=BB230_5 Depth=1
	s_or_b32 exec_lo, exec_lo, s1
	s_and_saveexec_b32 s19, vcc_lo
	s_cbranch_execz .LBB230_18
; %bb.16:                               ;   in Loop: Header=BB230_5 Depth=1
	v_or_b32_e32 v21, 4, v130
	v_cmp_gt_i32_e64 s1, s8, v21
	s_and_b32 s1, s0, s1
	s_and_b32 exec_lo, exec_lo, s1
	s_cbranch_execz .LBB230_18
; %bb.17:                               ;   in Loop: Header=BB230_5 Depth=1
	v_ashrrev_i32_e32 v21, 31, v130
	v_add_co_u32 v22, s1, v99, v130
	v_add_co_ci_u32_e64 v23, null, v103, v21, s1
	v_mad_u64_u32 v[21:22], null, v22, 36, s[2:3]
	v_mad_i32_i24 v22, v23, 36, v22
	global_load_dword v21, v[21:22], off offset:144
	s_waitcnt vmcnt(0)
	v_cvt_f32_f16_e32 v21, v21
	ds_write_b32 v85, v21
.LBB230_18:                             ;   in Loop: Header=BB230_5 Depth=1
	s_or_b32 exec_lo, exec_lo, s19
	v_mov_b32_e32 v131, v1
	v_mov_b32_e32 v132, v84
	s_mov_b32 s1, 8
	s_mov_b32 s21, 6
	;; [unrolled: 1-line block ×3, first 2 shown]
	s_waitcnt lgkmcnt(0)
	s_barrier
	buffer_gl0_inv
.LBB230_19:                             ;   Parent Loop BB230_5 Depth=1
                                        ; =>  This Inner Loop Header: Depth=2
	s_add_i32 s20, s21, 2
	s_add_i32 s22, s21, -6
	s_lshr_b32 s23, s20, 4
	s_and_b32 s24, s20, 0x3ffffff8
	s_lshl_b32 s25, s23, 5
	v_lshl_add_u32 v133, s24, 2, v101
	s_add_i32 s24, s25, 0x4200
	s_lshl_b32 s23, s23, 2
	v_add3_u32 v25, s24, v127, v114
	v_add3_u32 v26, s24, v115, v116
	v_add3_u32 v134, s24, v119, v120
	v_add_nc_u32_e32 v38, 0x1080, v133
	ds_read2_b32 v[35:36], v133 offset1:1
	ds_read2_b32 v[33:34], v133 offset0:2 offset1:3
	ds_read2_b32 v[21:22], v133 offset0:4 offset1:5
	;; [unrolled: 1-line block ×3, first 2 shown]
	ds_read2_b32 v[135:136], v25 offset1:1
	ds_read2_b32 v[137:138], v25 offset0:2 offset1:3
	ds_read2_b32 v[139:140], v26 offset1:1
	ds_read2_b32 v[141:142], v26 offset0:2 offset1:3
	ds_read2_b32 v[148:149], v134 offset0:2 offset1:3
	;; [unrolled: 1-line block ×5, first 2 shown]
	ds_read2_b32 v[150:151], v38 offset1:1
	ds_read2_b32 v[25:26], v26 offset0:6 offset1:7
	v_add_nc_u32_e32 v37, 0x2100, v133
	s_addk_i32 s23, 0x7380
	v_add_nc_u32_e32 v154, 0x2118, v133
	s_waitcnt lgkmcnt(13)
	v_ashrrev_i32_e32 v158, s22, v35
	v_ashrrev_i32_e32 v159, s22, v36
	s_waitcnt lgkmcnt(12)
	v_ashrrev_i32_e32 v160, s22, v33
	v_ashrrev_i32_e32 v161, s22, v34
	s_waitcnt lgkmcnt(9)
	v_ashrrev_i32_e32 v162, s19, v135
	v_and_b32_e32 v174, 0x3030303, v158
	v_ashrrev_i32_e32 v163, s19, v136
	v_bfe_u32 v158, v158, 24, 2
	ds_read2_b32 v[33:34], v134 offset0:4 offset1:5
	ds_read2_b32 v[152:153], v37 offset1:1
	ds_read2_b32 v[35:36], v134 offset1:1
	v_lshlrev_b32_e32 v162, 2, v162
	v_lshrrev_b16 v175, 8, v174
	v_lshlrev_b32_e32 v163, 2, v163
	s_waitcnt lgkmcnt(11)
	v_ashrrev_i32_e32 v164, s19, v137
	v_add3_u32 v37, s24, v123, v124
	v_and_b32_e32 v162, 0x4040404, v162
	v_ashrrev_i32_e32 v165, s19, v138
	v_and_b32_e32 v163, 0x4040404, v163
	v_lshlrev_b32_e32 v164, 2, v164
	s_waitcnt lgkmcnt(10)
	v_ashrrev_i32_e32 v146, s19, v140
	v_lshrrev_b16 v176, 8, v162
	s_waitcnt lgkmcnt(9)
	v_ashrrev_i32_e32 v145, s19, v141
	v_lshrrev_b16 v178, 8, v163
	v_and_b32_e32 v164, 0x4040404, v164
	v_ashrrev_i32_e32 v144, s19, v142
	v_sub_nc_u16 v175, v175, v176
	v_lshrrev_b32_e32 v176, 24, v162
	s_waitcnt lgkmcnt(8)
	v_ashrrev_i32_e32 v141, s19, v148
	v_lshrrev_b16 v180, 8, v164
	s_waitcnt lgkmcnt(0)
	v_ashrrev_i32_e32 v143, s19, v35
	v_add_nc_u32_e32 v35, 0x3180, v133
	v_sub_nc_u16 v158, v158, v176
	v_lshrrev_b32_e32 v176, 16, v174
	v_sub_nc_u16 v174, v174, v162
	v_lshrrev_b32_e32 v162, 16, v162
	v_ashrrev_i32_e32 v142, s19, v36
	v_ashrrev_i32_e32 v140, s19, v149
	ds_read2_b32 v[148:149], v35 offset1:1
	ds_read2_b32 v[35:36], v37 offset1:1
	v_lshlrev_b32_e32 v165, 2, v165
	v_sub_nc_u16 v162, v176, v162
	v_and_b32_e32 v176, 0x3030303, v159
	v_bfe_u32 v159, v159, 24, 2
	v_ashrrev_i32_e32 v147, s19, v139
	v_and_b32_e32 v165, 0x4040404, v165
	v_ashrrev_i32_e32 v166, s22, v150
	v_lshrrev_b16 v177, 8, v176
	v_add_nc_u32_e32 v150, 0x1088, v133
	v_lshlrev_b32_e32 v147, 2, v147
	v_lshrrev_b16 v182, 8, v165
	v_ashrrev_i32_e32 v167, s22, v151
	v_sub_nc_u16 v177, v177, v178
	v_lshrrev_b32_e32 v178, 24, v163
	v_and_b32_e32 v147, 0x4040404, v147
	v_lshlrev_b32_e32 v146, 2, v146
	v_lshlrev_b32_e32 v145, 2, v145
	;; [unrolled: 1-line block ×3, first 2 shown]
	v_sub_nc_u16 v159, v159, v178
	v_lshrrev_b32_e32 v178, 16, v176
	v_sub_nc_u16 v176, v176, v163
	v_lshrrev_b32_e32 v163, 16, v163
	s_waitcnt lgkmcnt(0)
	v_ashrrev_i32_e32 v139, s19, v35
	v_ashrrev_i32_e32 v137, s19, v36
	ds_read2_b32 v[135:136], v37 offset0:2 offset1:3
	ds_read2_b32 v[35:36], v37 offset0:4 offset1:5
	;; [unrolled: 1-line block ×3, first 2 shown]
	v_lshrrev_b16 v184, 8, v147
	v_sub_nc_u16 v163, v178, v163
	v_and_b32_e32 v178, 0x3030303, v160
	v_bfe_u32 v160, v160, 24, 2
	ds_read2_b32 v[150:151], v150 offset1:1
	v_and_b32_e32 v146, 0x4040404, v146
	v_and_b32_e32 v145, 0x4040404, v145
	v_lshrrev_b16 v179, 8, v178
	v_and_b32_e32 v144, 0x4040404, v144
	v_ashrrev_i32_e32 v170, s22, v152
	v_lshrrev_b16 v186, 8, v146
	v_lshrrev_b16 v188, 8, v145
	v_sub_nc_u16 v179, v179, v180
	v_lshrrev_b32_e32 v180, 24, v164
	v_lshrrev_b16 v190, 8, v144
	v_lshlrev_b32_e32 v143, 2, v143
	v_add_nc_u32_e32 v152, 0x2110, v133
	s_waitcnt lgkmcnt(3)
	v_ashrrev_i32_e32 v138, s19, v135
	v_sub_nc_u16 v160, v160, v180
	v_lshrrev_b32_e32 v180, 16, v178
	v_sub_nc_u16 v178, v178, v164
	v_lshrrev_b32_e32 v164, 16, v164
	v_add3_u32 v135, s23, v128, v129
	v_and_b32_e32 v143, 0x4040404, v143
	s_waitcnt lgkmcnt(0)
	v_ashrrev_i32_e32 v168, s22, v150
	v_ashrrev_i32_e32 v169, s22, v151
	v_sub_nc_u16 v164, v180, v164
	v_and_b32_e32 v180, 0x3030303, v161
	v_bfe_u32 v161, v161, 24, 2
	ds_read_b32 v135, v135
	v_lshrrev_b16 v192, 8, v143
	v_add_nc_u32_e32 v150, 0x2108, v133
	v_lshrrev_b16 v181, 8, v180
	v_ashrrev_i32_e32 v171, s22, v153
	v_lshlrev_b32_e32 v142, 2, v142
	ds_read2_b32 v[150:151], v150 offset1:1
	ds_read2_b32 v[152:153], v152 offset1:1
	;; [unrolled: 1-line block ×3, first 2 shown]
	ds_read2_b32 v[156:157], v134 offset0:6 offset1:7
	v_sub_nc_u16 v181, v181, v182
	v_lshrrev_b32_e32 v182, 24, v165
	v_and_b32_e32 v142, 0x4040404, v142
	v_lshlrev_b32_e32 v141, 2, v141
	v_lshlrev_b32_e32 v140, 2, v140
	v_ashrrev_i32_e32 v172, s22, v148
	v_sub_nc_u16 v161, v161, v182
	v_lshrrev_b32_e32 v182, 16, v180
	v_sub_nc_u16 v180, v180, v165
	v_lshrrev_b32_e32 v165, 16, v165
	v_lshrrev_b16 v194, 8, v142
	v_and_b32_e32 v141, 0x4040404, v141
	v_and_b32_e32 v140, 0x4040404, v140
	v_lshlrev_b32_e32 v139, 2, v139
	v_sub_nc_u16 v165, v182, v165
	v_and_b32_e32 v182, 0x3030303, v166
	v_bfe_u32 v166, v166, 24, 2
	s_waitcnt lgkmcnt(3)
	v_ashrrev_i32_e32 v150, s22, v150
	v_lshrrev_b16 v196, 8, v141
	v_ashrrev_i32_e32 v151, s22, v151
	v_lshrrev_b16 v183, 8, v182
	v_lshrrev_b16 v198, 8, v140
	v_and_b32_e32 v139, 0x4040404, v139
	v_add3_u32 v134, s23, v121, v122
	v_add_nc_u32_e32 v148, 0x3188, v133
	v_sub_nc_u16 v183, v183, v184
	v_lshrrev_b32_e32 v184, 24, v147
	v_lshrrev_b16 v200, 8, v139
	ds_read_b32 v134, v134
	v_ashrrev_i32_e32 v173, s22, v149
	ds_read2_b32 v[148:149], v148 offset1:1
	v_sub_nc_u16 v166, v166, v184
	v_lshrrev_b32_e32 v184, 16, v182
	v_sub_nc_u16 v182, v182, v147
	v_lshrrev_b32_e32 v147, 16, v147
	v_lshlrev_b32_e32 v137, 2, v137
	v_lshlrev_b32_e32 v138, 2, v138
	v_ashrrev_i32_e32 v136, s19, v136
	v_lshlrev_b16 v158, 8, v158
	v_sub_nc_u16 v147, v184, v147
	v_and_b32_e32 v184, 0x3030303, v167
	v_bfe_u32 v167, v167, 24, 2
	v_and_b32_e32 v137, 0x4040404, v137
	v_and_b32_e32 v138, 0x4040404, v138
	v_lshlrev_b32_e32 v136, 2, v136
	v_lshrrev_b16 v185, 8, v184
	v_lshlrev_b16 v159, 8, v159
	v_lshrrev_b16 v202, 8, v137
	v_lshrrev_b16 v204, 8, v138
	v_and_b32_e32 v136, 0x4040404, v136
	v_sub_nc_u16 v185, v185, v186
	v_lshrrev_b32_e32 v186, 24, v146
	s_waitcnt lgkmcnt(0)
	v_ashrrev_i32_e32 v148, s22, v148
	v_ashrrev_i32_e32 v149, s22, v149
	v_lshrrev_b16 v206, 8, v136
	v_lshlrev_b16 v160, 8, v160
	v_sub_nc_u16 v167, v167, v186
	v_lshrrev_b32_e32 v186, 16, v184
	v_sub_nc_u16 v184, v184, v146
	v_lshrrev_b32_e32 v146, 16, v146
	v_lshlrev_b16 v161, 8, v161
	v_lshlrev_b16 v175, 8, v175
	v_or_b32_sdwa v158, v162, v158 dst_sel:WORD_1 dst_unused:UNUSED_PAD src0_sel:BYTE_0 src1_sel:DWORD
	v_lshlrev_b16 v162, 8, v177
	v_sub_nc_u16 v146, v186, v146
	v_and_b32_e32 v186, 0x3030303, v168
	v_bfe_u32 v168, v168, 24, 2
	v_or_b32_sdwa v159, v163, v159 dst_sel:WORD_1 dst_unused:UNUSED_PAD src0_sel:BYTE_0 src1_sel:DWORD
	v_lshlrev_b16 v163, 8, v179
	v_or_b32_sdwa v160, v164, v160 dst_sel:WORD_1 dst_unused:UNUSED_PAD src0_sel:BYTE_0 src1_sel:DWORD
	v_lshrrev_b16 v187, 8, v186
	v_lshlrev_b16 v164, 8, v181
	v_or_b32_sdwa v161, v165, v161 dst_sel:WORD_1 dst_unused:UNUSED_PAD src0_sel:BYTE_0 src1_sel:DWORD
	v_lshlrev_b16 v165, 8, v183
	v_lshlrev_b16 v166, 8, v166
	v_sub_nc_u16 v187, v187, v188
	v_lshrrev_b32_e32 v188, 24, v145
	v_or_b32_sdwa v174, v174, v175 dst_sel:DWORD dst_unused:UNUSED_PAD src0_sel:BYTE_0 src1_sel:DWORD
	v_or_b32_sdwa v162, v176, v162 dst_sel:DWORD dst_unused:UNUSED_PAD src0_sel:BYTE_0 src1_sel:DWORD
	;; [unrolled: 1-line block ×4, first 2 shown]
	v_sub_nc_u16 v168, v168, v188
	v_lshrrev_b32_e32 v188, 16, v186
	v_sub_nc_u16 v186, v186, v145
	v_lshrrev_b32_e32 v145, 16, v145
	v_or_b32_sdwa v165, v182, v165 dst_sel:DWORD dst_unused:UNUSED_PAD src0_sel:BYTE_0 src1_sel:DWORD
	v_or_b32_sdwa v147, v147, v166 dst_sel:WORD_1 dst_unused:UNUSED_PAD src0_sel:BYTE_0 src1_sel:DWORD
	v_lshlrev_b16 v166, 8, v185
	v_lshlrev_b16 v167, 8, v167
	v_sub_nc_u16 v145, v188, v145
	v_and_b32_e32 v188, 0x3030303, v169
	v_bfe_u32 v169, v169, 24, 2
	v_or_b32_sdwa v147, v165, v147 dst_sel:DWORD dst_unused:UNUSED_PAD src0_sel:WORD_0 src1_sel:DWORD
	v_or_b32_sdwa v166, v184, v166 dst_sel:DWORD dst_unused:UNUSED_PAD src0_sel:BYTE_0 src1_sel:DWORD
	v_or_b32_sdwa v146, v146, v167 dst_sel:WORD_1 dst_unused:UNUSED_PAD src0_sel:BYTE_0 src1_sel:DWORD
	v_lshrrev_b16 v189, 8, v188
	v_ashrrev_i32_e32 v27, s19, v27
	v_ashrrev_i32_e32 v28, s19, v28
	v_lshlrev_b16 v167, 8, v187
	v_or_b32_sdwa v146, v166, v146 dst_sel:DWORD dst_unused:UNUSED_PAD src0_sel:WORD_0 src1_sel:DWORD
	v_sub_nc_u16 v189, v189, v190
	v_lshrrev_b32_e32 v190, 24, v144
	v_mov_b32_e32 v166, 0
	v_lshlrev_b32_e32 v27, 2, v27
	v_lshlrev_b32_e32 v28, 2, v28
	v_lshlrev_b16 v168, 8, v168
	v_sub_nc_u16 v169, v169, v190
	v_lshrrev_b32_e32 v190, 16, v188
	v_sub_nc_u16 v188, v188, v144
	v_lshrrev_b32_e32 v144, 16, v144
	v_and_b32_e32 v27, 0x4040404, v27
	v_lshlrev_b16 v169, 8, v169
	v_and_b32_e32 v28, 0x4040404, v28
	v_or_b32_sdwa v167, v186, v167 dst_sel:DWORD dst_unused:UNUSED_PAD src0_sel:BYTE_0 src1_sel:DWORD
	v_sub_nc_u16 v144, v190, v144
	v_and_b32_e32 v190, 0x3030303, v170
	v_bfe_u32 v170, v170, 24, 2
	v_or_b32_sdwa v145, v145, v168 dst_sel:WORD_1 dst_unused:UNUSED_PAD src0_sel:BYTE_0 src1_sel:DWORD
	v_ashrrev_i32_e32 v29, s19, v29
	v_or_b32_sdwa v144, v144, v169 dst_sel:WORD_1 dst_unused:UNUSED_PAD src0_sel:BYTE_0 src1_sel:DWORD
	v_lshrrev_b16 v191, 8, v190
	s_and_b32 s24, s1, -16
	v_or_b32_sdwa v145, v167, v145 dst_sel:DWORD dst_unused:UNUSED_PAD src0_sel:WORD_0 src1_sel:DWORD
	v_lshlrev_b32_e32 v29, 2, v29
	s_add_i32 s21, s21, s24
	v_sub_nc_u16 v191, v191, v192
	v_lshrrev_b32_e32 v192, 24, v143
	v_lshlrev_b16 v168, 8, v189
	v_and_b32_e32 v29, 0x4040404, v29
	v_ashrrev_i32_e32 v30, s19, v30
	v_lshlrev_b16 v169, 8, v191
	v_sub_nc_u16 v170, v170, v192
	v_lshrrev_b32_e32 v192, 16, v190
	v_sub_nc_u16 v190, v190, v143
	v_lshrrev_b32_e32 v143, 16, v143
	v_or_b32_sdwa v168, v188, v168 dst_sel:DWORD dst_unused:UNUSED_PAD src0_sel:BYTE_0 src1_sel:DWORD
	v_lshlrev_b16 v170, 8, v170
	v_lshrrev_b16 v167, 8, v29
	v_or_b32_sdwa v169, v190, v169 dst_sel:DWORD dst_unused:UNUSED_PAD src0_sel:BYTE_0 src1_sel:DWORD
	v_sub_nc_u16 v143, v192, v143
	v_and_b32_e32 v192, 0x3030303, v171
	v_bfe_u32 v171, v171, 24, 2
	v_or_b32_sdwa v144, v168, v144 dst_sel:DWORD dst_unused:UNUSED_PAD src0_sel:WORD_0 src1_sel:DWORD
	v_lshlrev_b32_e32 v30, 2, v30
	v_or_b32_sdwa v143, v143, v170 dst_sel:WORD_1 dst_unused:UNUSED_PAD src0_sel:BYTE_0 src1_sel:DWORD
	v_lshrrev_b16 v193, 8, v192
	v_ashrrev_i32_e32 v31, s19, v31
	v_ashrrev_i32_e32 v32, s19, v32
	v_and_b32_e32 v30, 0x4040404, v30
	v_ashrrev_i32_e32 v33, s19, v33
	v_sub_nc_u16 v193, v193, v194
	v_lshrrev_b32_e32 v194, 24, v142
	v_lshlrev_b32_e32 v31, 2, v31
	v_lshlrev_b32_e32 v32, 2, v32
	v_ashrrev_i32_e32 v152, s22, v152
	v_lshlrev_b16 v170, 8, v193
	v_sub_nc_u16 v171, v171, v194
	v_lshrrev_b32_e32 v194, 16, v192
	v_sub_nc_u16 v192, v192, v142
	v_lshrrev_b32_e32 v142, 16, v142
	v_and_b32_e32 v31, 0x4040404, v31
	v_lshlrev_b16 v171, 8, v171
	v_and_b32_e32 v32, 0x4040404, v32
	v_or_b32_sdwa v170, v192, v170 dst_sel:DWORD dst_unused:UNUSED_PAD src0_sel:BYTE_0 src1_sel:DWORD
	v_sub_nc_u16 v142, v194, v142
	v_and_b32_e32 v194, 0x3030303, v150
	v_bfe_u32 v150, v150, 24, 2
	v_lshlrev_b32_e32 v33, 2, v33
	v_ashrrev_i32_e32 v34, s19, v34
	v_or_b32_sdwa v142, v142, v171 dst_sel:WORD_1 dst_unused:UNUSED_PAD src0_sel:BYTE_0 src1_sel:DWORD
	v_lshrrev_b16 v195, 8, v194
	v_ashrrev_i32_e32 v153, s22, v153
	v_and_b32_e32 v33, 0x4040404, v33
	v_lshlrev_b32_e32 v34, 2, v34
	v_ashrrev_i32_e32 v35, s19, v35
	v_sub_nc_u16 v195, v195, v196
	v_lshrrev_b32_e32 v196, 24, v141
	v_lshrrev_b16 v175, 8, v33
	v_and_b32_e32 v34, 0x4040404, v34
	v_lshlrev_b32_e32 v35, 2, v35
	v_lshlrev_b16 v171, 8, v195
	v_sub_nc_u16 v150, v150, v196
	v_lshrrev_b32_e32 v196, 16, v194
	v_sub_nc_u16 v194, v194, v141
	v_lshrrev_b32_e32 v141, 16, v141
	v_lshrrev_b16 v177, 8, v34
	v_lshlrev_b16 v150, 8, v150
	v_and_b32_e32 v35, 0x4040404, v35
	v_or_b32_sdwa v171, v194, v171 dst_sel:DWORD dst_unused:UNUSED_PAD src0_sel:BYTE_0 src1_sel:DWORD
	v_sub_nc_u16 v141, v196, v141
	v_and_b32_e32 v196, 0x3030303, v151
	v_bfe_u32 v151, v151, 24, 2
	v_lshrrev_b16 v179, 8, v35
	v_ashrrev_i32_e32 v36, s19, v36
	v_or_b32_sdwa v141, v141, v150 dst_sel:WORD_1 dst_unused:UNUSED_PAD src0_sel:BYTE_0 src1_sel:DWORD
	v_lshrrev_b16 v197, 8, v196
	v_ashrrev_i32_e32 v25, s19, v25
	v_ashrrev_i32_e32 v26, s19, v26
	v_lshlrev_b32_e32 v36, 2, v36
	v_ashrrev_i32_e32 v154, s22, v154
	v_sub_nc_u16 v197, v197, v198
	v_lshrrev_b32_e32 v198, 24, v140
	v_lshlrev_b32_e32 v25, 2, v25
	v_and_b32_e32 v36, 0x4040404, v36
	v_lshlrev_b32_e32 v26, 2, v26
	v_lshlrev_b16 v150, 8, v197
	v_sub_nc_u16 v151, v151, v198
	v_lshrrev_b32_e32 v198, 16, v196
	v_sub_nc_u16 v196, v196, v140
	v_lshrrev_b32_e32 v140, 16, v140
	v_lshrrev_b16 v181, 8, v36
	v_lshlrev_b16 v151, 8, v151
	v_and_b32_e32 v25, 0x4040404, v25
	v_or_b32_sdwa v150, v196, v150 dst_sel:DWORD dst_unused:UNUSED_PAD src0_sel:BYTE_0 src1_sel:DWORD
	v_sub_nc_u16 v140, v198, v140
	v_and_b32_e32 v198, 0x3030303, v172
	v_bfe_u32 v172, v172, 24, 2
	v_lshrrev_b16 v183, 8, v25
	v_and_b32_e32 v26, 0x4040404, v26
	v_or_b32_sdwa v140, v140, v151 dst_sel:WORD_1 dst_unused:UNUSED_PAD src0_sel:BYTE_0 src1_sel:DWORD
	v_lshrrev_b16 v199, 8, v198
	v_ashrrev_i32_e32 v155, s22, v155
	v_ashrrev_i32_e32 v37, s19, v37
	v_lshrrev_b16 v185, 8, v26
	v_or_b32_sdwa v150, v150, v140 dst_sel:DWORD dst_unused:UNUSED_PAD src0_sel:WORD_0 src1_sel:DWORD
	v_sub_nc_u16 v199, v199, v200
	v_lshrrev_b32_e32 v200, 24, v139
	v_lshlrev_b32_e32 v37, 2, v37
	v_ashrrev_i32_e32 v38, s19, v38
	s_add_i32 s1, s1, 2
	v_lshlrev_b16 v151, 8, v199
	v_sub_nc_u16 v172, v172, v200
	v_lshrrev_b32_e32 v200, 16, v198
	v_sub_nc_u16 v198, v198, v139
	v_lshrrev_b32_e32 v139, 16, v139
	v_and_b32_e32 v37, 0x4040404, v37
	v_lshlrev_b16 v172, 8, v172
	v_lshlrev_b32_e32 v38, 2, v38
	v_or_b32_sdwa v151, v198, v151 dst_sel:DWORD dst_unused:UNUSED_PAD src0_sel:BYTE_0 src1_sel:DWORD
	v_sub_nc_u16 v139, v200, v139
	v_and_b32_e32 v200, 0x3030303, v173
	v_bfe_u32 v173, v173, 24, 2
	v_lshrrev_b16 v191, 8, v37
	v_and_b32_e32 v38, 0x4040404, v38
	v_or_b32_sdwa v139, v139, v172 dst_sel:WORD_1 dst_unused:UNUSED_PAD src0_sel:BYTE_0 src1_sel:DWORD
	v_lshrrev_b16 v201, 8, v200
	v_lshrrev_b16 v193, 8, v38
	v_or_b32_sdwa v151, v151, v139 dst_sel:DWORD dst_unused:UNUSED_PAD src0_sel:WORD_0 src1_sel:DWORD
	v_sub_nc_u16 v201, v201, v202
	v_lshrrev_b32_e32 v202, 24, v137
	v_lshlrev_b16 v172, 8, v201
	v_sub_nc_u16 v173, v173, v202
	v_lshrrev_b32_e32 v202, 16, v200
	v_sub_nc_u16 v200, v200, v137
	v_lshrrev_b32_e32 v137, 16, v137
	v_lshlrev_b16 v173, 8, v173
	v_or_b32_sdwa v172, v200, v172 dst_sel:DWORD dst_unused:UNUSED_PAD src0_sel:BYTE_0 src1_sel:DWORD
	v_sub_nc_u16 v137, v202, v137
	v_and_b32_e32 v202, 0x3030303, v148
	v_bfe_u32 v148, v148, 24, 2
	v_or_b32_sdwa v137, v137, v173 dst_sel:WORD_1 dst_unused:UNUSED_PAD src0_sel:BYTE_0 src1_sel:DWORD
	v_lshrrev_b16 v203, 8, v202
	v_sub_nc_u16 v203, v203, v204
	v_lshrrev_b32_e32 v204, 24, v138
	v_lshlrev_b16 v173, 8, v203
	v_sub_nc_u16 v148, v148, v204
	v_lshrrev_b32_e32 v204, 16, v202
	v_sub_nc_u16 v202, v202, v138
	v_lshrrev_b32_e32 v138, 16, v138
	v_lshlrev_b16 v148, 8, v148
	v_or_b32_sdwa v173, v202, v173 dst_sel:DWORD dst_unused:UNUSED_PAD src0_sel:BYTE_0 src1_sel:DWORD
	v_sub_nc_u16 v138, v204, v138
	v_and_b32_e32 v204, 0x3030303, v149
	v_bfe_u32 v149, v149, 24, 2
	v_or_b32_sdwa v138, v138, v148 dst_sel:WORD_1 dst_unused:UNUSED_PAD src0_sel:BYTE_0 src1_sel:DWORD
	v_lshrrev_b16 v205, 8, v204
	v_or_b32_sdwa v165, v173, v138 dst_sel:DWORD dst_unused:UNUSED_PAD src0_sel:WORD_0 src1_sel:DWORD
	v_sub_nc_u16 v205, v205, v206
	v_lshrrev_b32_e32 v206, 24, v136
	v_lshrrev_b16 v173, 8, v32
	v_lshlrev_b16 v148, 8, v205
	v_sub_nc_u16 v149, v149, v206
	v_lshrrev_b32_e32 v206, 16, v204
	v_sub_nc_u16 v204, v204, v136
	v_lshrrev_b32_e32 v136, 16, v136
	v_lshlrev_b16 v149, 8, v149
	v_or_b32_sdwa v148, v204, v148 dst_sel:DWORD dst_unused:UNUSED_PAD src0_sel:BYTE_0 src1_sel:DWORD
	v_sub_nc_u16 v136, v206, v136
	v_or_b32_sdwa v136, v136, v149 dst_sel:WORD_1 dst_unused:UNUSED_PAD src0_sel:BYTE_0 src1_sel:DWORD
	v_or_b32_sdwa v149, v174, v158 dst_sel:DWORD dst_unused:UNUSED_PAD src0_sel:WORD_0 src1_sel:DWORD
	v_or_b32_sdwa v158, v162, v159 dst_sel:DWORD dst_unused:UNUSED_PAD src0_sel:WORD_0 src1_sel:DWORD
	;; [unrolled: 1-line block ×9, first 2 shown]
	ds_read_b128 v[136:139], v131
	ds_read_b128 v[140:143], v131 offset:16
	v_lshrrev_b16 v169, 8, v30
	v_lshrrev_b16 v171, 8, v31
	v_add_nc_u32_e32 v131, 32, v131
	s_waitcnt lgkmcnt(1)
	v_dot4c_i32_i8 v166, v149, v136
	v_mov_b32_e32 v149, 0
	v_dot4c_i32_i8 v166, v158, v137
	v_dot4c_i32_i8 v149, v147, v136
	v_mov_b32_e32 v147, 0
	v_dot4c_i32_i8 v166, v159, v138
	v_dot4c_i32_i8 v149, v146, v137
	;; [unrolled: 1-line block ×3, first 2 shown]
	v_mov_b32_e32 v161, 0
	v_dot4c_i32_i8 v166, v160, v139
	v_dot4c_i32_i8 v149, v145, v138
	;; [unrolled: 1-line block ×4, first 2 shown]
	v_ashrrev_i32_e32 v136, s22, v21
	v_lshrrev_b16 v162, 8, v27
	v_add_nc_u32_e32 v21, s21, v89
	v_dot4c_i32_i8 v147, v163, v138
	v_dot4c_i32_i8 v161, v164, v137
	v_and_b32_e32 v159, 0x3030303, v136
	v_bfe_u32 v136, v136, 24, 2
	v_ashrrev_i32_e32 v137, s22, v22
	v_lshrrev_b16 v164, 8, v28
	v_dot4c_i32_i8 v161, v165, v138
	v_lshrrev_b16 v160, 8, v159
	v_ashrrev_i32_e32 v138, s22, v23
	ds_read_u16 v146, v21 offset:26370
	v_add3_u32 v21, s23, v117, v118
	v_dot4c_i32_i8 v161, v148, v139
	v_sub_nc_u16 v160, v160, v162
	v_lshrrev_b32_e32 v162, 24, v27
	v_add_nc_u32_e32 v23, 0x1098, v133
	ds_read_b32 v148, v21
	v_add_nc_u32_e32 v21, 0x1090, v133
	v_dot4c_i32_i8 v149, v144, v139
	v_sub_nc_u16 v136, v136, v162
	v_lshrrev_b32_e32 v162, 16, v159
	v_sub_nc_u16 v159, v159, v27
	v_lshrrev_b32_e32 v27, 16, v27
	v_dot4c_i32_i8 v147, v150, v139
	v_ashrrev_i32_e32 v139, s22, v24
	ds_read2_b32 v[21:22], v21 offset1:1
	ds_read2_b32 v[23:24], v23 offset1:1
	v_ashrrev_i32_e32 v144, s19, v156
	v_sub_nc_u16 v27, v162, v27
	v_and_b32_e32 v162, 0x3030303, v137
	v_bfe_u32 v137, v137, 24, 2
	v_ashrrev_i32_e32 v145, s19, v157
	v_lshlrev_b32_e32 v144, 2, v144
	v_lshlrev_b16 v160, 8, v160
	v_lshrrev_b16 v163, 8, v162
	v_lshlrev_b16 v136, 8, v136
	v_lshlrev_b32_e32 v145, 2, v145
	v_and_b32_e32 v144, 0x4040404, v144
	v_or_b32_sdwa v159, v159, v160 dst_sel:DWORD dst_unused:UNUSED_PAD src0_sel:BYTE_0 src1_sel:DWORD
	v_sub_nc_u16 v163, v163, v164
	v_lshrrev_b32_e32 v164, 24, v28
	v_and_b32_e32 v145, 0x4040404, v145
	v_lshrrev_b16 v187, 8, v144
	v_or_b32_sdwa v27, v27, v136 dst_sel:WORD_1 dst_unused:UNUSED_PAD src0_sel:BYTE_0 src1_sel:DWORD
	v_lshlrev_b16 v136, 8, v163
	v_sub_nc_u16 v137, v137, v164
	v_lshrrev_b32_e32 v164, 16, v162
	v_sub_nc_u16 v162, v162, v28
	v_lshrrev_b32_e32 v28, 16, v28
	s_waitcnt lgkmcnt(1)
	v_ashrrev_i32_e32 v150, s22, v21
	v_ashrrev_i32_e32 v151, s22, v22
	v_add_nc_u32_e32 v22, s21, v87
	s_waitcnt lgkmcnt(0)
	v_ashrrev_i32_e32 v156, s22, v23
	v_sub_nc_u16 v28, v164, v28
	v_and_b32_e32 v164, 0x3030303, v138
	v_bfe_u32 v138, v138, 24, 2
	v_add_nc_u32_e32 v21, 0x3190, v133
	v_add_nc_u32_e32 v23, 0x3198, v133
	ds_read_u16 v133, v22 offset:28418
	v_lshrrev_b16 v165, 8, v164
	v_add3_u32 v22, s23, v125, v126
	v_ashrrev_i32_e32 v157, s22, v24
	ds_read_b32 v158, v22
	ds_read2_b32 v[21:22], v21 offset1:1
	ds_read2_b32 v[23:24], v23 offset1:1
	v_sub_nc_u16 v165, v165, v167
	v_lshrrev_b32_e32 v167, 24, v29
	v_lshrrev_b16 v189, 8, v145
	v_or_b32_sdwa v27, v159, v27 dst_sel:DWORD dst_unused:UNUSED_PAD src0_sel:WORD_0 src1_sel:DWORD
	v_lshlrev_b16 v137, 8, v137
	v_or_b32_sdwa v136, v162, v136 dst_sel:DWORD dst_unused:UNUSED_PAD src0_sel:BYTE_0 src1_sel:DWORD
	v_sub_nc_u16 v138, v138, v167
	v_lshrrev_b32_e32 v167, 16, v164
	v_sub_nc_u16 v164, v164, v29
	v_lshrrev_b32_e32 v29, 16, v29
	v_or_b32_sdwa v28, v28, v137 dst_sel:WORD_1 dst_unused:UNUSED_PAD src0_sel:BYTE_0 src1_sel:DWORD
	v_lshlrev_b16 v137, 8, v165
	v_lshlrev_b16 v138, 8, v138
	s_add_i32 s19, s19, 1
	v_sub_nc_u16 v29, v167, v29
	v_and_b32_e32 v167, 0x3030303, v139
	v_bfe_u32 v139, v139, 24, 2
	v_or_b32_sdwa v28, v136, v28 dst_sel:DWORD dst_unused:UNUSED_PAD src0_sel:WORD_0 src1_sel:DWORD
	s_waitcnt lgkmcnt(1)
	v_ashrrev_i32_e32 v21, s22, v21
	v_ashrrev_i32_e32 v22, s22, v22
	v_lshrrev_b16 v168, 8, v167
	s_waitcnt lgkmcnt(0)
	v_ashrrev_i32_e32 v23, s22, v23
	v_ashrrev_i32_e32 v24, s22, v24
	v_mov_b32_e32 v136, 0
	v_or_b32_sdwa v137, v164, v137 dst_sel:DWORD dst_unused:UNUSED_PAD src0_sel:BYTE_0 src1_sel:DWORD
	v_sub_nc_u16 v168, v168, v169
	v_lshrrev_b32_e32 v169, 24, v30
	v_or_b32_sdwa v29, v29, v138 dst_sel:WORD_1 dst_unused:UNUSED_PAD src0_sel:BYTE_0 src1_sel:DWORD
	s_cmp_lt_u32 s20, 14
	v_lshlrev_b16 v138, 8, v168
	v_sub_nc_u16 v139, v139, v169
	v_lshrrev_b32_e32 v169, 16, v167
	v_sub_nc_u16 v167, v167, v30
	v_lshrrev_b32_e32 v30, 16, v30
	v_or_b32_sdwa v29, v137, v29 dst_sel:DWORD dst_unused:UNUSED_PAD src0_sel:WORD_0 src1_sel:DWORD
	v_lshlrev_b16 v139, 8, v139
	v_or_b32_sdwa v138, v167, v138 dst_sel:DWORD dst_unused:UNUSED_PAD src0_sel:BYTE_0 src1_sel:DWORD
	v_sub_nc_u16 v30, v169, v30
	v_and_b32_e32 v169, 0x3030303, v150
	v_bfe_u32 v150, v150, 24, 2
	v_or_b32_sdwa v30, v30, v139 dst_sel:WORD_1 dst_unused:UNUSED_PAD src0_sel:BYTE_0 src1_sel:DWORD
	v_lshrrev_b16 v170, 8, v169
	v_or_b32_sdwa v30, v138, v30 dst_sel:DWORD dst_unused:UNUSED_PAD src0_sel:WORD_0 src1_sel:DWORD
	v_sub_nc_u16 v170, v170, v171
	v_lshrrev_b32_e32 v171, 24, v31
	v_lshlrev_b16 v139, 8, v170
	v_sub_nc_u16 v150, v150, v171
	v_lshrrev_b32_e32 v171, 16, v169
	v_sub_nc_u16 v169, v169, v31
	v_lshrrev_b32_e32 v31, 16, v31
	v_lshlrev_b16 v150, 8, v150
	v_or_b32_sdwa v139, v169, v139 dst_sel:DWORD dst_unused:UNUSED_PAD src0_sel:BYTE_0 src1_sel:DWORD
	v_sub_nc_u16 v31, v171, v31
	v_and_b32_e32 v171, 0x3030303, v151
	v_bfe_u32 v151, v151, 24, 2
	v_or_b32_sdwa v31, v31, v150 dst_sel:WORD_1 dst_unused:UNUSED_PAD src0_sel:BYTE_0 src1_sel:DWORD
	v_lshrrev_b16 v172, 8, v171
	v_or_b32_sdwa v31, v139, v31 dst_sel:DWORD dst_unused:UNUSED_PAD src0_sel:WORD_0 src1_sel:DWORD
	v_sub_nc_u16 v172, v172, v173
	v_lshrrev_b32_e32 v173, 24, v32
	v_lshlrev_b16 v150, 8, v172
	v_sub_nc_u16 v151, v151, v173
	v_lshrrev_b32_e32 v173, 16, v171
	v_sub_nc_u16 v171, v171, v32
	v_lshrrev_b32_e32 v32, 16, v32
	;; [unrolled: 15-line block ×3, first 2 shown]
	v_lshlrev_b16 v152, 8, v152
	v_or_b32_sdwa v151, v173, v151 dst_sel:DWORD dst_unused:UNUSED_PAD src0_sel:BYTE_0 src1_sel:DWORD
	v_sub_nc_u16 v33, v175, v33
	v_and_b32_e32 v175, 0x3030303, v153
	v_bfe_u32 v153, v153, 24, 2
	v_or_b32_sdwa v33, v33, v152 dst_sel:WORD_1 dst_unused:UNUSED_PAD src0_sel:BYTE_0 src1_sel:DWORD
	v_lshrrev_b16 v176, 8, v175
	v_or_b32_sdwa v33, v151, v33 dst_sel:DWORD dst_unused:UNUSED_PAD src0_sel:WORD_0 src1_sel:DWORD
	v_sub_nc_u16 v176, v176, v177
	v_lshrrev_b32_e32 v177, 24, v34
	v_dot4c_i32_i8 v136, v33, v140
	v_lshlrev_b16 v152, 8, v176
	v_sub_nc_u16 v153, v153, v177
	v_lshrrev_b32_e32 v177, 16, v175
	v_sub_nc_u16 v175, v175, v34
	v_lshrrev_b32_e32 v34, 16, v34
	v_lshlrev_b16 v153, 8, v153
	v_or_b32_sdwa v152, v175, v152 dst_sel:DWORD dst_unused:UNUSED_PAD src0_sel:BYTE_0 src1_sel:DWORD
	v_sub_nc_u16 v34, v177, v34
	v_and_b32_e32 v177, 0x3030303, v21
	v_bfe_u32 v21, v21, 24, 2
	v_or_b32_sdwa v34, v34, v153 dst_sel:WORD_1 dst_unused:UNUSED_PAD src0_sel:BYTE_0 src1_sel:DWORD
	v_lshrrev_b16 v178, 8, v177
	v_or_b32_sdwa v34, v152, v34 dst_sel:DWORD dst_unused:UNUSED_PAD src0_sel:WORD_0 src1_sel:DWORD
	v_sub_nc_u16 v178, v178, v179
	v_lshrrev_b32_e32 v179, 24, v35
	v_dot4c_i32_i8 v136, v34, v141
	v_lshlrev_b16 v153, 8, v178
	v_sub_nc_u16 v21, v21, v179
	v_lshrrev_b32_e32 v179, 16, v177
	v_sub_nc_u16 v177, v177, v35
	v_lshrrev_b32_e32 v35, 16, v35
	v_lshlrev_b16 v21, 8, v21
	v_or_b32_sdwa v153, v177, v153 dst_sel:DWORD dst_unused:UNUSED_PAD src0_sel:BYTE_0 src1_sel:DWORD
	v_sub_nc_u16 v35, v179, v35
	v_and_b32_e32 v179, 0x3030303, v22
	v_bfe_u32 v22, v22, 24, 2
	v_or_b32_sdwa v21, v35, v21 dst_sel:WORD_1 dst_unused:UNUSED_PAD src0_sel:BYTE_0 src1_sel:DWORD
	v_lshrrev_b16 v180, 8, v179
	v_or_b32_sdwa v21, v153, v21 dst_sel:DWORD dst_unused:UNUSED_PAD src0_sel:WORD_0 src1_sel:DWORD
	v_sub_nc_u16 v180, v180, v181
	v_lshrrev_b32_e32 v181, 24, v36
	v_lshlrev_b16 v35, 8, v180
	v_sub_nc_u16 v22, v22, v181
	v_lshrrev_b32_e32 v181, 16, v179
	v_sub_nc_u16 v179, v179, v36
	v_lshrrev_b32_e32 v36, 16, v36
	v_lshlrev_b16 v22, 8, v22
	v_or_b32_sdwa v35, v179, v35 dst_sel:DWORD dst_unused:UNUSED_PAD src0_sel:BYTE_0 src1_sel:DWORD
	v_sub_nc_u16 v36, v181, v36
	v_and_b32_e32 v181, 0x3030303, v156
	v_bfe_u32 v156, v156, 24, 2
	v_or_b32_sdwa v22, v36, v22 dst_sel:WORD_1 dst_unused:UNUSED_PAD src0_sel:BYTE_0 src1_sel:DWORD
	v_lshrrev_b16 v182, 8, v181
	v_or_b32_sdwa v22, v35, v22 dst_sel:DWORD dst_unused:UNUSED_PAD src0_sel:WORD_0 src1_sel:DWORD
	v_sub_nc_u16 v182, v182, v183
	v_lshrrev_b32_e32 v183, 24, v25
	;; [unrolled: 15-line block ×5, first 2 shown]
	v_dot4c_i32_i8 v136, v35, v142
	v_lshlrev_b16 v154, 8, v188
	v_sub_nc_u16 v155, v155, v189
	v_lshrrev_b32_e32 v189, 16, v187
	v_sub_nc_u16 v187, v187, v145
	v_lshrrev_b32_e32 v145, 16, v145
	v_lshlrev_b16 v155, 8, v155
	v_or_b32_sdwa v154, v187, v154 dst_sel:DWORD dst_unused:UNUSED_PAD src0_sel:BYTE_0 src1_sel:DWORD
	v_sub_nc_u16 v145, v189, v145
	v_and_b32_e32 v189, 0x3030303, v23
	v_bfe_u32 v23, v23, 24, 2
	v_or_b32_sdwa v145, v145, v155 dst_sel:WORD_1 dst_unused:UNUSED_PAD src0_sel:BYTE_0 src1_sel:DWORD
	v_lshrrev_b16 v190, 8, v189
	v_or_b32_sdwa v36, v154, v145 dst_sel:DWORD dst_unused:UNUSED_PAD src0_sel:WORD_0 src1_sel:DWORD
	v_sub_nc_u16 v190, v190, v191
	v_lshrrev_b32_e32 v191, 24, v37
	v_dot4c_i32_i8 v136, v36, v143
	v_lshlrev_b16 v155, 8, v190
	v_sub_nc_u16 v23, v23, v191
	v_lshrrev_b32_e32 v191, 16, v189
	v_sub_nc_u16 v189, v189, v37
	v_lshrrev_b32_e32 v37, 16, v37
	v_lshlrev_b16 v23, 8, v23
	v_or_b32_sdwa v155, v189, v155 dst_sel:DWORD dst_unused:UNUSED_PAD src0_sel:BYTE_0 src1_sel:DWORD
	v_sub_nc_u16 v37, v191, v37
	v_and_b32_e32 v191, 0x3030303, v24
	v_bfe_u32 v24, v24, 24, 2
	v_or_b32_sdwa v23, v37, v23 dst_sel:WORD_1 dst_unused:UNUSED_PAD src0_sel:BYTE_0 src1_sel:DWORD
	v_lshrrev_b16 v192, 8, v191
	v_or_b32_sdwa v23, v155, v23 dst_sel:DWORD dst_unused:UNUSED_PAD src0_sel:WORD_0 src1_sel:DWORD
	v_sub_nc_u16 v192, v192, v193
	v_lshrrev_b32_e32 v193, 24, v38
	v_lshlrev_b16 v37, 8, v192
	v_sub_nc_u16 v24, v24, v193
	v_lshrrev_b32_e32 v193, 16, v191
	v_sub_nc_u16 v191, v191, v38
	v_lshrrev_b32_e32 v38, 16, v38
	v_lshlrev_b16 v24, 8, v24
	v_or_b32_sdwa v37, v191, v37 dst_sel:DWORD dst_unused:UNUSED_PAD src0_sel:BYTE_0 src1_sel:DWORD
	v_sub_nc_u16 v38, v193, v38
	v_or_b32_sdwa v24, v38, v24 dst_sel:WORD_1 dst_unused:UNUSED_PAD src0_sel:BYTE_0 src1_sel:DWORD
	v_mov_b32_e32 v38, 0
	v_or_b32_sdwa v24, v37, v24 dst_sel:DWORD dst_unused:UNUSED_PAD src0_sel:WORD_0 src1_sel:DWORD
	v_mov_b32_e32 v37, 0
	v_dot4c_i32_i8 v38, v27, v140
	v_add_nc_u32_e32 v27, s21, v90
	v_dot4c_i32_i8 v37, v31, v140
	v_mov_b32_e32 v31, 0
	v_dot4c_i32_i8 v38, v28, v141
	v_dot4c_i32_i8 v37, v32, v141
	;; [unrolled: 1-line block ×3, first 2 shown]
	v_add_nc_u32_e32 v21, s21, v88
	ds_read_u16 v27, v27 offset:25346
	ds_read_u16 v21, v21 offset:27394
	v_dot4c_i32_i8 v31, v22, v141
	v_bfe_i32 v22, v146, 0, 8
	v_dot4c_i32_i8 v38, v29, v142
	v_lshrrev_b16 v29, 8, v133
	v_bfe_i32 v133, v133, 0, 8
	v_dot4c_i32_i8 v31, v23, v142
	v_mul_lo_u32 v22, v149, v22
	v_dot4c_i32_i8 v37, v25, v142
	v_dot4c_i32_i8 v38, v30, v143
	ds_read_b32 v33, v132
	v_dot4c_i32_i8 v31, v24, v143
	v_mul_lo_u32 v24, v161, v133
	v_dot4c_i32_i8 v37, v26, v143
	v_bfe_i32 v29, v29, 0, 8
	v_add_nc_u32_e32 v132, 4, v132
	s_mov_b32 s21, s20
	s_waitcnt lgkmcnt(2)
	v_lshrrev_b16 v28, 8, v27
	v_bfe_i32 v27, v27, 0, 8
	s_waitcnt lgkmcnt(1)
	v_lshrrev_b16 v32, 8, v21
	v_bfe_i32 v34, v21, 0, 8
	v_lshrrev_b16 v21, 8, v146
	v_bfe_i32 v28, v28, 0, 8
	v_bfe_i32 v32, v32, 0, 8
	v_mul_lo_u32 v23, v147, v34
	v_bfe_i32 v137, v21, 0, 8
	v_mul_lo_u32 v21, v166, v27
	v_mad_u64_u32 v[25:26], null, v38, v28, v[21:22]
	v_mad_u64_u32 v[26:27], null, v37, v137, v[22:23]
	;; [unrolled: 1-line block ×3, first 2 shown]
	s_waitcnt lgkmcnt(0)
	v_mul_f32_e32 v21, v33, v135
	v_mul_f32_e32 v22, v33, v148
	v_mad_u64_u32 v[28:29], null, v31, v29, v[24:25]
	v_mul_f32_e32 v23, v33, v134
	v_mul_f32_e32 v24, v33, v158
	v_cvt_f32_i32_e32 v25, v25
	v_cvt_f32_i32_e32 v26, v26
	;; [unrolled: 1-line block ×4, first 2 shown]
	v_fmac_f32_e32 v40, v21, v25
	v_fmac_f32_e32 v86, v22, v26
	;; [unrolled: 1-line block ×4, first 2 shown]
	s_cbranch_scc1 .LBB230_19
; %bb.20:                               ;   in Loop: Header=BB230_5 Depth=1
	s_or_b32 s1, s4, 0x100
	s_cmp_ge_i32 s1, s9
	s_barrier
	buffer_gl0_inv
	s_cbranch_scc1 .LBB230_4
; %bb.21:                               ;   in Loop: Header=BB230_5 Depth=1
	v_add_nc_u32_e32 v21, s5, v97
	v_cmp_gt_i32_e64 s1, s8, v21
	s_and_b32 s19, s0, s1
	s_and_saveexec_b32 s1, s19
	s_cbranch_execz .LBB230_23
; %bb.22:                               ;   in Loop: Header=BB230_5 Depth=1
	v_add_nc_u32_e32 v21, v99, v21
	v_mad_i64_i32 v[21:22], null, v21, 36, v[19:20]
	global_load_dword v21, v[21:22], off offset:4
	s_waitcnt vmcnt(0)
	ds_write_b32 v83, v21
.LBB230_23:                             ;   in Loop: Header=BB230_5 Depth=1
	s_or_b32 exec_lo, exec_lo, s1
	s_and_saveexec_b32 s19, vcc_lo
	s_cbranch_execz .LBB230_26
; %bb.24:                               ;   in Loop: Header=BB230_5 Depth=1
	v_or_b32_e32 v21, 8, v130
	v_cmp_gt_i32_e64 s1, s8, v21
	s_and_b32 s1, s0, s1
	s_and_b32 exec_lo, exec_lo, s1
	s_cbranch_execz .LBB230_26
; %bb.25:                               ;   in Loop: Header=BB230_5 Depth=1
	v_ashrrev_i32_e32 v21, 31, v130
	v_add_co_u32 v22, s1, v99, v130
	v_add_co_ci_u32_e64 v23, null, v103, v21, s1
	v_mad_u64_u32 v[21:22], null, v22, 36, s[2:3]
	v_mad_i32_i24 v22, v23, 36, v22
	global_load_dword v21, v[21:22], off offset:288
	s_waitcnt vmcnt(0)
	v_cvt_f32_f16_e32 v21, v21
	ds_write_b32 v85, v21
.LBB230_26:                             ;   in Loop: Header=BB230_5 Depth=1
	s_or_b32 exec_lo, exec_lo, s19
	v_mov_b32_e32 v131, v1
	v_mov_b32_e32 v132, v84
	s_mov_b32 s1, 16
	s_mov_b32 s21, 14
	;; [unrolled: 1-line block ×3, first 2 shown]
	s_waitcnt lgkmcnt(0)
	s_barrier
	buffer_gl0_inv
.LBB230_27:                             ;   Parent Loop BB230_5 Depth=1
                                        ; =>  This Inner Loop Header: Depth=2
	s_add_i32 s20, s21, 2
	s_add_i32 s22, s21, -14
	s_lshr_b32 s23, s20, 4
	s_and_b32 s24, s20, 0x3ffffff8
	s_lshl_b32 s25, s23, 5
	v_lshl_add_u32 v133, s24, 2, v101
	s_add_i32 s24, s25, 0x4200
	s_lshl_b32 s23, s23, 2
	v_add3_u32 v25, s24, v127, v114
	v_add3_u32 v26, s24, v115, v116
	;; [unrolled: 1-line block ×3, first 2 shown]
	v_add_nc_u32_e32 v38, 0x1080, v133
	ds_read2_b32 v[35:36], v133 offset1:1
	ds_read2_b32 v[33:34], v133 offset0:2 offset1:3
	ds_read2_b32 v[21:22], v133 offset0:4 offset1:5
	;; [unrolled: 1-line block ×3, first 2 shown]
	ds_read2_b32 v[135:136], v25 offset1:1
	ds_read2_b32 v[137:138], v25 offset0:2 offset1:3
	ds_read2_b32 v[139:140], v26 offset1:1
	ds_read2_b32 v[141:142], v26 offset0:2 offset1:3
	ds_read2_b32 v[148:149], v134 offset0:2 offset1:3
	;; [unrolled: 1-line block ×5, first 2 shown]
	ds_read2_b32 v[150:151], v38 offset1:1
	ds_read2_b32 v[25:26], v26 offset0:6 offset1:7
	v_add_nc_u32_e32 v37, 0x2100, v133
	s_addk_i32 s23, 0x7380
	v_add_nc_u32_e32 v154, 0x2118, v133
	s_waitcnt lgkmcnt(13)
	v_ashrrev_i32_e32 v158, s22, v35
	v_ashrrev_i32_e32 v159, s22, v36
	s_waitcnt lgkmcnt(12)
	v_ashrrev_i32_e32 v160, s22, v33
	v_ashrrev_i32_e32 v161, s22, v34
	s_waitcnt lgkmcnt(9)
	v_ashrrev_i32_e32 v162, s19, v135
	v_and_b32_e32 v174, 0x3030303, v158
	v_ashrrev_i32_e32 v163, s19, v136
	v_bfe_u32 v158, v158, 24, 2
	ds_read2_b32 v[33:34], v134 offset0:4 offset1:5
	ds_read2_b32 v[152:153], v37 offset1:1
	ds_read2_b32 v[35:36], v134 offset1:1
	v_lshlrev_b32_e32 v162, 2, v162
	v_lshrrev_b16 v175, 8, v174
	v_lshlrev_b32_e32 v163, 2, v163
	s_waitcnt lgkmcnt(11)
	v_ashrrev_i32_e32 v164, s19, v137
	v_add3_u32 v37, s24, v123, v124
	v_and_b32_e32 v162, 0x4040404, v162
	v_ashrrev_i32_e32 v165, s19, v138
	v_and_b32_e32 v163, 0x4040404, v163
	v_lshlrev_b32_e32 v164, 2, v164
	s_waitcnt lgkmcnt(10)
	v_ashrrev_i32_e32 v146, s19, v140
	v_lshrrev_b16 v176, 8, v162
	s_waitcnt lgkmcnt(9)
	v_ashrrev_i32_e32 v145, s19, v141
	v_lshrrev_b16 v178, 8, v163
	v_and_b32_e32 v164, 0x4040404, v164
	v_ashrrev_i32_e32 v144, s19, v142
	v_sub_nc_u16 v175, v175, v176
	v_lshrrev_b32_e32 v176, 24, v162
	s_waitcnt lgkmcnt(8)
	v_ashrrev_i32_e32 v141, s19, v148
	v_lshrrev_b16 v180, 8, v164
	s_waitcnt lgkmcnt(0)
	v_ashrrev_i32_e32 v143, s19, v35
	v_add_nc_u32_e32 v35, 0x3180, v133
	v_sub_nc_u16 v158, v158, v176
	v_lshrrev_b32_e32 v176, 16, v174
	v_sub_nc_u16 v174, v174, v162
	v_lshrrev_b32_e32 v162, 16, v162
	v_ashrrev_i32_e32 v142, s19, v36
	v_ashrrev_i32_e32 v140, s19, v149
	ds_read2_b32 v[148:149], v35 offset1:1
	ds_read2_b32 v[35:36], v37 offset1:1
	v_lshlrev_b32_e32 v165, 2, v165
	v_sub_nc_u16 v162, v176, v162
	v_and_b32_e32 v176, 0x3030303, v159
	v_bfe_u32 v159, v159, 24, 2
	v_ashrrev_i32_e32 v147, s19, v139
	v_and_b32_e32 v165, 0x4040404, v165
	v_ashrrev_i32_e32 v166, s22, v150
	v_lshrrev_b16 v177, 8, v176
	v_add_nc_u32_e32 v150, 0x1088, v133
	v_lshlrev_b32_e32 v147, 2, v147
	v_lshrrev_b16 v182, 8, v165
	v_ashrrev_i32_e32 v167, s22, v151
	v_sub_nc_u16 v177, v177, v178
	v_lshrrev_b32_e32 v178, 24, v163
	v_and_b32_e32 v147, 0x4040404, v147
	v_lshlrev_b32_e32 v146, 2, v146
	v_lshlrev_b32_e32 v145, 2, v145
	;; [unrolled: 1-line block ×3, first 2 shown]
	v_sub_nc_u16 v159, v159, v178
	v_lshrrev_b32_e32 v178, 16, v176
	v_sub_nc_u16 v176, v176, v163
	v_lshrrev_b32_e32 v163, 16, v163
	s_waitcnt lgkmcnt(0)
	v_ashrrev_i32_e32 v139, s19, v35
	v_ashrrev_i32_e32 v137, s19, v36
	ds_read2_b32 v[135:136], v37 offset0:2 offset1:3
	ds_read2_b32 v[35:36], v37 offset0:4 offset1:5
	;; [unrolled: 1-line block ×3, first 2 shown]
	v_lshrrev_b16 v184, 8, v147
	v_sub_nc_u16 v163, v178, v163
	v_and_b32_e32 v178, 0x3030303, v160
	v_bfe_u32 v160, v160, 24, 2
	ds_read2_b32 v[150:151], v150 offset1:1
	v_and_b32_e32 v146, 0x4040404, v146
	v_and_b32_e32 v145, 0x4040404, v145
	v_lshrrev_b16 v179, 8, v178
	v_and_b32_e32 v144, 0x4040404, v144
	v_ashrrev_i32_e32 v170, s22, v152
	v_lshrrev_b16 v186, 8, v146
	v_lshrrev_b16 v188, 8, v145
	v_sub_nc_u16 v179, v179, v180
	v_lshrrev_b32_e32 v180, 24, v164
	v_lshrrev_b16 v190, 8, v144
	v_lshlrev_b32_e32 v143, 2, v143
	v_add_nc_u32_e32 v152, 0x2110, v133
	s_waitcnt lgkmcnt(3)
	v_ashrrev_i32_e32 v138, s19, v135
	v_sub_nc_u16 v160, v160, v180
	v_lshrrev_b32_e32 v180, 16, v178
	v_sub_nc_u16 v178, v178, v164
	v_lshrrev_b32_e32 v164, 16, v164
	v_add3_u32 v135, s23, v128, v129
	v_and_b32_e32 v143, 0x4040404, v143
	s_waitcnt lgkmcnt(0)
	v_ashrrev_i32_e32 v168, s22, v150
	v_ashrrev_i32_e32 v169, s22, v151
	v_sub_nc_u16 v164, v180, v164
	v_and_b32_e32 v180, 0x3030303, v161
	v_bfe_u32 v161, v161, 24, 2
	ds_read_b32 v135, v135
	v_lshrrev_b16 v192, 8, v143
	v_add_nc_u32_e32 v150, 0x2108, v133
	v_lshrrev_b16 v181, 8, v180
	v_ashrrev_i32_e32 v171, s22, v153
	v_lshlrev_b32_e32 v142, 2, v142
	ds_read2_b32 v[150:151], v150 offset1:1
	ds_read2_b32 v[152:153], v152 offset1:1
	;; [unrolled: 1-line block ×3, first 2 shown]
	ds_read2_b32 v[156:157], v134 offset0:6 offset1:7
	v_sub_nc_u16 v181, v181, v182
	v_lshrrev_b32_e32 v182, 24, v165
	v_and_b32_e32 v142, 0x4040404, v142
	v_lshlrev_b32_e32 v141, 2, v141
	v_lshlrev_b32_e32 v140, 2, v140
	v_ashrrev_i32_e32 v172, s22, v148
	v_sub_nc_u16 v161, v161, v182
	v_lshrrev_b32_e32 v182, 16, v180
	v_sub_nc_u16 v180, v180, v165
	v_lshrrev_b32_e32 v165, 16, v165
	v_lshrrev_b16 v194, 8, v142
	v_and_b32_e32 v141, 0x4040404, v141
	v_and_b32_e32 v140, 0x4040404, v140
	v_lshlrev_b32_e32 v139, 2, v139
	v_sub_nc_u16 v165, v182, v165
	v_and_b32_e32 v182, 0x3030303, v166
	v_bfe_u32 v166, v166, 24, 2
	s_waitcnt lgkmcnt(3)
	v_ashrrev_i32_e32 v150, s22, v150
	v_lshrrev_b16 v196, 8, v141
	v_ashrrev_i32_e32 v151, s22, v151
	v_lshrrev_b16 v183, 8, v182
	v_lshrrev_b16 v198, 8, v140
	v_and_b32_e32 v139, 0x4040404, v139
	v_add3_u32 v134, s23, v121, v122
	v_add_nc_u32_e32 v148, 0x3188, v133
	v_sub_nc_u16 v183, v183, v184
	v_lshrrev_b32_e32 v184, 24, v147
	v_lshrrev_b16 v200, 8, v139
	ds_read_b32 v134, v134
	v_ashrrev_i32_e32 v173, s22, v149
	ds_read2_b32 v[148:149], v148 offset1:1
	v_sub_nc_u16 v166, v166, v184
	v_lshrrev_b32_e32 v184, 16, v182
	v_sub_nc_u16 v182, v182, v147
	v_lshrrev_b32_e32 v147, 16, v147
	v_lshlrev_b32_e32 v137, 2, v137
	v_lshlrev_b32_e32 v138, 2, v138
	v_ashrrev_i32_e32 v136, s19, v136
	v_lshlrev_b16 v158, 8, v158
	v_sub_nc_u16 v147, v184, v147
	v_and_b32_e32 v184, 0x3030303, v167
	v_bfe_u32 v167, v167, 24, 2
	v_and_b32_e32 v137, 0x4040404, v137
	v_and_b32_e32 v138, 0x4040404, v138
	v_lshlrev_b32_e32 v136, 2, v136
	v_lshrrev_b16 v185, 8, v184
	v_lshlrev_b16 v159, 8, v159
	v_lshrrev_b16 v202, 8, v137
	v_lshrrev_b16 v204, 8, v138
	v_and_b32_e32 v136, 0x4040404, v136
	v_sub_nc_u16 v185, v185, v186
	v_lshrrev_b32_e32 v186, 24, v146
	s_waitcnt lgkmcnt(0)
	v_ashrrev_i32_e32 v148, s22, v148
	v_ashrrev_i32_e32 v149, s22, v149
	v_lshrrev_b16 v206, 8, v136
	v_lshlrev_b16 v160, 8, v160
	v_sub_nc_u16 v167, v167, v186
	v_lshrrev_b32_e32 v186, 16, v184
	v_sub_nc_u16 v184, v184, v146
	v_lshrrev_b32_e32 v146, 16, v146
	v_lshlrev_b16 v161, 8, v161
	v_lshlrev_b16 v175, 8, v175
	v_or_b32_sdwa v158, v162, v158 dst_sel:WORD_1 dst_unused:UNUSED_PAD src0_sel:BYTE_0 src1_sel:DWORD
	v_lshlrev_b16 v162, 8, v177
	v_sub_nc_u16 v146, v186, v146
	v_and_b32_e32 v186, 0x3030303, v168
	v_bfe_u32 v168, v168, 24, 2
	v_or_b32_sdwa v159, v163, v159 dst_sel:WORD_1 dst_unused:UNUSED_PAD src0_sel:BYTE_0 src1_sel:DWORD
	v_lshlrev_b16 v163, 8, v179
	v_or_b32_sdwa v160, v164, v160 dst_sel:WORD_1 dst_unused:UNUSED_PAD src0_sel:BYTE_0 src1_sel:DWORD
	v_lshrrev_b16 v187, 8, v186
	v_lshlrev_b16 v164, 8, v181
	v_or_b32_sdwa v161, v165, v161 dst_sel:WORD_1 dst_unused:UNUSED_PAD src0_sel:BYTE_0 src1_sel:DWORD
	v_lshlrev_b16 v165, 8, v183
	v_lshlrev_b16 v166, 8, v166
	v_sub_nc_u16 v187, v187, v188
	v_lshrrev_b32_e32 v188, 24, v145
	v_or_b32_sdwa v174, v174, v175 dst_sel:DWORD dst_unused:UNUSED_PAD src0_sel:BYTE_0 src1_sel:DWORD
	v_or_b32_sdwa v162, v176, v162 dst_sel:DWORD dst_unused:UNUSED_PAD src0_sel:BYTE_0 src1_sel:DWORD
	;; [unrolled: 1-line block ×4, first 2 shown]
	v_sub_nc_u16 v168, v168, v188
	v_lshrrev_b32_e32 v188, 16, v186
	v_sub_nc_u16 v186, v186, v145
	v_lshrrev_b32_e32 v145, 16, v145
	v_or_b32_sdwa v165, v182, v165 dst_sel:DWORD dst_unused:UNUSED_PAD src0_sel:BYTE_0 src1_sel:DWORD
	v_or_b32_sdwa v147, v147, v166 dst_sel:WORD_1 dst_unused:UNUSED_PAD src0_sel:BYTE_0 src1_sel:DWORD
	v_lshlrev_b16 v166, 8, v185
	v_lshlrev_b16 v167, 8, v167
	v_sub_nc_u16 v145, v188, v145
	v_and_b32_e32 v188, 0x3030303, v169
	v_bfe_u32 v169, v169, 24, 2
	v_or_b32_sdwa v147, v165, v147 dst_sel:DWORD dst_unused:UNUSED_PAD src0_sel:WORD_0 src1_sel:DWORD
	v_or_b32_sdwa v166, v184, v166 dst_sel:DWORD dst_unused:UNUSED_PAD src0_sel:BYTE_0 src1_sel:DWORD
	v_or_b32_sdwa v146, v146, v167 dst_sel:WORD_1 dst_unused:UNUSED_PAD src0_sel:BYTE_0 src1_sel:DWORD
	v_lshrrev_b16 v189, 8, v188
	v_ashrrev_i32_e32 v27, s19, v27
	v_ashrrev_i32_e32 v28, s19, v28
	v_lshlrev_b16 v167, 8, v187
	v_or_b32_sdwa v146, v166, v146 dst_sel:DWORD dst_unused:UNUSED_PAD src0_sel:WORD_0 src1_sel:DWORD
	v_sub_nc_u16 v189, v189, v190
	v_lshrrev_b32_e32 v190, 24, v144
	v_mov_b32_e32 v166, 0
	v_lshlrev_b32_e32 v27, 2, v27
	v_lshlrev_b32_e32 v28, 2, v28
	v_lshlrev_b16 v168, 8, v168
	v_sub_nc_u16 v169, v169, v190
	v_lshrrev_b32_e32 v190, 16, v188
	v_sub_nc_u16 v188, v188, v144
	v_lshrrev_b32_e32 v144, 16, v144
	v_and_b32_e32 v27, 0x4040404, v27
	v_lshlrev_b16 v169, 8, v169
	v_and_b32_e32 v28, 0x4040404, v28
	v_or_b32_sdwa v167, v186, v167 dst_sel:DWORD dst_unused:UNUSED_PAD src0_sel:BYTE_0 src1_sel:DWORD
	v_sub_nc_u16 v144, v190, v144
	v_and_b32_e32 v190, 0x3030303, v170
	v_bfe_u32 v170, v170, 24, 2
	v_or_b32_sdwa v145, v145, v168 dst_sel:WORD_1 dst_unused:UNUSED_PAD src0_sel:BYTE_0 src1_sel:DWORD
	v_ashrrev_i32_e32 v29, s19, v29
	v_or_b32_sdwa v144, v144, v169 dst_sel:WORD_1 dst_unused:UNUSED_PAD src0_sel:BYTE_0 src1_sel:DWORD
	v_lshrrev_b16 v191, 8, v190
	s_and_b32 s24, s1, -16
	v_or_b32_sdwa v145, v167, v145 dst_sel:DWORD dst_unused:UNUSED_PAD src0_sel:WORD_0 src1_sel:DWORD
	v_lshlrev_b32_e32 v29, 2, v29
	s_add_i32 s21, s21, s24
	v_sub_nc_u16 v191, v191, v192
	v_lshrrev_b32_e32 v192, 24, v143
	v_lshlrev_b16 v168, 8, v189
	v_and_b32_e32 v29, 0x4040404, v29
	v_ashrrev_i32_e32 v30, s19, v30
	v_lshlrev_b16 v169, 8, v191
	v_sub_nc_u16 v170, v170, v192
	v_lshrrev_b32_e32 v192, 16, v190
	v_sub_nc_u16 v190, v190, v143
	v_lshrrev_b32_e32 v143, 16, v143
	v_or_b32_sdwa v168, v188, v168 dst_sel:DWORD dst_unused:UNUSED_PAD src0_sel:BYTE_0 src1_sel:DWORD
	v_lshlrev_b16 v170, 8, v170
	v_lshrrev_b16 v167, 8, v29
	v_or_b32_sdwa v169, v190, v169 dst_sel:DWORD dst_unused:UNUSED_PAD src0_sel:BYTE_0 src1_sel:DWORD
	v_sub_nc_u16 v143, v192, v143
	v_and_b32_e32 v192, 0x3030303, v171
	v_bfe_u32 v171, v171, 24, 2
	v_or_b32_sdwa v144, v168, v144 dst_sel:DWORD dst_unused:UNUSED_PAD src0_sel:WORD_0 src1_sel:DWORD
	v_lshlrev_b32_e32 v30, 2, v30
	v_or_b32_sdwa v143, v143, v170 dst_sel:WORD_1 dst_unused:UNUSED_PAD src0_sel:BYTE_0 src1_sel:DWORD
	v_lshrrev_b16 v193, 8, v192
	v_ashrrev_i32_e32 v31, s19, v31
	v_ashrrev_i32_e32 v32, s19, v32
	v_and_b32_e32 v30, 0x4040404, v30
	v_ashrrev_i32_e32 v33, s19, v33
	v_sub_nc_u16 v193, v193, v194
	v_lshrrev_b32_e32 v194, 24, v142
	v_lshlrev_b32_e32 v31, 2, v31
	v_lshlrev_b32_e32 v32, 2, v32
	v_ashrrev_i32_e32 v152, s22, v152
	v_lshlrev_b16 v170, 8, v193
	v_sub_nc_u16 v171, v171, v194
	v_lshrrev_b32_e32 v194, 16, v192
	v_sub_nc_u16 v192, v192, v142
	v_lshrrev_b32_e32 v142, 16, v142
	v_and_b32_e32 v31, 0x4040404, v31
	v_lshlrev_b16 v171, 8, v171
	v_and_b32_e32 v32, 0x4040404, v32
	v_or_b32_sdwa v170, v192, v170 dst_sel:DWORD dst_unused:UNUSED_PAD src0_sel:BYTE_0 src1_sel:DWORD
	v_sub_nc_u16 v142, v194, v142
	v_and_b32_e32 v194, 0x3030303, v150
	v_bfe_u32 v150, v150, 24, 2
	v_lshlrev_b32_e32 v33, 2, v33
	v_ashrrev_i32_e32 v34, s19, v34
	v_or_b32_sdwa v142, v142, v171 dst_sel:WORD_1 dst_unused:UNUSED_PAD src0_sel:BYTE_0 src1_sel:DWORD
	v_lshrrev_b16 v195, 8, v194
	v_ashrrev_i32_e32 v153, s22, v153
	v_and_b32_e32 v33, 0x4040404, v33
	v_lshlrev_b32_e32 v34, 2, v34
	v_ashrrev_i32_e32 v35, s19, v35
	v_sub_nc_u16 v195, v195, v196
	v_lshrrev_b32_e32 v196, 24, v141
	v_lshrrev_b16 v175, 8, v33
	v_and_b32_e32 v34, 0x4040404, v34
	v_lshlrev_b32_e32 v35, 2, v35
	v_lshlrev_b16 v171, 8, v195
	v_sub_nc_u16 v150, v150, v196
	v_lshrrev_b32_e32 v196, 16, v194
	v_sub_nc_u16 v194, v194, v141
	v_lshrrev_b32_e32 v141, 16, v141
	v_lshrrev_b16 v177, 8, v34
	v_lshlrev_b16 v150, 8, v150
	v_and_b32_e32 v35, 0x4040404, v35
	v_or_b32_sdwa v171, v194, v171 dst_sel:DWORD dst_unused:UNUSED_PAD src0_sel:BYTE_0 src1_sel:DWORD
	v_sub_nc_u16 v141, v196, v141
	v_and_b32_e32 v196, 0x3030303, v151
	v_bfe_u32 v151, v151, 24, 2
	v_lshrrev_b16 v179, 8, v35
	v_ashrrev_i32_e32 v36, s19, v36
	v_or_b32_sdwa v141, v141, v150 dst_sel:WORD_1 dst_unused:UNUSED_PAD src0_sel:BYTE_0 src1_sel:DWORD
	v_lshrrev_b16 v197, 8, v196
	v_ashrrev_i32_e32 v25, s19, v25
	v_ashrrev_i32_e32 v26, s19, v26
	v_lshlrev_b32_e32 v36, 2, v36
	v_ashrrev_i32_e32 v154, s22, v154
	v_sub_nc_u16 v197, v197, v198
	v_lshrrev_b32_e32 v198, 24, v140
	v_lshlrev_b32_e32 v25, 2, v25
	v_and_b32_e32 v36, 0x4040404, v36
	v_lshlrev_b32_e32 v26, 2, v26
	v_lshlrev_b16 v150, 8, v197
	v_sub_nc_u16 v151, v151, v198
	v_lshrrev_b32_e32 v198, 16, v196
	v_sub_nc_u16 v196, v196, v140
	v_lshrrev_b32_e32 v140, 16, v140
	v_lshrrev_b16 v181, 8, v36
	v_lshlrev_b16 v151, 8, v151
	v_and_b32_e32 v25, 0x4040404, v25
	v_or_b32_sdwa v150, v196, v150 dst_sel:DWORD dst_unused:UNUSED_PAD src0_sel:BYTE_0 src1_sel:DWORD
	v_sub_nc_u16 v140, v198, v140
	v_and_b32_e32 v198, 0x3030303, v172
	v_bfe_u32 v172, v172, 24, 2
	v_lshrrev_b16 v183, 8, v25
	v_and_b32_e32 v26, 0x4040404, v26
	v_or_b32_sdwa v140, v140, v151 dst_sel:WORD_1 dst_unused:UNUSED_PAD src0_sel:BYTE_0 src1_sel:DWORD
	v_lshrrev_b16 v199, 8, v198
	v_ashrrev_i32_e32 v155, s22, v155
	v_ashrrev_i32_e32 v37, s19, v37
	v_lshrrev_b16 v185, 8, v26
	v_or_b32_sdwa v150, v150, v140 dst_sel:DWORD dst_unused:UNUSED_PAD src0_sel:WORD_0 src1_sel:DWORD
	v_sub_nc_u16 v199, v199, v200
	v_lshrrev_b32_e32 v200, 24, v139
	v_lshlrev_b32_e32 v37, 2, v37
	v_ashrrev_i32_e32 v38, s19, v38
	s_add_i32 s1, s1, 2
	v_lshlrev_b16 v151, 8, v199
	v_sub_nc_u16 v172, v172, v200
	v_lshrrev_b32_e32 v200, 16, v198
	v_sub_nc_u16 v198, v198, v139
	v_lshrrev_b32_e32 v139, 16, v139
	v_and_b32_e32 v37, 0x4040404, v37
	v_lshlrev_b16 v172, 8, v172
	v_lshlrev_b32_e32 v38, 2, v38
	v_or_b32_sdwa v151, v198, v151 dst_sel:DWORD dst_unused:UNUSED_PAD src0_sel:BYTE_0 src1_sel:DWORD
	v_sub_nc_u16 v139, v200, v139
	v_and_b32_e32 v200, 0x3030303, v173
	v_bfe_u32 v173, v173, 24, 2
	v_lshrrev_b16 v191, 8, v37
	v_and_b32_e32 v38, 0x4040404, v38
	v_or_b32_sdwa v139, v139, v172 dst_sel:WORD_1 dst_unused:UNUSED_PAD src0_sel:BYTE_0 src1_sel:DWORD
	v_lshrrev_b16 v201, 8, v200
	v_lshrrev_b16 v193, 8, v38
	v_or_b32_sdwa v151, v151, v139 dst_sel:DWORD dst_unused:UNUSED_PAD src0_sel:WORD_0 src1_sel:DWORD
	v_sub_nc_u16 v201, v201, v202
	v_lshrrev_b32_e32 v202, 24, v137
	v_lshlrev_b16 v172, 8, v201
	v_sub_nc_u16 v173, v173, v202
	v_lshrrev_b32_e32 v202, 16, v200
	v_sub_nc_u16 v200, v200, v137
	v_lshrrev_b32_e32 v137, 16, v137
	v_lshlrev_b16 v173, 8, v173
	v_or_b32_sdwa v172, v200, v172 dst_sel:DWORD dst_unused:UNUSED_PAD src0_sel:BYTE_0 src1_sel:DWORD
	v_sub_nc_u16 v137, v202, v137
	v_and_b32_e32 v202, 0x3030303, v148
	v_bfe_u32 v148, v148, 24, 2
	v_or_b32_sdwa v137, v137, v173 dst_sel:WORD_1 dst_unused:UNUSED_PAD src0_sel:BYTE_0 src1_sel:DWORD
	v_lshrrev_b16 v203, 8, v202
	v_sub_nc_u16 v203, v203, v204
	v_lshrrev_b32_e32 v204, 24, v138
	v_lshlrev_b16 v173, 8, v203
	v_sub_nc_u16 v148, v148, v204
	v_lshrrev_b32_e32 v204, 16, v202
	v_sub_nc_u16 v202, v202, v138
	v_lshrrev_b32_e32 v138, 16, v138
	v_lshlrev_b16 v148, 8, v148
	v_or_b32_sdwa v173, v202, v173 dst_sel:DWORD dst_unused:UNUSED_PAD src0_sel:BYTE_0 src1_sel:DWORD
	v_sub_nc_u16 v138, v204, v138
	v_and_b32_e32 v204, 0x3030303, v149
	v_bfe_u32 v149, v149, 24, 2
	v_or_b32_sdwa v138, v138, v148 dst_sel:WORD_1 dst_unused:UNUSED_PAD src0_sel:BYTE_0 src1_sel:DWORD
	v_lshrrev_b16 v205, 8, v204
	v_or_b32_sdwa v165, v173, v138 dst_sel:DWORD dst_unused:UNUSED_PAD src0_sel:WORD_0 src1_sel:DWORD
	v_sub_nc_u16 v205, v205, v206
	v_lshrrev_b32_e32 v206, 24, v136
	v_lshrrev_b16 v173, 8, v32
	v_lshlrev_b16 v148, 8, v205
	v_sub_nc_u16 v149, v149, v206
	v_lshrrev_b32_e32 v206, 16, v204
	v_sub_nc_u16 v204, v204, v136
	v_lshrrev_b32_e32 v136, 16, v136
	v_lshlrev_b16 v149, 8, v149
	v_or_b32_sdwa v148, v204, v148 dst_sel:DWORD dst_unused:UNUSED_PAD src0_sel:BYTE_0 src1_sel:DWORD
	v_sub_nc_u16 v136, v206, v136
	v_or_b32_sdwa v136, v136, v149 dst_sel:WORD_1 dst_unused:UNUSED_PAD src0_sel:BYTE_0 src1_sel:DWORD
	v_or_b32_sdwa v149, v174, v158 dst_sel:DWORD dst_unused:UNUSED_PAD src0_sel:WORD_0 src1_sel:DWORD
	v_or_b32_sdwa v158, v162, v159 dst_sel:DWORD dst_unused:UNUSED_PAD src0_sel:WORD_0 src1_sel:DWORD
	;; [unrolled: 1-line block ×9, first 2 shown]
	ds_read_b128 v[136:139], v131
	ds_read_b128 v[140:143], v131 offset:16
	v_lshrrev_b16 v169, 8, v30
	v_lshrrev_b16 v171, 8, v31
	v_add_nc_u32_e32 v131, 32, v131
	s_waitcnt lgkmcnt(1)
	v_dot4c_i32_i8 v166, v149, v136
	v_mov_b32_e32 v149, 0
	v_dot4c_i32_i8 v166, v158, v137
	v_dot4c_i32_i8 v149, v147, v136
	v_mov_b32_e32 v147, 0
	v_dot4c_i32_i8 v166, v159, v138
	v_dot4c_i32_i8 v149, v146, v137
	;; [unrolled: 1-line block ×3, first 2 shown]
	v_mov_b32_e32 v161, 0
	v_dot4c_i32_i8 v166, v160, v139
	v_dot4c_i32_i8 v149, v145, v138
	;; [unrolled: 1-line block ×4, first 2 shown]
	v_ashrrev_i32_e32 v136, s22, v21
	v_lshrrev_b16 v162, 8, v27
	v_add_nc_u32_e32 v21, s21, v89
	v_dot4c_i32_i8 v147, v163, v138
	v_dot4c_i32_i8 v161, v164, v137
	v_and_b32_e32 v159, 0x3030303, v136
	v_bfe_u32 v136, v136, 24, 2
	v_ashrrev_i32_e32 v137, s22, v22
	v_lshrrev_b16 v164, 8, v28
	v_dot4c_i32_i8 v161, v165, v138
	v_lshrrev_b16 v160, 8, v159
	v_ashrrev_i32_e32 v138, s22, v23
	ds_read_u16 v146, v21 offset:26354
	v_add3_u32 v21, s23, v117, v118
	v_dot4c_i32_i8 v161, v148, v139
	v_sub_nc_u16 v160, v160, v162
	v_lshrrev_b32_e32 v162, 24, v27
	v_add_nc_u32_e32 v23, 0x1098, v133
	ds_read_b32 v148, v21
	v_add_nc_u32_e32 v21, 0x1090, v133
	v_dot4c_i32_i8 v149, v144, v139
	v_sub_nc_u16 v136, v136, v162
	v_lshrrev_b32_e32 v162, 16, v159
	v_sub_nc_u16 v159, v159, v27
	v_lshrrev_b32_e32 v27, 16, v27
	v_dot4c_i32_i8 v147, v150, v139
	v_ashrrev_i32_e32 v139, s22, v24
	ds_read2_b32 v[21:22], v21 offset1:1
	ds_read2_b32 v[23:24], v23 offset1:1
	v_ashrrev_i32_e32 v144, s19, v156
	v_sub_nc_u16 v27, v162, v27
	v_and_b32_e32 v162, 0x3030303, v137
	v_bfe_u32 v137, v137, 24, 2
	v_ashrrev_i32_e32 v145, s19, v157
	v_lshlrev_b32_e32 v144, 2, v144
	v_lshlrev_b16 v160, 8, v160
	v_lshrrev_b16 v163, 8, v162
	v_lshlrev_b16 v136, 8, v136
	v_lshlrev_b32_e32 v145, 2, v145
	v_and_b32_e32 v144, 0x4040404, v144
	v_or_b32_sdwa v159, v159, v160 dst_sel:DWORD dst_unused:UNUSED_PAD src0_sel:BYTE_0 src1_sel:DWORD
	v_sub_nc_u16 v163, v163, v164
	v_lshrrev_b32_e32 v164, 24, v28
	v_and_b32_e32 v145, 0x4040404, v145
	v_lshrrev_b16 v187, 8, v144
	v_or_b32_sdwa v27, v27, v136 dst_sel:WORD_1 dst_unused:UNUSED_PAD src0_sel:BYTE_0 src1_sel:DWORD
	v_lshlrev_b16 v136, 8, v163
	v_sub_nc_u16 v137, v137, v164
	v_lshrrev_b32_e32 v164, 16, v162
	v_sub_nc_u16 v162, v162, v28
	v_lshrrev_b32_e32 v28, 16, v28
	s_waitcnt lgkmcnt(1)
	v_ashrrev_i32_e32 v150, s22, v21
	v_ashrrev_i32_e32 v151, s22, v22
	v_add_nc_u32_e32 v22, s21, v87
	s_waitcnt lgkmcnt(0)
	v_ashrrev_i32_e32 v156, s22, v23
	v_sub_nc_u16 v28, v164, v28
	v_and_b32_e32 v164, 0x3030303, v138
	v_bfe_u32 v138, v138, 24, 2
	v_add_nc_u32_e32 v21, 0x3190, v133
	v_add_nc_u32_e32 v23, 0x3198, v133
	ds_read_u16 v133, v22 offset:28402
	v_lshrrev_b16 v165, 8, v164
	v_add3_u32 v22, s23, v125, v126
	v_ashrrev_i32_e32 v157, s22, v24
	ds_read_b32 v158, v22
	ds_read2_b32 v[21:22], v21 offset1:1
	ds_read2_b32 v[23:24], v23 offset1:1
	v_sub_nc_u16 v165, v165, v167
	v_lshrrev_b32_e32 v167, 24, v29
	v_lshrrev_b16 v189, 8, v145
	v_or_b32_sdwa v27, v159, v27 dst_sel:DWORD dst_unused:UNUSED_PAD src0_sel:WORD_0 src1_sel:DWORD
	v_lshlrev_b16 v137, 8, v137
	v_or_b32_sdwa v136, v162, v136 dst_sel:DWORD dst_unused:UNUSED_PAD src0_sel:BYTE_0 src1_sel:DWORD
	v_sub_nc_u16 v138, v138, v167
	v_lshrrev_b32_e32 v167, 16, v164
	v_sub_nc_u16 v164, v164, v29
	v_lshrrev_b32_e32 v29, 16, v29
	v_or_b32_sdwa v28, v28, v137 dst_sel:WORD_1 dst_unused:UNUSED_PAD src0_sel:BYTE_0 src1_sel:DWORD
	v_lshlrev_b16 v137, 8, v165
	v_lshlrev_b16 v138, 8, v138
	s_add_i32 s19, s19, 1
	v_sub_nc_u16 v29, v167, v29
	v_and_b32_e32 v167, 0x3030303, v139
	v_bfe_u32 v139, v139, 24, 2
	v_or_b32_sdwa v28, v136, v28 dst_sel:DWORD dst_unused:UNUSED_PAD src0_sel:WORD_0 src1_sel:DWORD
	s_waitcnt lgkmcnt(1)
	v_ashrrev_i32_e32 v21, s22, v21
	v_ashrrev_i32_e32 v22, s22, v22
	v_lshrrev_b16 v168, 8, v167
	s_waitcnt lgkmcnt(0)
	v_ashrrev_i32_e32 v23, s22, v23
	v_ashrrev_i32_e32 v24, s22, v24
	v_mov_b32_e32 v136, 0
	v_or_b32_sdwa v137, v164, v137 dst_sel:DWORD dst_unused:UNUSED_PAD src0_sel:BYTE_0 src1_sel:DWORD
	v_sub_nc_u16 v168, v168, v169
	v_lshrrev_b32_e32 v169, 24, v30
	v_or_b32_sdwa v29, v29, v138 dst_sel:WORD_1 dst_unused:UNUSED_PAD src0_sel:BYTE_0 src1_sel:DWORD
	s_cmp_lt_u32 s20, 22
	v_lshlrev_b16 v138, 8, v168
	v_sub_nc_u16 v139, v139, v169
	v_lshrrev_b32_e32 v169, 16, v167
	v_sub_nc_u16 v167, v167, v30
	v_lshrrev_b32_e32 v30, 16, v30
	v_or_b32_sdwa v29, v137, v29 dst_sel:DWORD dst_unused:UNUSED_PAD src0_sel:WORD_0 src1_sel:DWORD
	v_lshlrev_b16 v139, 8, v139
	v_or_b32_sdwa v138, v167, v138 dst_sel:DWORD dst_unused:UNUSED_PAD src0_sel:BYTE_0 src1_sel:DWORD
	v_sub_nc_u16 v30, v169, v30
	v_and_b32_e32 v169, 0x3030303, v150
	v_bfe_u32 v150, v150, 24, 2
	v_or_b32_sdwa v30, v30, v139 dst_sel:WORD_1 dst_unused:UNUSED_PAD src0_sel:BYTE_0 src1_sel:DWORD
	v_lshrrev_b16 v170, 8, v169
	v_or_b32_sdwa v30, v138, v30 dst_sel:DWORD dst_unused:UNUSED_PAD src0_sel:WORD_0 src1_sel:DWORD
	v_sub_nc_u16 v170, v170, v171
	v_lshrrev_b32_e32 v171, 24, v31
	v_lshlrev_b16 v139, 8, v170
	v_sub_nc_u16 v150, v150, v171
	v_lshrrev_b32_e32 v171, 16, v169
	v_sub_nc_u16 v169, v169, v31
	v_lshrrev_b32_e32 v31, 16, v31
	v_lshlrev_b16 v150, 8, v150
	v_or_b32_sdwa v139, v169, v139 dst_sel:DWORD dst_unused:UNUSED_PAD src0_sel:BYTE_0 src1_sel:DWORD
	v_sub_nc_u16 v31, v171, v31
	v_and_b32_e32 v171, 0x3030303, v151
	v_bfe_u32 v151, v151, 24, 2
	v_or_b32_sdwa v31, v31, v150 dst_sel:WORD_1 dst_unused:UNUSED_PAD src0_sel:BYTE_0 src1_sel:DWORD
	v_lshrrev_b16 v172, 8, v171
	v_or_b32_sdwa v31, v139, v31 dst_sel:DWORD dst_unused:UNUSED_PAD src0_sel:WORD_0 src1_sel:DWORD
	v_sub_nc_u16 v172, v172, v173
	v_lshrrev_b32_e32 v173, 24, v32
	v_lshlrev_b16 v150, 8, v172
	v_sub_nc_u16 v151, v151, v173
	v_lshrrev_b32_e32 v173, 16, v171
	v_sub_nc_u16 v171, v171, v32
	v_lshrrev_b32_e32 v32, 16, v32
	;; [unrolled: 15-line block ×3, first 2 shown]
	v_lshlrev_b16 v152, 8, v152
	v_or_b32_sdwa v151, v173, v151 dst_sel:DWORD dst_unused:UNUSED_PAD src0_sel:BYTE_0 src1_sel:DWORD
	v_sub_nc_u16 v33, v175, v33
	v_and_b32_e32 v175, 0x3030303, v153
	v_bfe_u32 v153, v153, 24, 2
	v_or_b32_sdwa v33, v33, v152 dst_sel:WORD_1 dst_unused:UNUSED_PAD src0_sel:BYTE_0 src1_sel:DWORD
	v_lshrrev_b16 v176, 8, v175
	v_or_b32_sdwa v33, v151, v33 dst_sel:DWORD dst_unused:UNUSED_PAD src0_sel:WORD_0 src1_sel:DWORD
	v_sub_nc_u16 v176, v176, v177
	v_lshrrev_b32_e32 v177, 24, v34
	v_dot4c_i32_i8 v136, v33, v140
	v_lshlrev_b16 v152, 8, v176
	v_sub_nc_u16 v153, v153, v177
	v_lshrrev_b32_e32 v177, 16, v175
	v_sub_nc_u16 v175, v175, v34
	v_lshrrev_b32_e32 v34, 16, v34
	v_lshlrev_b16 v153, 8, v153
	v_or_b32_sdwa v152, v175, v152 dst_sel:DWORD dst_unused:UNUSED_PAD src0_sel:BYTE_0 src1_sel:DWORD
	v_sub_nc_u16 v34, v177, v34
	v_and_b32_e32 v177, 0x3030303, v21
	v_bfe_u32 v21, v21, 24, 2
	v_or_b32_sdwa v34, v34, v153 dst_sel:WORD_1 dst_unused:UNUSED_PAD src0_sel:BYTE_0 src1_sel:DWORD
	v_lshrrev_b16 v178, 8, v177
	v_or_b32_sdwa v34, v152, v34 dst_sel:DWORD dst_unused:UNUSED_PAD src0_sel:WORD_0 src1_sel:DWORD
	v_sub_nc_u16 v178, v178, v179
	v_lshrrev_b32_e32 v179, 24, v35
	v_dot4c_i32_i8 v136, v34, v141
	v_lshlrev_b16 v153, 8, v178
	v_sub_nc_u16 v21, v21, v179
	v_lshrrev_b32_e32 v179, 16, v177
	v_sub_nc_u16 v177, v177, v35
	v_lshrrev_b32_e32 v35, 16, v35
	v_lshlrev_b16 v21, 8, v21
	v_or_b32_sdwa v153, v177, v153 dst_sel:DWORD dst_unused:UNUSED_PAD src0_sel:BYTE_0 src1_sel:DWORD
	v_sub_nc_u16 v35, v179, v35
	v_and_b32_e32 v179, 0x3030303, v22
	v_bfe_u32 v22, v22, 24, 2
	v_or_b32_sdwa v21, v35, v21 dst_sel:WORD_1 dst_unused:UNUSED_PAD src0_sel:BYTE_0 src1_sel:DWORD
	v_lshrrev_b16 v180, 8, v179
	v_or_b32_sdwa v21, v153, v21 dst_sel:DWORD dst_unused:UNUSED_PAD src0_sel:WORD_0 src1_sel:DWORD
	v_sub_nc_u16 v180, v180, v181
	v_lshrrev_b32_e32 v181, 24, v36
	v_lshlrev_b16 v35, 8, v180
	v_sub_nc_u16 v22, v22, v181
	v_lshrrev_b32_e32 v181, 16, v179
	v_sub_nc_u16 v179, v179, v36
	v_lshrrev_b32_e32 v36, 16, v36
	v_lshlrev_b16 v22, 8, v22
	v_or_b32_sdwa v35, v179, v35 dst_sel:DWORD dst_unused:UNUSED_PAD src0_sel:BYTE_0 src1_sel:DWORD
	v_sub_nc_u16 v36, v181, v36
	v_and_b32_e32 v181, 0x3030303, v156
	v_bfe_u32 v156, v156, 24, 2
	v_or_b32_sdwa v22, v36, v22 dst_sel:WORD_1 dst_unused:UNUSED_PAD src0_sel:BYTE_0 src1_sel:DWORD
	v_lshrrev_b16 v182, 8, v181
	v_or_b32_sdwa v22, v35, v22 dst_sel:DWORD dst_unused:UNUSED_PAD src0_sel:WORD_0 src1_sel:DWORD
	v_sub_nc_u16 v182, v182, v183
	v_lshrrev_b32_e32 v183, 24, v25
	;; [unrolled: 15-line block ×5, first 2 shown]
	v_dot4c_i32_i8 v136, v35, v142
	v_lshlrev_b16 v154, 8, v188
	v_sub_nc_u16 v155, v155, v189
	v_lshrrev_b32_e32 v189, 16, v187
	v_sub_nc_u16 v187, v187, v145
	v_lshrrev_b32_e32 v145, 16, v145
	v_lshlrev_b16 v155, 8, v155
	v_or_b32_sdwa v154, v187, v154 dst_sel:DWORD dst_unused:UNUSED_PAD src0_sel:BYTE_0 src1_sel:DWORD
	v_sub_nc_u16 v145, v189, v145
	v_and_b32_e32 v189, 0x3030303, v23
	v_bfe_u32 v23, v23, 24, 2
	v_or_b32_sdwa v145, v145, v155 dst_sel:WORD_1 dst_unused:UNUSED_PAD src0_sel:BYTE_0 src1_sel:DWORD
	v_lshrrev_b16 v190, 8, v189
	v_or_b32_sdwa v36, v154, v145 dst_sel:DWORD dst_unused:UNUSED_PAD src0_sel:WORD_0 src1_sel:DWORD
	v_sub_nc_u16 v190, v190, v191
	v_lshrrev_b32_e32 v191, 24, v37
	v_dot4c_i32_i8 v136, v36, v143
	v_lshlrev_b16 v155, 8, v190
	v_sub_nc_u16 v23, v23, v191
	v_lshrrev_b32_e32 v191, 16, v189
	v_sub_nc_u16 v189, v189, v37
	v_lshrrev_b32_e32 v37, 16, v37
	v_lshlrev_b16 v23, 8, v23
	v_or_b32_sdwa v155, v189, v155 dst_sel:DWORD dst_unused:UNUSED_PAD src0_sel:BYTE_0 src1_sel:DWORD
	v_sub_nc_u16 v37, v191, v37
	v_and_b32_e32 v191, 0x3030303, v24
	v_bfe_u32 v24, v24, 24, 2
	v_or_b32_sdwa v23, v37, v23 dst_sel:WORD_1 dst_unused:UNUSED_PAD src0_sel:BYTE_0 src1_sel:DWORD
	v_lshrrev_b16 v192, 8, v191
	v_or_b32_sdwa v23, v155, v23 dst_sel:DWORD dst_unused:UNUSED_PAD src0_sel:WORD_0 src1_sel:DWORD
	v_sub_nc_u16 v192, v192, v193
	v_lshrrev_b32_e32 v193, 24, v38
	v_lshlrev_b16 v37, 8, v192
	v_sub_nc_u16 v24, v24, v193
	v_lshrrev_b32_e32 v193, 16, v191
	v_sub_nc_u16 v191, v191, v38
	v_lshrrev_b32_e32 v38, 16, v38
	v_lshlrev_b16 v24, 8, v24
	v_or_b32_sdwa v37, v191, v37 dst_sel:DWORD dst_unused:UNUSED_PAD src0_sel:BYTE_0 src1_sel:DWORD
	v_sub_nc_u16 v38, v193, v38
	v_or_b32_sdwa v24, v38, v24 dst_sel:WORD_1 dst_unused:UNUSED_PAD src0_sel:BYTE_0 src1_sel:DWORD
	v_mov_b32_e32 v38, 0
	v_or_b32_sdwa v24, v37, v24 dst_sel:DWORD dst_unused:UNUSED_PAD src0_sel:WORD_0 src1_sel:DWORD
	v_mov_b32_e32 v37, 0
	v_dot4c_i32_i8 v38, v27, v140
	v_add_nc_u32_e32 v27, s21, v90
	v_dot4c_i32_i8 v37, v31, v140
	v_mov_b32_e32 v31, 0
	v_dot4c_i32_i8 v38, v28, v141
	v_dot4c_i32_i8 v37, v32, v141
	v_dot4c_i32_i8 v31, v21, v140
	v_add_nc_u32_e32 v21, s21, v88
	ds_read_u16 v27, v27 offset:25330
	ds_read_u16 v21, v21 offset:27378
	v_dot4c_i32_i8 v31, v22, v141
	v_bfe_i32 v22, v146, 0, 8
	v_dot4c_i32_i8 v38, v29, v142
	v_lshrrev_b16 v29, 8, v133
	v_bfe_i32 v133, v133, 0, 8
	v_dot4c_i32_i8 v31, v23, v142
	v_mul_lo_u32 v22, v149, v22
	v_dot4c_i32_i8 v37, v25, v142
	v_dot4c_i32_i8 v38, v30, v143
	ds_read_b32 v33, v132
	v_dot4c_i32_i8 v31, v24, v143
	v_mul_lo_u32 v24, v161, v133
	v_dot4c_i32_i8 v37, v26, v143
	v_bfe_i32 v29, v29, 0, 8
	v_add_nc_u32_e32 v132, 4, v132
	s_mov_b32 s21, s20
	s_waitcnt lgkmcnt(2)
	v_lshrrev_b16 v28, 8, v27
	v_bfe_i32 v27, v27, 0, 8
	s_waitcnt lgkmcnt(1)
	v_lshrrev_b16 v32, 8, v21
	v_bfe_i32 v34, v21, 0, 8
	v_lshrrev_b16 v21, 8, v146
	v_bfe_i32 v28, v28, 0, 8
	v_bfe_i32 v32, v32, 0, 8
	v_mul_lo_u32 v23, v147, v34
	v_bfe_i32 v137, v21, 0, 8
	v_mul_lo_u32 v21, v166, v27
	v_mad_u64_u32 v[25:26], null, v38, v28, v[21:22]
	v_mad_u64_u32 v[26:27], null, v37, v137, v[22:23]
	;; [unrolled: 1-line block ×3, first 2 shown]
	s_waitcnt lgkmcnt(0)
	v_mul_f32_e32 v21, v33, v135
	v_mul_f32_e32 v22, v33, v148
	v_mad_u64_u32 v[28:29], null, v31, v29, v[24:25]
	v_mul_f32_e32 v23, v33, v134
	v_mul_f32_e32 v24, v33, v158
	v_cvt_f32_i32_e32 v25, v25
	v_cvt_f32_i32_e32 v26, v26
	;; [unrolled: 1-line block ×4, first 2 shown]
	v_fmac_f32_e32 v40, v21, v25
	v_fmac_f32_e32 v86, v22, v26
	;; [unrolled: 1-line block ×4, first 2 shown]
	s_cbranch_scc1 .LBB230_27
; %bb.28:                               ;   in Loop: Header=BB230_5 Depth=1
	s_or_b32 s1, s4, 0x180
	s_cmp_ge_i32 s1, s9
	s_barrier
	buffer_gl0_inv
	s_cbranch_scc1 .LBB230_4
; %bb.29:                               ;   in Loop: Header=BB230_5 Depth=1
	v_add_nc_u32_e32 v21, s5, v98
	v_cmp_gt_i32_e64 s1, s8, v21
	s_and_b32 s4, s0, s1
	s_and_saveexec_b32 s1, s4
	s_cbranch_execz .LBB230_31
; %bb.30:                               ;   in Loop: Header=BB230_5 Depth=1
	v_add_nc_u32_e32 v21, v99, v21
	v_mad_i64_i32 v[21:22], null, v21, 36, v[19:20]
	global_load_dword v21, v[21:22], off offset:4
	s_waitcnt vmcnt(0)
	ds_write_b32 v83, v21
.LBB230_31:                             ;   in Loop: Header=BB230_5 Depth=1
	s_or_b32 exec_lo, exec_lo, s1
	s_and_saveexec_b32 s4, vcc_lo
	s_cbranch_execz .LBB230_34
; %bb.32:                               ;   in Loop: Header=BB230_5 Depth=1
	v_or_b32_e32 v21, 12, v130
	v_cmp_gt_i32_e64 s1, s8, v21
	s_and_b32 s1, s0, s1
	s_and_b32 exec_lo, exec_lo, s1
	s_cbranch_execz .LBB230_34
; %bb.33:                               ;   in Loop: Header=BB230_5 Depth=1
	v_ashrrev_i32_e32 v21, 31, v130
	v_add_co_u32 v22, s1, v99, v130
	v_add_co_ci_u32_e64 v23, null, v103, v21, s1
	v_mad_u64_u32 v[21:22], null, v22, 36, s[2:3]
	v_mad_i32_i24 v22, v23, 36, v22
	global_load_dword v21, v[21:22], off offset:432
	s_waitcnt vmcnt(0)
	v_cvt_f32_f16_e32 v21, v21
	ds_write_b32 v85, v21
.LBB230_34:                             ;   in Loop: Header=BB230_5 Depth=1
	s_or_b32 exec_lo, exec_lo, s4
	v_mov_b32_e32 v130, v1
	v_mov_b32_e32 v131, v84
	s_mov_b32 s1, 24
	s_mov_b32 s19, 22
	;; [unrolled: 1-line block ×3, first 2 shown]
	s_waitcnt lgkmcnt(0)
	s_barrier
	buffer_gl0_inv
.LBB230_35:                             ;   Parent Loop BB230_5 Depth=1
                                        ; =>  This Inner Loop Header: Depth=2
	s_add_i32 s5, s19, 2
	s_sub_i32 s20, s19, 22
	s_lshr_b32 s21, s5, 4
	s_and_b32 s22, s5, 0x3ffffff8
	s_lshl_b32 s23, s21, 5
	v_lshl_add_u32 v132, s22, 2, v101
	s_add_i32 s22, s23, 0x4200
	s_lshl_b32 s21, s21, 2
	v_add3_u32 v25, s22, v127, v114
	v_add3_u32 v26, s22, v115, v116
	;; [unrolled: 1-line block ×3, first 2 shown]
	v_add_nc_u32_e32 v38, 0x1080, v132
	ds_read2_b32 v[35:36], v132 offset1:1
	ds_read2_b32 v[33:34], v132 offset0:2 offset1:3
	ds_read2_b32 v[21:22], v132 offset0:4 offset1:5
	;; [unrolled: 1-line block ×3, first 2 shown]
	ds_read2_b32 v[134:135], v25 offset1:1
	ds_read2_b32 v[136:137], v25 offset0:2 offset1:3
	ds_read2_b32 v[138:139], v26 offset1:1
	ds_read2_b32 v[140:141], v26 offset0:2 offset1:3
	ds_read2_b32 v[147:148], v133 offset0:2 offset1:3
	;; [unrolled: 1-line block ×5, first 2 shown]
	ds_read2_b32 v[149:150], v38 offset1:1
	ds_read2_b32 v[25:26], v26 offset0:6 offset1:7
	v_add_nc_u32_e32 v37, 0x2100, v132
	s_addk_i32 s21, 0x7380
	v_add_nc_u32_e32 v153, 0x2118, v132
	s_waitcnt lgkmcnt(13)
	v_ashrrev_i32_e32 v157, s20, v35
	v_ashrrev_i32_e32 v158, s20, v36
	s_waitcnt lgkmcnt(12)
	v_ashrrev_i32_e32 v159, s20, v33
	v_ashrrev_i32_e32 v160, s20, v34
	s_waitcnt lgkmcnt(9)
	v_ashrrev_i32_e32 v161, s4, v134
	v_and_b32_e32 v173, 0x3030303, v157
	v_ashrrev_i32_e32 v162, s4, v135
	v_bfe_u32 v157, v157, 24, 2
	ds_read2_b32 v[33:34], v133 offset0:4 offset1:5
	ds_read2_b32 v[151:152], v37 offset1:1
	ds_read2_b32 v[35:36], v133 offset1:1
	v_lshlrev_b32_e32 v161, 2, v161
	v_lshrrev_b16 v174, 8, v173
	v_lshlrev_b32_e32 v162, 2, v162
	s_waitcnt lgkmcnt(11)
	v_ashrrev_i32_e32 v163, s4, v136
	v_add3_u32 v37, s22, v123, v124
	v_and_b32_e32 v161, 0x4040404, v161
	v_ashrrev_i32_e32 v164, s4, v137
	v_and_b32_e32 v162, 0x4040404, v162
	v_lshlrev_b32_e32 v163, 2, v163
	s_waitcnt lgkmcnt(10)
	v_ashrrev_i32_e32 v145, s4, v139
	v_lshrrev_b16 v175, 8, v161
	s_waitcnt lgkmcnt(9)
	v_ashrrev_i32_e32 v144, s4, v140
	v_lshrrev_b16 v177, 8, v162
	v_and_b32_e32 v163, 0x4040404, v163
	v_ashrrev_i32_e32 v143, s4, v141
	v_sub_nc_u16 v174, v174, v175
	v_lshrrev_b32_e32 v175, 24, v161
	s_waitcnt lgkmcnt(8)
	v_ashrrev_i32_e32 v140, s4, v147
	v_lshrrev_b16 v179, 8, v163
	s_waitcnt lgkmcnt(0)
	v_ashrrev_i32_e32 v142, s4, v35
	v_add_nc_u32_e32 v35, 0x3180, v132
	v_sub_nc_u16 v157, v157, v175
	v_lshrrev_b32_e32 v175, 16, v173
	v_sub_nc_u16 v173, v173, v161
	v_lshrrev_b32_e32 v161, 16, v161
	v_ashrrev_i32_e32 v141, s4, v36
	v_ashrrev_i32_e32 v139, s4, v148
	ds_read2_b32 v[147:148], v35 offset1:1
	ds_read2_b32 v[35:36], v37 offset1:1
	v_lshlrev_b32_e32 v164, 2, v164
	v_sub_nc_u16 v161, v175, v161
	v_and_b32_e32 v175, 0x3030303, v158
	v_bfe_u32 v158, v158, 24, 2
	v_ashrrev_i32_e32 v146, s4, v138
	v_and_b32_e32 v164, 0x4040404, v164
	v_ashrrev_i32_e32 v165, s20, v149
	v_lshrrev_b16 v176, 8, v175
	v_add_nc_u32_e32 v149, 0x1088, v132
	v_lshlrev_b32_e32 v146, 2, v146
	v_lshrrev_b16 v181, 8, v164
	v_ashrrev_i32_e32 v166, s20, v150
	v_sub_nc_u16 v176, v176, v177
	v_lshrrev_b32_e32 v177, 24, v162
	v_and_b32_e32 v146, 0x4040404, v146
	v_lshlrev_b32_e32 v145, 2, v145
	v_lshlrev_b32_e32 v144, 2, v144
	;; [unrolled: 1-line block ×3, first 2 shown]
	v_sub_nc_u16 v158, v158, v177
	v_lshrrev_b32_e32 v177, 16, v175
	v_sub_nc_u16 v175, v175, v162
	v_lshrrev_b32_e32 v162, 16, v162
	s_waitcnt lgkmcnt(0)
	v_ashrrev_i32_e32 v138, s4, v35
	v_ashrrev_i32_e32 v136, s4, v36
	ds_read2_b32 v[134:135], v37 offset0:2 offset1:3
	ds_read2_b32 v[35:36], v37 offset0:4 offset1:5
	;; [unrolled: 1-line block ×3, first 2 shown]
	v_lshrrev_b16 v183, 8, v146
	v_sub_nc_u16 v162, v177, v162
	v_and_b32_e32 v177, 0x3030303, v159
	v_bfe_u32 v159, v159, 24, 2
	ds_read2_b32 v[149:150], v149 offset1:1
	v_and_b32_e32 v145, 0x4040404, v145
	v_and_b32_e32 v144, 0x4040404, v144
	v_lshrrev_b16 v178, 8, v177
	v_and_b32_e32 v143, 0x4040404, v143
	v_ashrrev_i32_e32 v169, s20, v151
	v_lshrrev_b16 v185, 8, v145
	v_lshrrev_b16 v187, 8, v144
	v_sub_nc_u16 v178, v178, v179
	v_lshrrev_b32_e32 v179, 24, v163
	v_lshrrev_b16 v189, 8, v143
	v_lshlrev_b32_e32 v142, 2, v142
	v_add_nc_u32_e32 v151, 0x2110, v132
	s_waitcnt lgkmcnt(3)
	v_ashrrev_i32_e32 v137, s4, v134
	v_sub_nc_u16 v159, v159, v179
	v_lshrrev_b32_e32 v179, 16, v177
	v_sub_nc_u16 v177, v177, v163
	v_lshrrev_b32_e32 v163, 16, v163
	v_add3_u32 v134, s21, v128, v129
	v_and_b32_e32 v142, 0x4040404, v142
	s_waitcnt lgkmcnt(0)
	v_ashrrev_i32_e32 v167, s20, v149
	v_ashrrev_i32_e32 v168, s20, v150
	v_sub_nc_u16 v163, v179, v163
	v_and_b32_e32 v179, 0x3030303, v160
	v_bfe_u32 v160, v160, 24, 2
	ds_read_b32 v134, v134
	v_lshrrev_b16 v191, 8, v142
	v_add_nc_u32_e32 v149, 0x2108, v132
	v_lshrrev_b16 v180, 8, v179
	v_ashrrev_i32_e32 v170, s20, v152
	v_lshlrev_b32_e32 v141, 2, v141
	ds_read2_b32 v[149:150], v149 offset1:1
	ds_read2_b32 v[151:152], v151 offset1:1
	;; [unrolled: 1-line block ×3, first 2 shown]
	ds_read2_b32 v[155:156], v133 offset0:6 offset1:7
	v_sub_nc_u16 v180, v180, v181
	v_lshrrev_b32_e32 v181, 24, v164
	v_and_b32_e32 v141, 0x4040404, v141
	v_lshlrev_b32_e32 v140, 2, v140
	v_lshlrev_b32_e32 v139, 2, v139
	v_ashrrev_i32_e32 v171, s20, v147
	v_sub_nc_u16 v160, v160, v181
	v_lshrrev_b32_e32 v181, 16, v179
	v_sub_nc_u16 v179, v179, v164
	v_lshrrev_b32_e32 v164, 16, v164
	v_lshrrev_b16 v193, 8, v141
	v_and_b32_e32 v140, 0x4040404, v140
	v_and_b32_e32 v139, 0x4040404, v139
	v_lshlrev_b32_e32 v138, 2, v138
	v_sub_nc_u16 v164, v181, v164
	v_and_b32_e32 v181, 0x3030303, v165
	v_bfe_u32 v165, v165, 24, 2
	s_waitcnt lgkmcnt(3)
	v_ashrrev_i32_e32 v149, s20, v149
	v_lshrrev_b16 v195, 8, v140
	v_ashrrev_i32_e32 v150, s20, v150
	v_lshrrev_b16 v182, 8, v181
	v_lshrrev_b16 v197, 8, v139
	v_and_b32_e32 v138, 0x4040404, v138
	v_add3_u32 v133, s21, v121, v122
	v_add_nc_u32_e32 v147, 0x3188, v132
	v_sub_nc_u16 v182, v182, v183
	v_lshrrev_b32_e32 v183, 24, v146
	v_lshrrev_b16 v199, 8, v138
	ds_read_b32 v133, v133
	v_ashrrev_i32_e32 v172, s20, v148
	ds_read2_b32 v[147:148], v147 offset1:1
	v_sub_nc_u16 v165, v165, v183
	v_lshrrev_b32_e32 v183, 16, v181
	v_sub_nc_u16 v181, v181, v146
	v_lshrrev_b32_e32 v146, 16, v146
	v_lshlrev_b32_e32 v136, 2, v136
	v_lshlrev_b32_e32 v137, 2, v137
	v_ashrrev_i32_e32 v135, s4, v135
	v_lshlrev_b16 v157, 8, v157
	v_sub_nc_u16 v146, v183, v146
	v_and_b32_e32 v183, 0x3030303, v166
	v_bfe_u32 v166, v166, 24, 2
	v_and_b32_e32 v136, 0x4040404, v136
	v_and_b32_e32 v137, 0x4040404, v137
	v_lshlrev_b32_e32 v135, 2, v135
	v_lshrrev_b16 v184, 8, v183
	v_lshlrev_b16 v158, 8, v158
	v_lshrrev_b16 v201, 8, v136
	v_lshrrev_b16 v203, 8, v137
	v_and_b32_e32 v135, 0x4040404, v135
	v_sub_nc_u16 v184, v184, v185
	v_lshrrev_b32_e32 v185, 24, v145
	s_waitcnt lgkmcnt(0)
	v_ashrrev_i32_e32 v147, s20, v147
	v_ashrrev_i32_e32 v148, s20, v148
	v_lshrrev_b16 v205, 8, v135
	v_lshlrev_b16 v159, 8, v159
	v_sub_nc_u16 v166, v166, v185
	v_lshrrev_b32_e32 v185, 16, v183
	v_sub_nc_u16 v183, v183, v145
	v_lshrrev_b32_e32 v145, 16, v145
	v_lshlrev_b16 v160, 8, v160
	v_lshlrev_b16 v174, 8, v174
	v_or_b32_sdwa v157, v161, v157 dst_sel:WORD_1 dst_unused:UNUSED_PAD src0_sel:BYTE_0 src1_sel:DWORD
	v_lshlrev_b16 v161, 8, v176
	v_sub_nc_u16 v145, v185, v145
	v_and_b32_e32 v185, 0x3030303, v167
	v_bfe_u32 v167, v167, 24, 2
	v_or_b32_sdwa v158, v162, v158 dst_sel:WORD_1 dst_unused:UNUSED_PAD src0_sel:BYTE_0 src1_sel:DWORD
	v_lshlrev_b16 v162, 8, v178
	v_or_b32_sdwa v159, v163, v159 dst_sel:WORD_1 dst_unused:UNUSED_PAD src0_sel:BYTE_0 src1_sel:DWORD
	v_lshrrev_b16 v186, 8, v185
	v_lshlrev_b16 v163, 8, v180
	v_or_b32_sdwa v160, v164, v160 dst_sel:WORD_1 dst_unused:UNUSED_PAD src0_sel:BYTE_0 src1_sel:DWORD
	v_lshlrev_b16 v164, 8, v182
	v_lshlrev_b16 v165, 8, v165
	v_sub_nc_u16 v186, v186, v187
	v_lshrrev_b32_e32 v187, 24, v144
	v_or_b32_sdwa v173, v173, v174 dst_sel:DWORD dst_unused:UNUSED_PAD src0_sel:BYTE_0 src1_sel:DWORD
	v_or_b32_sdwa v161, v175, v161 dst_sel:DWORD dst_unused:UNUSED_PAD src0_sel:BYTE_0 src1_sel:DWORD
	;; [unrolled: 1-line block ×4, first 2 shown]
	v_sub_nc_u16 v167, v167, v187
	v_lshrrev_b32_e32 v187, 16, v185
	v_sub_nc_u16 v185, v185, v144
	v_lshrrev_b32_e32 v144, 16, v144
	v_or_b32_sdwa v164, v181, v164 dst_sel:DWORD dst_unused:UNUSED_PAD src0_sel:BYTE_0 src1_sel:DWORD
	v_or_b32_sdwa v146, v146, v165 dst_sel:WORD_1 dst_unused:UNUSED_PAD src0_sel:BYTE_0 src1_sel:DWORD
	v_lshlrev_b16 v165, 8, v184
	v_lshlrev_b16 v166, 8, v166
	v_sub_nc_u16 v144, v187, v144
	v_and_b32_e32 v187, 0x3030303, v168
	v_bfe_u32 v168, v168, 24, 2
	v_or_b32_sdwa v146, v164, v146 dst_sel:DWORD dst_unused:UNUSED_PAD src0_sel:WORD_0 src1_sel:DWORD
	v_or_b32_sdwa v165, v183, v165 dst_sel:DWORD dst_unused:UNUSED_PAD src0_sel:BYTE_0 src1_sel:DWORD
	v_or_b32_sdwa v145, v145, v166 dst_sel:WORD_1 dst_unused:UNUSED_PAD src0_sel:BYTE_0 src1_sel:DWORD
	v_lshrrev_b16 v188, 8, v187
	v_ashrrev_i32_e32 v27, s4, v27
	v_ashrrev_i32_e32 v28, s4, v28
	v_lshlrev_b16 v166, 8, v186
	v_or_b32_sdwa v145, v165, v145 dst_sel:DWORD dst_unused:UNUSED_PAD src0_sel:WORD_0 src1_sel:DWORD
	v_sub_nc_u16 v188, v188, v189
	v_lshrrev_b32_e32 v189, 24, v143
	v_mov_b32_e32 v165, 0
	v_lshlrev_b32_e32 v27, 2, v27
	v_lshlrev_b32_e32 v28, 2, v28
	v_lshlrev_b16 v167, 8, v167
	v_sub_nc_u16 v168, v168, v189
	v_lshrrev_b32_e32 v189, 16, v187
	v_sub_nc_u16 v187, v187, v143
	v_lshrrev_b32_e32 v143, 16, v143
	v_and_b32_e32 v27, 0x4040404, v27
	v_lshlrev_b16 v168, 8, v168
	v_and_b32_e32 v28, 0x4040404, v28
	v_or_b32_sdwa v166, v185, v166 dst_sel:DWORD dst_unused:UNUSED_PAD src0_sel:BYTE_0 src1_sel:DWORD
	v_sub_nc_u16 v143, v189, v143
	v_and_b32_e32 v189, 0x3030303, v169
	v_bfe_u32 v169, v169, 24, 2
	v_or_b32_sdwa v144, v144, v167 dst_sel:WORD_1 dst_unused:UNUSED_PAD src0_sel:BYTE_0 src1_sel:DWORD
	v_ashrrev_i32_e32 v29, s4, v29
	v_or_b32_sdwa v143, v143, v168 dst_sel:WORD_1 dst_unused:UNUSED_PAD src0_sel:BYTE_0 src1_sel:DWORD
	v_lshrrev_b16 v190, 8, v189
	s_and_b32 s22, s1, -16
	v_or_b32_sdwa v144, v166, v144 dst_sel:DWORD dst_unused:UNUSED_PAD src0_sel:WORD_0 src1_sel:DWORD
	v_lshlrev_b32_e32 v29, 2, v29
	s_add_i32 s19, s19, s22
	v_sub_nc_u16 v190, v190, v191
	v_lshrrev_b32_e32 v191, 24, v142
	v_lshlrev_b16 v167, 8, v188
	v_and_b32_e32 v29, 0x4040404, v29
	v_ashrrev_i32_e32 v30, s4, v30
	v_lshlrev_b16 v168, 8, v190
	v_sub_nc_u16 v169, v169, v191
	v_lshrrev_b32_e32 v191, 16, v189
	v_sub_nc_u16 v189, v189, v142
	v_lshrrev_b32_e32 v142, 16, v142
	v_or_b32_sdwa v167, v187, v167 dst_sel:DWORD dst_unused:UNUSED_PAD src0_sel:BYTE_0 src1_sel:DWORD
	v_lshlrev_b16 v169, 8, v169
	v_lshrrev_b16 v166, 8, v29
	v_or_b32_sdwa v168, v189, v168 dst_sel:DWORD dst_unused:UNUSED_PAD src0_sel:BYTE_0 src1_sel:DWORD
	v_sub_nc_u16 v142, v191, v142
	v_and_b32_e32 v191, 0x3030303, v170
	v_bfe_u32 v170, v170, 24, 2
	v_or_b32_sdwa v143, v167, v143 dst_sel:DWORD dst_unused:UNUSED_PAD src0_sel:WORD_0 src1_sel:DWORD
	v_lshlrev_b32_e32 v30, 2, v30
	v_or_b32_sdwa v142, v142, v169 dst_sel:WORD_1 dst_unused:UNUSED_PAD src0_sel:BYTE_0 src1_sel:DWORD
	v_lshrrev_b16 v192, 8, v191
	v_ashrrev_i32_e32 v31, s4, v31
	v_ashrrev_i32_e32 v32, s4, v32
	v_and_b32_e32 v30, 0x4040404, v30
	v_ashrrev_i32_e32 v33, s4, v33
	v_sub_nc_u16 v192, v192, v193
	v_lshrrev_b32_e32 v193, 24, v141
	v_lshlrev_b32_e32 v31, 2, v31
	v_lshlrev_b32_e32 v32, 2, v32
	v_ashrrev_i32_e32 v151, s20, v151
	v_lshlrev_b16 v169, 8, v192
	v_sub_nc_u16 v170, v170, v193
	v_lshrrev_b32_e32 v193, 16, v191
	v_sub_nc_u16 v191, v191, v141
	v_lshrrev_b32_e32 v141, 16, v141
	v_and_b32_e32 v31, 0x4040404, v31
	v_lshlrev_b16 v170, 8, v170
	v_and_b32_e32 v32, 0x4040404, v32
	v_or_b32_sdwa v169, v191, v169 dst_sel:DWORD dst_unused:UNUSED_PAD src0_sel:BYTE_0 src1_sel:DWORD
	v_sub_nc_u16 v141, v193, v141
	v_and_b32_e32 v193, 0x3030303, v149
	v_bfe_u32 v149, v149, 24, 2
	v_lshlrev_b32_e32 v33, 2, v33
	v_ashrrev_i32_e32 v34, s4, v34
	v_or_b32_sdwa v141, v141, v170 dst_sel:WORD_1 dst_unused:UNUSED_PAD src0_sel:BYTE_0 src1_sel:DWORD
	v_lshrrev_b16 v194, 8, v193
	v_ashrrev_i32_e32 v152, s20, v152
	v_and_b32_e32 v33, 0x4040404, v33
	v_lshlrev_b32_e32 v34, 2, v34
	v_ashrrev_i32_e32 v35, s4, v35
	v_sub_nc_u16 v194, v194, v195
	v_lshrrev_b32_e32 v195, 24, v140
	v_lshrrev_b16 v174, 8, v33
	v_and_b32_e32 v34, 0x4040404, v34
	v_lshlrev_b32_e32 v35, 2, v35
	v_lshlrev_b16 v170, 8, v194
	v_sub_nc_u16 v149, v149, v195
	v_lshrrev_b32_e32 v195, 16, v193
	v_sub_nc_u16 v193, v193, v140
	v_lshrrev_b32_e32 v140, 16, v140
	v_lshrrev_b16 v176, 8, v34
	v_lshlrev_b16 v149, 8, v149
	v_and_b32_e32 v35, 0x4040404, v35
	v_or_b32_sdwa v170, v193, v170 dst_sel:DWORD dst_unused:UNUSED_PAD src0_sel:BYTE_0 src1_sel:DWORD
	v_sub_nc_u16 v140, v195, v140
	v_and_b32_e32 v195, 0x3030303, v150
	v_bfe_u32 v150, v150, 24, 2
	v_lshrrev_b16 v178, 8, v35
	v_ashrrev_i32_e32 v36, s4, v36
	v_or_b32_sdwa v140, v140, v149 dst_sel:WORD_1 dst_unused:UNUSED_PAD src0_sel:BYTE_0 src1_sel:DWORD
	v_lshrrev_b16 v196, 8, v195
	v_ashrrev_i32_e32 v25, s4, v25
	v_ashrrev_i32_e32 v26, s4, v26
	v_lshlrev_b32_e32 v36, 2, v36
	v_ashrrev_i32_e32 v153, s20, v153
	v_sub_nc_u16 v196, v196, v197
	v_lshrrev_b32_e32 v197, 24, v139
	v_lshlrev_b32_e32 v25, 2, v25
	v_and_b32_e32 v36, 0x4040404, v36
	v_lshlrev_b32_e32 v26, 2, v26
	v_lshlrev_b16 v149, 8, v196
	v_sub_nc_u16 v150, v150, v197
	v_lshrrev_b32_e32 v197, 16, v195
	v_sub_nc_u16 v195, v195, v139
	v_lshrrev_b32_e32 v139, 16, v139
	v_lshrrev_b16 v180, 8, v36
	v_lshlrev_b16 v150, 8, v150
	v_and_b32_e32 v25, 0x4040404, v25
	v_or_b32_sdwa v149, v195, v149 dst_sel:DWORD dst_unused:UNUSED_PAD src0_sel:BYTE_0 src1_sel:DWORD
	v_sub_nc_u16 v139, v197, v139
	v_and_b32_e32 v197, 0x3030303, v171
	v_bfe_u32 v171, v171, 24, 2
	v_lshrrev_b16 v182, 8, v25
	v_and_b32_e32 v26, 0x4040404, v26
	v_or_b32_sdwa v139, v139, v150 dst_sel:WORD_1 dst_unused:UNUSED_PAD src0_sel:BYTE_0 src1_sel:DWORD
	v_lshrrev_b16 v198, 8, v197
	v_ashrrev_i32_e32 v154, s20, v154
	v_ashrrev_i32_e32 v37, s4, v37
	v_lshrrev_b16 v184, 8, v26
	v_or_b32_sdwa v149, v149, v139 dst_sel:DWORD dst_unused:UNUSED_PAD src0_sel:WORD_0 src1_sel:DWORD
	v_sub_nc_u16 v198, v198, v199
	v_lshrrev_b32_e32 v199, 24, v138
	v_lshlrev_b32_e32 v37, 2, v37
	v_ashrrev_i32_e32 v38, s4, v38
	s_add_i32 s1, s1, 2
	v_lshlrev_b16 v150, 8, v198
	v_sub_nc_u16 v171, v171, v199
	v_lshrrev_b32_e32 v199, 16, v197
	v_sub_nc_u16 v197, v197, v138
	v_lshrrev_b32_e32 v138, 16, v138
	v_and_b32_e32 v37, 0x4040404, v37
	v_lshlrev_b16 v171, 8, v171
	v_lshlrev_b32_e32 v38, 2, v38
	v_or_b32_sdwa v150, v197, v150 dst_sel:DWORD dst_unused:UNUSED_PAD src0_sel:BYTE_0 src1_sel:DWORD
	v_sub_nc_u16 v138, v199, v138
	v_and_b32_e32 v199, 0x3030303, v172
	v_bfe_u32 v172, v172, 24, 2
	v_lshrrev_b16 v190, 8, v37
	v_and_b32_e32 v38, 0x4040404, v38
	v_or_b32_sdwa v138, v138, v171 dst_sel:WORD_1 dst_unused:UNUSED_PAD src0_sel:BYTE_0 src1_sel:DWORD
	v_lshrrev_b16 v200, 8, v199
	v_lshrrev_b16 v192, 8, v38
	v_or_b32_sdwa v150, v150, v138 dst_sel:DWORD dst_unused:UNUSED_PAD src0_sel:WORD_0 src1_sel:DWORD
	v_sub_nc_u16 v200, v200, v201
	v_lshrrev_b32_e32 v201, 24, v136
	v_lshlrev_b16 v171, 8, v200
	v_sub_nc_u16 v172, v172, v201
	v_lshrrev_b32_e32 v201, 16, v199
	v_sub_nc_u16 v199, v199, v136
	v_lshrrev_b32_e32 v136, 16, v136
	v_lshlrev_b16 v172, 8, v172
	v_or_b32_sdwa v171, v199, v171 dst_sel:DWORD dst_unused:UNUSED_PAD src0_sel:BYTE_0 src1_sel:DWORD
	v_sub_nc_u16 v136, v201, v136
	v_and_b32_e32 v201, 0x3030303, v147
	v_bfe_u32 v147, v147, 24, 2
	v_or_b32_sdwa v136, v136, v172 dst_sel:WORD_1 dst_unused:UNUSED_PAD src0_sel:BYTE_0 src1_sel:DWORD
	v_lshrrev_b16 v202, 8, v201
	v_sub_nc_u16 v202, v202, v203
	v_lshrrev_b32_e32 v203, 24, v137
	v_lshlrev_b16 v172, 8, v202
	v_sub_nc_u16 v147, v147, v203
	v_lshrrev_b32_e32 v203, 16, v201
	v_sub_nc_u16 v201, v201, v137
	v_lshrrev_b32_e32 v137, 16, v137
	v_lshlrev_b16 v147, 8, v147
	v_or_b32_sdwa v172, v201, v172 dst_sel:DWORD dst_unused:UNUSED_PAD src0_sel:BYTE_0 src1_sel:DWORD
	v_sub_nc_u16 v137, v203, v137
	v_and_b32_e32 v203, 0x3030303, v148
	v_bfe_u32 v148, v148, 24, 2
	v_or_b32_sdwa v137, v137, v147 dst_sel:WORD_1 dst_unused:UNUSED_PAD src0_sel:BYTE_0 src1_sel:DWORD
	v_lshrrev_b16 v204, 8, v203
	v_or_b32_sdwa v164, v172, v137 dst_sel:DWORD dst_unused:UNUSED_PAD src0_sel:WORD_0 src1_sel:DWORD
	v_sub_nc_u16 v204, v204, v205
	v_lshrrev_b32_e32 v205, 24, v135
	v_lshrrev_b16 v172, 8, v32
	v_lshlrev_b16 v147, 8, v204
	v_sub_nc_u16 v148, v148, v205
	v_lshrrev_b32_e32 v205, 16, v203
	v_sub_nc_u16 v203, v203, v135
	v_lshrrev_b32_e32 v135, 16, v135
	v_lshlrev_b16 v148, 8, v148
	v_or_b32_sdwa v147, v203, v147 dst_sel:DWORD dst_unused:UNUSED_PAD src0_sel:BYTE_0 src1_sel:DWORD
	v_sub_nc_u16 v135, v205, v135
	v_or_b32_sdwa v135, v135, v148 dst_sel:WORD_1 dst_unused:UNUSED_PAD src0_sel:BYTE_0 src1_sel:DWORD
	v_or_b32_sdwa v148, v173, v157 dst_sel:DWORD dst_unused:UNUSED_PAD src0_sel:WORD_0 src1_sel:DWORD
	v_or_b32_sdwa v157, v161, v158 dst_sel:DWORD dst_unused:UNUSED_PAD src0_sel:WORD_0 src1_sel:DWORD
	v_or_b32_sdwa v158, v162, v159 dst_sel:DWORD dst_unused:UNUSED_PAD src0_sel:WORD_0 src1_sel:DWORD
	v_or_b32_sdwa v159, v163, v160 dst_sel:DWORD dst_unused:UNUSED_PAD src0_sel:WORD_0 src1_sel:DWORD
	v_or_b32_sdwa v160, v168, v142 dst_sel:DWORD dst_unused:UNUSED_PAD src0_sel:WORD_0 src1_sel:DWORD
	v_or_b32_sdwa v161, v169, v141 dst_sel:DWORD dst_unused:UNUSED_PAD src0_sel:WORD_0 src1_sel:DWORD
	v_or_b32_sdwa v162, v170, v140 dst_sel:DWORD dst_unused:UNUSED_PAD src0_sel:WORD_0 src1_sel:DWORD
	v_or_b32_sdwa v163, v171, v136 dst_sel:DWORD dst_unused:UNUSED_PAD src0_sel:WORD_0 src1_sel:DWORD
	v_or_b32_sdwa v147, v147, v135 dst_sel:DWORD dst_unused:UNUSED_PAD src0_sel:WORD_0 src1_sel:DWORD
	ds_read_b128 v[135:138], v130
	ds_read_b128 v[139:142], v130 offset:16
	v_lshrrev_b16 v168, 8, v30
	v_lshrrev_b16 v170, 8, v31
	v_add_nc_u32_e32 v130, 32, v130
	s_waitcnt lgkmcnt(1)
	v_dot4c_i32_i8 v165, v148, v135
	v_mov_b32_e32 v148, 0
	v_dot4c_i32_i8 v165, v157, v136
	v_dot4c_i32_i8 v148, v146, v135
	v_mov_b32_e32 v146, 0
	v_dot4c_i32_i8 v165, v158, v137
	v_dot4c_i32_i8 v148, v145, v136
	;; [unrolled: 1-line block ×3, first 2 shown]
	v_mov_b32_e32 v160, 0
	v_dot4c_i32_i8 v165, v159, v138
	v_dot4c_i32_i8 v148, v144, v137
	;; [unrolled: 1-line block ×4, first 2 shown]
	v_ashrrev_i32_e32 v135, s20, v21
	v_lshrrev_b16 v161, 8, v27
	v_add_nc_u32_e32 v21, s19, v89
	v_dot4c_i32_i8 v146, v162, v137
	v_dot4c_i32_i8 v160, v163, v136
	v_and_b32_e32 v158, 0x3030303, v135
	v_bfe_u32 v135, v135, 24, 2
	v_ashrrev_i32_e32 v136, s20, v22
	v_lshrrev_b16 v163, 8, v28
	v_dot4c_i32_i8 v160, v164, v137
	v_lshrrev_b16 v159, 8, v158
	v_ashrrev_i32_e32 v137, s20, v23
	ds_read_u16 v145, v21 offset:26354
	v_add3_u32 v21, s21, v117, v118
	v_dot4c_i32_i8 v160, v147, v138
	v_sub_nc_u16 v159, v159, v161
	v_lshrrev_b32_e32 v161, 24, v27
	v_add_nc_u32_e32 v23, 0x1098, v132
	ds_read_b32 v147, v21
	v_add_nc_u32_e32 v21, 0x1090, v132
	v_dot4c_i32_i8 v148, v143, v138
	v_sub_nc_u16 v135, v135, v161
	v_lshrrev_b32_e32 v161, 16, v158
	v_sub_nc_u16 v158, v158, v27
	v_lshrrev_b32_e32 v27, 16, v27
	v_dot4c_i32_i8 v146, v149, v138
	v_ashrrev_i32_e32 v138, s20, v24
	ds_read2_b32 v[21:22], v21 offset1:1
	ds_read2_b32 v[23:24], v23 offset1:1
	v_ashrrev_i32_e32 v143, s4, v155
	v_sub_nc_u16 v27, v161, v27
	v_and_b32_e32 v161, 0x3030303, v136
	v_bfe_u32 v136, v136, 24, 2
	v_ashrrev_i32_e32 v144, s4, v156
	v_lshlrev_b32_e32 v143, 2, v143
	v_lshlrev_b16 v159, 8, v159
	v_lshrrev_b16 v162, 8, v161
	v_lshlrev_b16 v135, 8, v135
	v_lshlrev_b32_e32 v144, 2, v144
	v_and_b32_e32 v143, 0x4040404, v143
	v_or_b32_sdwa v158, v158, v159 dst_sel:DWORD dst_unused:UNUSED_PAD src0_sel:BYTE_0 src1_sel:DWORD
	v_sub_nc_u16 v162, v162, v163
	v_lshrrev_b32_e32 v163, 24, v28
	v_and_b32_e32 v144, 0x4040404, v144
	v_lshrrev_b16 v186, 8, v143
	v_or_b32_sdwa v27, v27, v135 dst_sel:WORD_1 dst_unused:UNUSED_PAD src0_sel:BYTE_0 src1_sel:DWORD
	v_lshlrev_b16 v135, 8, v162
	v_sub_nc_u16 v136, v136, v163
	v_lshrrev_b32_e32 v163, 16, v161
	v_sub_nc_u16 v161, v161, v28
	v_lshrrev_b32_e32 v28, 16, v28
	s_waitcnt lgkmcnt(1)
	v_ashrrev_i32_e32 v149, s20, v21
	v_ashrrev_i32_e32 v150, s20, v22
	v_add_nc_u32_e32 v22, s19, v87
	s_waitcnt lgkmcnt(0)
	v_ashrrev_i32_e32 v155, s20, v23
	v_sub_nc_u16 v28, v163, v28
	v_and_b32_e32 v163, 0x3030303, v137
	v_bfe_u32 v137, v137, 24, 2
	v_add_nc_u32_e32 v21, 0x3190, v132
	v_add_nc_u32_e32 v23, 0x3198, v132
	ds_read_u16 v132, v22 offset:28402
	v_lshrrev_b16 v164, 8, v163
	v_add3_u32 v22, s21, v125, v126
	v_ashrrev_i32_e32 v156, s20, v24
	ds_read_b32 v157, v22
	ds_read2_b32 v[21:22], v21 offset1:1
	ds_read2_b32 v[23:24], v23 offset1:1
	v_sub_nc_u16 v164, v164, v166
	v_lshrrev_b32_e32 v166, 24, v29
	v_lshrrev_b16 v188, 8, v144
	v_or_b32_sdwa v27, v158, v27 dst_sel:DWORD dst_unused:UNUSED_PAD src0_sel:WORD_0 src1_sel:DWORD
	v_lshlrev_b16 v136, 8, v136
	v_or_b32_sdwa v135, v161, v135 dst_sel:DWORD dst_unused:UNUSED_PAD src0_sel:BYTE_0 src1_sel:DWORD
	v_sub_nc_u16 v137, v137, v166
	v_lshrrev_b32_e32 v166, 16, v163
	v_sub_nc_u16 v163, v163, v29
	v_lshrrev_b32_e32 v29, 16, v29
	v_or_b32_sdwa v28, v28, v136 dst_sel:WORD_1 dst_unused:UNUSED_PAD src0_sel:BYTE_0 src1_sel:DWORD
	v_lshlrev_b16 v136, 8, v164
	v_lshlrev_b16 v137, 8, v137
	s_add_i32 s4, s4, 1
	v_sub_nc_u16 v29, v166, v29
	v_and_b32_e32 v166, 0x3030303, v138
	v_bfe_u32 v138, v138, 24, 2
	v_or_b32_sdwa v28, v135, v28 dst_sel:DWORD dst_unused:UNUSED_PAD src0_sel:WORD_0 src1_sel:DWORD
	s_waitcnt lgkmcnt(1)
	v_ashrrev_i32_e32 v21, s20, v21
	v_ashrrev_i32_e32 v22, s20, v22
	v_lshrrev_b16 v167, 8, v166
	s_waitcnt lgkmcnt(0)
	v_ashrrev_i32_e32 v23, s20, v23
	v_ashrrev_i32_e32 v24, s20, v24
	v_mov_b32_e32 v135, 0
	v_or_b32_sdwa v136, v163, v136 dst_sel:DWORD dst_unused:UNUSED_PAD src0_sel:BYTE_0 src1_sel:DWORD
	v_sub_nc_u16 v167, v167, v168
	v_lshrrev_b32_e32 v168, 24, v30
	v_or_b32_sdwa v29, v29, v137 dst_sel:WORD_1 dst_unused:UNUSED_PAD src0_sel:BYTE_0 src1_sel:DWORD
	s_cmp_lt_u32 s5, 30
	v_lshlrev_b16 v137, 8, v167
	v_sub_nc_u16 v138, v138, v168
	v_lshrrev_b32_e32 v168, 16, v166
	v_sub_nc_u16 v166, v166, v30
	v_lshrrev_b32_e32 v30, 16, v30
	v_or_b32_sdwa v29, v136, v29 dst_sel:DWORD dst_unused:UNUSED_PAD src0_sel:WORD_0 src1_sel:DWORD
	v_lshlrev_b16 v138, 8, v138
	v_or_b32_sdwa v137, v166, v137 dst_sel:DWORD dst_unused:UNUSED_PAD src0_sel:BYTE_0 src1_sel:DWORD
	v_sub_nc_u16 v30, v168, v30
	v_and_b32_e32 v168, 0x3030303, v149
	v_bfe_u32 v149, v149, 24, 2
	v_or_b32_sdwa v30, v30, v138 dst_sel:WORD_1 dst_unused:UNUSED_PAD src0_sel:BYTE_0 src1_sel:DWORD
	v_lshrrev_b16 v169, 8, v168
	v_or_b32_sdwa v30, v137, v30 dst_sel:DWORD dst_unused:UNUSED_PAD src0_sel:WORD_0 src1_sel:DWORD
	v_sub_nc_u16 v169, v169, v170
	v_lshrrev_b32_e32 v170, 24, v31
	v_lshlrev_b16 v138, 8, v169
	v_sub_nc_u16 v149, v149, v170
	v_lshrrev_b32_e32 v170, 16, v168
	v_sub_nc_u16 v168, v168, v31
	v_lshrrev_b32_e32 v31, 16, v31
	v_lshlrev_b16 v149, 8, v149
	v_or_b32_sdwa v138, v168, v138 dst_sel:DWORD dst_unused:UNUSED_PAD src0_sel:BYTE_0 src1_sel:DWORD
	v_sub_nc_u16 v31, v170, v31
	v_and_b32_e32 v170, 0x3030303, v150
	v_bfe_u32 v150, v150, 24, 2
	v_or_b32_sdwa v31, v31, v149 dst_sel:WORD_1 dst_unused:UNUSED_PAD src0_sel:BYTE_0 src1_sel:DWORD
	v_lshrrev_b16 v171, 8, v170
	v_or_b32_sdwa v31, v138, v31 dst_sel:DWORD dst_unused:UNUSED_PAD src0_sel:WORD_0 src1_sel:DWORD
	v_sub_nc_u16 v171, v171, v172
	v_lshrrev_b32_e32 v172, 24, v32
	v_lshlrev_b16 v149, 8, v171
	v_sub_nc_u16 v150, v150, v172
	v_lshrrev_b32_e32 v172, 16, v170
	v_sub_nc_u16 v170, v170, v32
	v_lshrrev_b32_e32 v32, 16, v32
	;; [unrolled: 15-line block ×3, first 2 shown]
	v_lshlrev_b16 v151, 8, v151
	v_or_b32_sdwa v150, v172, v150 dst_sel:DWORD dst_unused:UNUSED_PAD src0_sel:BYTE_0 src1_sel:DWORD
	v_sub_nc_u16 v33, v174, v33
	v_and_b32_e32 v174, 0x3030303, v152
	v_bfe_u32 v152, v152, 24, 2
	v_or_b32_sdwa v33, v33, v151 dst_sel:WORD_1 dst_unused:UNUSED_PAD src0_sel:BYTE_0 src1_sel:DWORD
	v_lshrrev_b16 v175, 8, v174
	v_or_b32_sdwa v33, v150, v33 dst_sel:DWORD dst_unused:UNUSED_PAD src0_sel:WORD_0 src1_sel:DWORD
	v_sub_nc_u16 v175, v175, v176
	v_lshrrev_b32_e32 v176, 24, v34
	v_dot4c_i32_i8 v135, v33, v139
	v_lshlrev_b16 v151, 8, v175
	v_sub_nc_u16 v152, v152, v176
	v_lshrrev_b32_e32 v176, 16, v174
	v_sub_nc_u16 v174, v174, v34
	v_lshrrev_b32_e32 v34, 16, v34
	v_lshlrev_b16 v152, 8, v152
	v_or_b32_sdwa v151, v174, v151 dst_sel:DWORD dst_unused:UNUSED_PAD src0_sel:BYTE_0 src1_sel:DWORD
	v_sub_nc_u16 v34, v176, v34
	v_and_b32_e32 v176, 0x3030303, v21
	v_bfe_u32 v21, v21, 24, 2
	v_or_b32_sdwa v34, v34, v152 dst_sel:WORD_1 dst_unused:UNUSED_PAD src0_sel:BYTE_0 src1_sel:DWORD
	v_lshrrev_b16 v177, 8, v176
	v_or_b32_sdwa v34, v151, v34 dst_sel:DWORD dst_unused:UNUSED_PAD src0_sel:WORD_0 src1_sel:DWORD
	v_sub_nc_u16 v177, v177, v178
	v_lshrrev_b32_e32 v178, 24, v35
	v_dot4c_i32_i8 v135, v34, v140
	v_lshlrev_b16 v152, 8, v177
	v_sub_nc_u16 v21, v21, v178
	v_lshrrev_b32_e32 v178, 16, v176
	v_sub_nc_u16 v176, v176, v35
	v_lshrrev_b32_e32 v35, 16, v35
	v_lshlrev_b16 v21, 8, v21
	v_or_b32_sdwa v152, v176, v152 dst_sel:DWORD dst_unused:UNUSED_PAD src0_sel:BYTE_0 src1_sel:DWORD
	v_sub_nc_u16 v35, v178, v35
	v_and_b32_e32 v178, 0x3030303, v22
	v_bfe_u32 v22, v22, 24, 2
	v_or_b32_sdwa v21, v35, v21 dst_sel:WORD_1 dst_unused:UNUSED_PAD src0_sel:BYTE_0 src1_sel:DWORD
	v_lshrrev_b16 v179, 8, v178
	v_or_b32_sdwa v21, v152, v21 dst_sel:DWORD dst_unused:UNUSED_PAD src0_sel:WORD_0 src1_sel:DWORD
	v_sub_nc_u16 v179, v179, v180
	v_lshrrev_b32_e32 v180, 24, v36
	v_lshlrev_b16 v35, 8, v179
	v_sub_nc_u16 v22, v22, v180
	v_lshrrev_b32_e32 v180, 16, v178
	v_sub_nc_u16 v178, v178, v36
	v_lshrrev_b32_e32 v36, 16, v36
	v_lshlrev_b16 v22, 8, v22
	v_or_b32_sdwa v35, v178, v35 dst_sel:DWORD dst_unused:UNUSED_PAD src0_sel:BYTE_0 src1_sel:DWORD
	v_sub_nc_u16 v36, v180, v36
	v_and_b32_e32 v180, 0x3030303, v155
	v_bfe_u32 v155, v155, 24, 2
	v_or_b32_sdwa v22, v36, v22 dst_sel:WORD_1 dst_unused:UNUSED_PAD src0_sel:BYTE_0 src1_sel:DWORD
	v_lshrrev_b16 v181, 8, v180
	v_or_b32_sdwa v22, v35, v22 dst_sel:DWORD dst_unused:UNUSED_PAD src0_sel:WORD_0 src1_sel:DWORD
	v_sub_nc_u16 v181, v181, v182
	v_lshrrev_b32_e32 v182, 24, v25
	v_lshlrev_b16 v36, 8, v181
	v_sub_nc_u16 v155, v155, v182
	v_lshrrev_b32_e32 v182, 16, v180
	v_sub_nc_u16 v180, v180, v25
	v_lshrrev_b32_e32 v25, 16, v25
	v_lshlrev_b16 v155, 8, v155
	v_or_b32_sdwa v36, v180, v36 dst_sel:DWORD dst_unused:UNUSED_PAD src0_sel:BYTE_0 src1_sel:DWORD
	v_sub_nc_u16 v25, v182, v25
	v_and_b32_e32 v182, 0x3030303, v156
	v_bfe_u32 v156, v156, 24, 2
	v_or_b32_sdwa v25, v25, v155 dst_sel:WORD_1 dst_unused:UNUSED_PAD src0_sel:BYTE_0 src1_sel:DWORD
	v_lshrrev_b16 v183, 8, v182
	v_or_b32_sdwa v25, v36, v25 dst_sel:DWORD dst_unused:UNUSED_PAD src0_sel:WORD_0 src1_sel:DWORD
	v_sub_nc_u16 v183, v183, v184
	v_lshrrev_b32_e32 v184, 24, v26
	v_lshlrev_b16 v155, 8, v183
	v_sub_nc_u16 v156, v156, v184
	v_lshrrev_b32_e32 v184, 16, v182
	v_sub_nc_u16 v182, v182, v26
	v_lshrrev_b32_e32 v26, 16, v26
	v_lshlrev_b16 v156, 8, v156
	v_or_b32_sdwa v155, v182, v155 dst_sel:DWORD dst_unused:UNUSED_PAD src0_sel:BYTE_0 src1_sel:DWORD
	v_sub_nc_u16 v26, v184, v26
	v_and_b32_e32 v184, 0x3030303, v153
	v_bfe_u32 v153, v153, 24, 2
	v_or_b32_sdwa v26, v26, v156 dst_sel:WORD_1 dst_unused:UNUSED_PAD src0_sel:BYTE_0 src1_sel:DWORD
	v_lshrrev_b16 v185, 8, v184
	v_or_b32_sdwa v26, v155, v26 dst_sel:DWORD dst_unused:UNUSED_PAD src0_sel:WORD_0 src1_sel:DWORD
	v_sub_nc_u16 v185, v185, v186
	v_lshrrev_b32_e32 v186, 24, v143
	v_lshlrev_b16 v156, 8, v185
	v_sub_nc_u16 v153, v153, v186
	v_lshrrev_b32_e32 v186, 16, v184
	v_sub_nc_u16 v184, v184, v143
	v_lshrrev_b32_e32 v143, 16, v143
	v_lshlrev_b16 v153, 8, v153
	v_or_b32_sdwa v156, v184, v156 dst_sel:DWORD dst_unused:UNUSED_PAD src0_sel:BYTE_0 src1_sel:DWORD
	v_sub_nc_u16 v143, v186, v143
	v_and_b32_e32 v186, 0x3030303, v154
	v_bfe_u32 v154, v154, 24, 2
	v_or_b32_sdwa v143, v143, v153 dst_sel:WORD_1 dst_unused:UNUSED_PAD src0_sel:BYTE_0 src1_sel:DWORD
	v_lshrrev_b16 v187, 8, v186
	v_or_b32_sdwa v35, v156, v143 dst_sel:DWORD dst_unused:UNUSED_PAD src0_sel:WORD_0 src1_sel:DWORD
	v_sub_nc_u16 v187, v187, v188
	v_lshrrev_b32_e32 v188, 24, v144
	v_dot4c_i32_i8 v135, v35, v141
	v_lshlrev_b16 v153, 8, v187
	v_sub_nc_u16 v154, v154, v188
	v_lshrrev_b32_e32 v188, 16, v186
	v_sub_nc_u16 v186, v186, v144
	v_lshrrev_b32_e32 v144, 16, v144
	v_lshlrev_b16 v154, 8, v154
	v_or_b32_sdwa v153, v186, v153 dst_sel:DWORD dst_unused:UNUSED_PAD src0_sel:BYTE_0 src1_sel:DWORD
	v_sub_nc_u16 v144, v188, v144
	v_and_b32_e32 v188, 0x3030303, v23
	v_bfe_u32 v23, v23, 24, 2
	v_or_b32_sdwa v144, v144, v154 dst_sel:WORD_1 dst_unused:UNUSED_PAD src0_sel:BYTE_0 src1_sel:DWORD
	v_lshrrev_b16 v189, 8, v188
	v_or_b32_sdwa v36, v153, v144 dst_sel:DWORD dst_unused:UNUSED_PAD src0_sel:WORD_0 src1_sel:DWORD
	v_sub_nc_u16 v189, v189, v190
	v_lshrrev_b32_e32 v190, 24, v37
	v_dot4c_i32_i8 v135, v36, v142
	v_lshlrev_b16 v154, 8, v189
	v_sub_nc_u16 v23, v23, v190
	v_lshrrev_b32_e32 v190, 16, v188
	v_sub_nc_u16 v188, v188, v37
	v_lshrrev_b32_e32 v37, 16, v37
	v_lshlrev_b16 v23, 8, v23
	v_or_b32_sdwa v154, v188, v154 dst_sel:DWORD dst_unused:UNUSED_PAD src0_sel:BYTE_0 src1_sel:DWORD
	v_sub_nc_u16 v37, v190, v37
	v_and_b32_e32 v190, 0x3030303, v24
	v_bfe_u32 v24, v24, 24, 2
	v_or_b32_sdwa v23, v37, v23 dst_sel:WORD_1 dst_unused:UNUSED_PAD src0_sel:BYTE_0 src1_sel:DWORD
	v_lshrrev_b16 v191, 8, v190
	v_or_b32_sdwa v23, v154, v23 dst_sel:DWORD dst_unused:UNUSED_PAD src0_sel:WORD_0 src1_sel:DWORD
	v_sub_nc_u16 v191, v191, v192
	v_lshrrev_b32_e32 v192, 24, v38
	v_lshlrev_b16 v37, 8, v191
	v_sub_nc_u16 v24, v24, v192
	v_lshrrev_b32_e32 v192, 16, v190
	v_sub_nc_u16 v190, v190, v38
	v_lshrrev_b32_e32 v38, 16, v38
	v_lshlrev_b16 v24, 8, v24
	v_or_b32_sdwa v37, v190, v37 dst_sel:DWORD dst_unused:UNUSED_PAD src0_sel:BYTE_0 src1_sel:DWORD
	v_sub_nc_u16 v38, v192, v38
	v_or_b32_sdwa v24, v38, v24 dst_sel:WORD_1 dst_unused:UNUSED_PAD src0_sel:BYTE_0 src1_sel:DWORD
	v_mov_b32_e32 v38, 0
	v_or_b32_sdwa v24, v37, v24 dst_sel:DWORD dst_unused:UNUSED_PAD src0_sel:WORD_0 src1_sel:DWORD
	v_mov_b32_e32 v37, 0
	v_dot4c_i32_i8 v38, v27, v139
	v_add_nc_u32_e32 v27, s19, v90
	v_dot4c_i32_i8 v37, v31, v139
	v_mov_b32_e32 v31, 0
	v_dot4c_i32_i8 v38, v28, v140
	v_dot4c_i32_i8 v37, v32, v140
	;; [unrolled: 1-line block ×3, first 2 shown]
	v_add_nc_u32_e32 v21, s19, v88
	ds_read_u16 v27, v27 offset:25330
	ds_read_u16 v21, v21 offset:27378
	v_dot4c_i32_i8 v31, v22, v140
	v_bfe_i32 v22, v145, 0, 8
	v_dot4c_i32_i8 v38, v29, v141
	v_lshrrev_b16 v29, 8, v132
	v_bfe_i32 v132, v132, 0, 8
	v_dot4c_i32_i8 v31, v23, v141
	v_mul_lo_u32 v22, v148, v22
	v_dot4c_i32_i8 v37, v25, v141
	v_dot4c_i32_i8 v38, v30, v142
	ds_read_b32 v33, v131
	v_dot4c_i32_i8 v31, v24, v142
	v_mul_lo_u32 v24, v160, v132
	v_dot4c_i32_i8 v37, v26, v142
	v_bfe_i32 v29, v29, 0, 8
	v_add_nc_u32_e32 v131, 4, v131
	s_mov_b32 s19, s5
	s_waitcnt lgkmcnt(2)
	v_lshrrev_b16 v28, 8, v27
	v_bfe_i32 v27, v27, 0, 8
	s_waitcnt lgkmcnt(1)
	v_lshrrev_b16 v32, 8, v21
	v_bfe_i32 v34, v21, 0, 8
	v_lshrrev_b16 v21, 8, v145
	v_bfe_i32 v28, v28, 0, 8
	v_bfe_i32 v32, v32, 0, 8
	v_mul_lo_u32 v23, v146, v34
	v_bfe_i32 v136, v21, 0, 8
	v_mul_lo_u32 v21, v165, v27
	v_mad_u64_u32 v[25:26], null, v38, v28, v[21:22]
	v_mad_u64_u32 v[26:27], null, v37, v136, v[22:23]
	;; [unrolled: 1-line block ×3, first 2 shown]
	s_waitcnt lgkmcnt(0)
	v_mul_f32_e32 v21, v33, v134
	v_mul_f32_e32 v22, v33, v147
	v_mad_u64_u32 v[28:29], null, v31, v29, v[24:25]
	v_mul_f32_e32 v23, v33, v133
	v_mul_f32_e32 v24, v33, v157
	v_cvt_f32_i32_e32 v25, v25
	v_cvt_f32_i32_e32 v26, v26
	;; [unrolled: 1-line block ×4, first 2 shown]
	v_fmac_f32_e32 v40, v21, v25
	v_fmac_f32_e32 v86, v22, v26
	;; [unrolled: 1-line block ×4, first 2 shown]
	s_cbranch_scc1 .LBB230_35
; %bb.36:                               ;   in Loop: Header=BB230_5 Depth=1
	s_barrier
	buffer_gl0_inv
	s_branch .LBB230_4
.LBB230_37:
	s_mul_i32 s0, s14, s11
	s_waitcnt vmcnt(0)
	v_cmp_gt_i32_e32 vcc_lo, s0, v39
	s_and_saveexec_b32 s0, vcc_lo
	s_cbranch_execz .LBB230_46
; %bb.38:
	v_add_nc_u32_e32 v1, s6, v0
	v_mul_lo_u32 v0, v39, s13
	s_mov_b32 s0, exec_lo
	v_cmpx_gt_u32_e64 s13, v1
	s_cbranch_execz .LBB230_40
; %bb.39:
	v_add_nc_u32_e32 v2, v0, v1
	v_mov_b32_e32 v3, 0
	v_bfe_u32 v4, v40, 16, 1
	v_cmp_o_f32_e32 vcc_lo, v40, v40
	v_mov_b32_e32 v5, 0x7fc0
	v_lshlrev_b64 v[2:3], 1, v[2:3]
	v_add3_u32 v4, v40, v4, 0x7fff
	v_cndmask_b32_sdwa v4, v5, v4, vcc_lo dst_sel:DWORD dst_unused:UNUSED_PAD src0_sel:DWORD src1_sel:WORD_1
	v_add_co_u32 v2, vcc_lo, s16, v2
	v_add_co_ci_u32_e64 v3, null, s17, v3, vcc_lo
	global_store_short v[2:3], v4, off
.LBB230_40:
	s_or_b32 exec_lo, exec_lo, s0
	v_add_nc_u32_e32 v2, 32, v1
	s_mov_b32 s0, exec_lo
	v_cmpx_gt_u32_e64 s13, v2
	s_cbranch_execz .LBB230_42
; %bb.41:
	v_add_nc_u32_e32 v2, v0, v2
	v_mov_b32_e32 v3, 0
	v_bfe_u32 v4, v86, 16, 1
	v_cmp_o_f32_e32 vcc_lo, v86, v86
	v_mov_b32_e32 v5, 0x7fc0
	v_lshlrev_b64 v[2:3], 1, v[2:3]
	v_add3_u32 v4, v86, v4, 0x7fff
	v_cndmask_b32_sdwa v4, v5, v4, vcc_lo dst_sel:DWORD dst_unused:UNUSED_PAD src0_sel:DWORD src1_sel:WORD_1
	v_add_co_u32 v2, vcc_lo, s16, v2
	v_add_co_ci_u32_e64 v3, null, s17, v3, vcc_lo
	global_store_short v[2:3], v4, off
.LBB230_42:
	s_or_b32 exec_lo, exec_lo, s0
	v_add_nc_u32_e32 v2, 64, v1
	;; [unrolled: 18-line block ×3, first 2 shown]
	v_cmp_gt_u32_e32 vcc_lo, s13, v1
	s_and_b32 exec_lo, exec_lo, vcc_lo
	s_cbranch_execz .LBB230_46
; %bb.45:
	v_add_nc_u32_e32 v0, v0, v1
	v_mov_b32_e32 v1, 0
	v_bfe_u32 v2, v18, 16, 1
	v_cmp_o_f32_e32 vcc_lo, v18, v18
	v_mov_b32_e32 v3, 0x7fc0
	v_lshlrev_b64 v[0:1], 1, v[0:1]
	v_add3_u32 v2, v18, v2, 0x7fff
	v_cndmask_b32_sdwa v2, v3, v2, vcc_lo dst_sel:DWORD dst_unused:UNUSED_PAD src0_sel:DWORD src1_sel:WORD_1
	v_add_co_u32 v0, vcc_lo, s16, v0
	v_add_co_ci_u32_e64 v1, null, s17, v1, vcc_lo
	global_store_short v[0:1], v2, off
.LBB230_46:
	s_endpgm
	.section	.rodata,"a",@progbits
	.p2align	6, 0x0
	.amdhsa_kernel _ZL8moe_q3_KIN3c108BFloat16ELb1EEvPKvS3_PT_PKiS7_S7_iiiiiii
		.amdhsa_group_segment_fixed_size 31776
		.amdhsa_private_segment_fixed_size 0
		.amdhsa_kernarg_size 76
		.amdhsa_user_sgpr_count 6
		.amdhsa_user_sgpr_private_segment_buffer 1
		.amdhsa_user_sgpr_dispatch_ptr 0
		.amdhsa_user_sgpr_queue_ptr 0
		.amdhsa_user_sgpr_kernarg_segment_ptr 1
		.amdhsa_user_sgpr_dispatch_id 0
		.amdhsa_user_sgpr_flat_scratch_init 0
		.amdhsa_user_sgpr_private_segment_size 0
		.amdhsa_wavefront_size32 1
		.amdhsa_uses_dynamic_stack 0
		.amdhsa_system_sgpr_private_segment_wavefront_offset 0
		.amdhsa_system_sgpr_workgroup_id_x 1
		.amdhsa_system_sgpr_workgroup_id_y 1
		.amdhsa_system_sgpr_workgroup_id_z 0
		.amdhsa_system_sgpr_workgroup_info 0
		.amdhsa_system_vgpr_workitem_id 1
		.amdhsa_next_free_vgpr 207
		.amdhsa_next_free_sgpr 26
		.amdhsa_reserve_vcc 1
		.amdhsa_reserve_flat_scratch 0
		.amdhsa_float_round_mode_32 0
		.amdhsa_float_round_mode_16_64 0
		.amdhsa_float_denorm_mode_32 3
		.amdhsa_float_denorm_mode_16_64 3
		.amdhsa_dx10_clamp 1
		.amdhsa_ieee_mode 1
		.amdhsa_fp16_overflow 0
		.amdhsa_workgroup_processor_mode 1
		.amdhsa_memory_ordered 1
		.amdhsa_forward_progress 1
		.amdhsa_shared_vgpr_count 0
		.amdhsa_exception_fp_ieee_invalid_op 0
		.amdhsa_exception_fp_denorm_src 0
		.amdhsa_exception_fp_ieee_div_zero 0
		.amdhsa_exception_fp_ieee_overflow 0
		.amdhsa_exception_fp_ieee_underflow 0
		.amdhsa_exception_fp_ieee_inexact 0
		.amdhsa_exception_int_div_zero 0
	.end_amdhsa_kernel
	.section	.text._ZL8moe_q3_KIN3c108BFloat16ELb1EEvPKvS3_PT_PKiS7_S7_iiiiiii,"axG",@progbits,_ZL8moe_q3_KIN3c108BFloat16ELb1EEvPKvS3_PT_PKiS7_S7_iiiiiii,comdat
.Lfunc_end230:
	.size	_ZL8moe_q3_KIN3c108BFloat16ELb1EEvPKvS3_PT_PKiS7_S7_iiiiiii, .Lfunc_end230-_ZL8moe_q3_KIN3c108BFloat16ELb1EEvPKvS3_PT_PKiS7_S7_iiiiiii
                                        ; -- End function
	.set _ZL8moe_q3_KIN3c108BFloat16ELb1EEvPKvS3_PT_PKiS7_S7_iiiiiii.num_vgpr, 207
	.set _ZL8moe_q3_KIN3c108BFloat16ELb1EEvPKvS3_PT_PKiS7_S7_iiiiiii.num_agpr, 0
	.set _ZL8moe_q3_KIN3c108BFloat16ELb1EEvPKvS3_PT_PKiS7_S7_iiiiiii.numbered_sgpr, 26
	.set _ZL8moe_q3_KIN3c108BFloat16ELb1EEvPKvS3_PT_PKiS7_S7_iiiiiii.num_named_barrier, 0
	.set _ZL8moe_q3_KIN3c108BFloat16ELb1EEvPKvS3_PT_PKiS7_S7_iiiiiii.private_seg_size, 0
	.set _ZL8moe_q3_KIN3c108BFloat16ELb1EEvPKvS3_PT_PKiS7_S7_iiiiiii.uses_vcc, 1
	.set _ZL8moe_q3_KIN3c108BFloat16ELb1EEvPKvS3_PT_PKiS7_S7_iiiiiii.uses_flat_scratch, 0
	.set _ZL8moe_q3_KIN3c108BFloat16ELb1EEvPKvS3_PT_PKiS7_S7_iiiiiii.has_dyn_sized_stack, 0
	.set _ZL8moe_q3_KIN3c108BFloat16ELb1EEvPKvS3_PT_PKiS7_S7_iiiiiii.has_recursion, 0
	.set _ZL8moe_q3_KIN3c108BFloat16ELb1EEvPKvS3_PT_PKiS7_S7_iiiiiii.has_indirect_call, 0
	.section	.AMDGPU.csdata,"",@progbits
; Kernel info:
; codeLenInByte = 26956
; TotalNumSgprs: 28
; NumVgprs: 207
; ScratchSize: 0
; MemoryBound: 0
; FloatMode: 240
; IeeeMode: 1
; LDSByteSize: 31776 bytes/workgroup (compile time only)
; SGPRBlocks: 0
; VGPRBlocks: 25
; NumSGPRsForWavesPerEU: 28
; NumVGPRsForWavesPerEU: 207
; Occupancy: 4
; WaveLimiterHint : 1
; COMPUTE_PGM_RSRC2:SCRATCH_EN: 0
; COMPUTE_PGM_RSRC2:USER_SGPR: 6
; COMPUTE_PGM_RSRC2:TRAP_HANDLER: 0
; COMPUTE_PGM_RSRC2:TGID_X_EN: 1
; COMPUTE_PGM_RSRC2:TGID_Y_EN: 1
; COMPUTE_PGM_RSRC2:TGID_Z_EN: 0
; COMPUTE_PGM_RSRC2:TIDIG_COMP_CNT: 1
	.section	.text._ZL8moe_q4_KIN3c108BFloat16ELb0EEvPKvS3_PT_PKiS7_S7_iiiiiii,"axG",@progbits,_ZL8moe_q4_KIN3c108BFloat16ELb0EEvPKvS3_PT_PKiS7_S7_iiiiiii,comdat
	.globl	_ZL8moe_q4_KIN3c108BFloat16ELb0EEvPKvS3_PT_PKiS7_S7_iiiiiii ; -- Begin function _ZL8moe_q4_KIN3c108BFloat16ELb0EEvPKvS3_PT_PKiS7_S7_iiiiiii
	.p2align	8
	.type	_ZL8moe_q4_KIN3c108BFloat16ELb0EEvPKvS3_PT_PKiS7_S7_iiiiiii,@function
_ZL8moe_q4_KIN3c108BFloat16ELb0EEvPKvS3_PT_PKiS7_S7_iiiiiii: ; @_ZL8moe_q4_KIN3c108BFloat16ELb0EEvPKvS3_PT_PKiS7_S7_iiiiiii
; %bb.0:
	s_load_dwordx4 s[0:3], s[4:5], 0x18
	s_mov_b32 s8, s7
	s_mov_b32 s9, 0
	s_lshl_b64 s[10:11], s[8:9], 2
	s_waitcnt lgkmcnt(0)
	s_add_u32 s2, s2, s10
	s_addc_u32 s3, s3, s11
	s_load_dword s14, s[2:3], 0x0
	s_waitcnt lgkmcnt(0)
	s_cmpk_gt_u32 s14, 0xff
	s_cbranch_scc1 .LBB231_26
; %bb.1:
	s_load_dwordx2 s[2:3], s[4:5], 0x28
	s_waitcnt lgkmcnt(0)
	s_load_dword s3, s[2:3], 0x0
	s_lshl_b32 s2, s8, 3
	s_waitcnt lgkmcnt(0)
	s_cmp_gt_u32 s2, s3
	s_cbranch_scc1 .LBB231_26
; %bb.2:
	v_add_nc_u32_e32 v22, s2, v1
	v_mov_b32_e32 v23, 0
	s_lshl_b32 s16, s6, 7
	v_lshlrev_b64 v[2:3], 2, v[22:23]
	v_mov_b32_e32 v119, v23
	v_mov_b32_e32 v120, v23
	;; [unrolled: 1-line block ×3, first 2 shown]
	v_add_co_u32 v2, vcc_lo, s0, v2
	v_add_co_ci_u32_e64 v3, null, s1, v3, vcc_lo
	global_load_dword v32, v[2:3], off
	s_clause 0x2
	s_load_dwordx2 s[2:3], s[4:5], 0x30
	s_load_dwordx2 s[12:13], s[4:5], 0x10
	s_load_dwordx4 s[8:11], s[4:5], 0x3c
	s_waitcnt lgkmcnt(0)
	s_cmpk_lt_i32 s3, 0x100
	s_cbranch_scc1 .LBB231_17
; %bb.3:
	s_ashr_i32 s0, s3, 31
	s_mul_i32 s18, s14, s2
	s_lshr_b32 s0, s0, 24
	s_abs_i32 s2, s11
	s_add_i32 s0, s3, s0
	v_lshlrev_b32_e32 v5, 3, v1
	s_ashr_i32 s17, s0, 8
	v_lshrrev_b32_e32 v7, 2, v0
	s_lshl_b32 s0, s17, 3
	v_cvt_f32_u32_e32 v11, s2
	v_mad_i32_i24 v6, s17, v1, s0
	v_lshl_add_u32 v3, v1, 5, v0
	v_add_nc_u32_e32 v16, v7, v5
	v_add_nc_u16 v5, v7, v5
	v_rcp_iflag_f32_e32 v7, v11
	v_add_nc_u32_e32 v8, s0, v6
	v_and_b32_e32 v14, 0x7f, v3
	v_lshrrev_b32_e32 v3, 3, v3
	v_and_b32_e32 v9, 3, v0
	s_sub_i32 s14, 0, s2
	v_add_nc_u32_e32 v10, s0, v8
	v_mul_i32_i24_e32 v25, s17, v14
	v_and_b32_e32 v3, 12, v3
	v_lshlrev_b32_e32 v14, 2, v14
	v_mul_f32_e32 v7, 0x4f7ffffe, v7
	v_add_nc_u32_e32 v12, s0, v10
	v_add_nc_u32_e32 v17, 0xfe, v9
	v_cmp_gt_u32_e32 vcc_lo, 2, v9
	v_add3_u32 v43, v14, v3, 0x4e40
	v_cvt_u32_f32_e32 v3, v7
	v_add_nc_u32_e32 v15, s0, v12
	v_and_b32_e32 v17, 0xff, v17
	s_ashr_i32 s1, s9, 31
	v_lshlrev_b32_e32 v19, 2, v9
	v_mul_lo_u32 v22, s14, v3
	v_add_nc_u32_e32 v20, s0, v15
	v_cndmask_b32_e32 v7, v17, v9, vcc_lo
	v_cmp_ne_u32_e32 vcc_lo, 0, v9
	s_lshr_b32 s1, s1, 27
	s_waitcnt vmcnt(0)
	v_sub_nc_u32_e32 v30, 0, v32
	s_add_i32 s1, s9, s1
	v_add_nc_u32_e32 v11, s0, v20
	s_ashr_i32 s9, s1, 5
	v_cmp_lt_u32_e64 s1, 1, v9
	v_add_co_ci_u32_e64 v9, null, 0, v7, vcc_lo
	v_lshlrev_b32_e32 v44, 1, v7
	v_mul_hi_u32 v7, v3, v22
	v_add_nc_u32_e32 v23, s0, v11
	v_max_i32_e32 v30, v32, v30
	v_lshlrev_b32_e32 v4, 2, v0
	v_and_b32_e32 v16, 0x7f, v16
	v_lshrrev_b16 v5, 1, v5
	v_add_nc_u32_e32 v24, s0, v23
	v_lshl_add_u32 v47, v1, 7, 0x4a40
	v_add_nc_u32_e32 v3, v3, v7
	v_and_b32_e32 v18, 4, v4
	v_mul_i32_i24_e32 v17, s17, v16
	v_add_nc_u32_e32 v26, s0, v24
	v_xor_b32_e32 v27, 64, v16
	v_mul_hi_u32 v3, v30, v3
	v_lshl_or_b32 v16, v16, 4, v19
	v_and_b32_e32 v5, 60, v5
	v_cndmask_b32_e64 v42, 0, v18, s1
	v_add_nc_u32_e32 v18, s0, v26
	v_lshrrev_b32_e32 v48, 3, v0
	v_add_nc_u32_e32 v7, 32, v0
	v_add3_u32 v45, v16, v5, 0x4200
	v_and_b32_e32 v5, 31, v0
	v_lshrrev_b32_e32 v22, 1, v27
	v_lshl_or_b32 v19, v27, 4, v19
	v_mul_i32_i24_e32 v16, s17, v27
	v_mul_lo_u32 v27, v3, s2
	v_add_nc_u32_e32 v14, s0, v18
	v_lshl_add_u32 v49, v5, 2, v47
	v_add_nc_u32_e32 v5, v48, v4
	v_lshrrev_b32_e32 v50, 3, v7
	v_lshrrev_b32_e32 v2, 5, v0
	v_add_nc_u32_e32 v28, s0, v14
	s_load_dwordx4 s[4:7], s[4:5], 0x0
	v_lshl_add_u32 v52, v5, 2, 0x4200
	v_lshl_add_u32 v5, v7, 2, v50
	v_sub_nc_u32_e32 v27, v30, v27
	v_add_nc_u32_e32 v29, s0, v28
	v_add_nc_u32_e32 v30, 1, v3
	v_lshlrev_b32_e32 v31, 2, v2
	v_lshl_add_u32 v54, v5, 2, 0x4200
	v_subrev_nc_u32_e32 v5, s2, v27
	v_cmp_le_u32_e64 s0, s2, v27
	v_and_b32_e32 v7, 60, v50
	v_add3_u32 v53, v4, v31, 0x4e40
	v_xor_b32_e32 v31, s11, v32
	s_mul_i32 s20, s17, s16
	v_cndmask_b32_e64 v3, v3, v30, s0
	v_cndmask_b32_e64 v5, v27, v5, s0
	v_add3_u32 v55, v4, v7, 0x4e40
	v_add_nc_u32_e32 v7, 64, v0
	v_add_nc_u32_e32 v30, 0x60, v0
	;; [unrolled: 1-line block ×3, first 2 shown]
	v_cmp_le_u32_e64 s0, s2, v5
	v_ashrrev_i32_e32 v31, 31, v31
	v_lshrrev_b32_e32 v56, 3, v7
	v_lshrrev_b32_e32 v57, 3, v30
	s_mul_hi_i32 s15, s20, 0x90
	v_cndmask_b32_e64 v3, v3, v27, s0
	s_mul_i32 s14, s20, 0x90
	v_lshl_add_u32 v5, v7, 2, v56
	v_and_b32_e32 v7, 60, v56
	v_mul_i32_i24_e32 v21, s17, v1
	v_xor_b32_e32 v56, v3, v31
	v_mad_u64_u32 v[2:3], null, 0x90, v2, s[14:15]
	v_and_b32_e32 v22, 60, v22
	v_lshl_add_u32 v27, v30, 2, v57
	v_and_b32_e32 v30, 60, v57
	v_and_b32_e32 v13, 0x7c, v4
	v_mad_u32_u24 v33, 0x84, v1, v4
	v_add3_u32 v46, v19, v22, 0x4200
	v_add_nc_u32_e32 v19, 0x5050, v4
	v_and_b32_e32 v22, 28, v4
	v_sub_nc_u32_e32 v31, v56, v31
	v_lshl_add_u32 v56, v5, 2, 0x4200
	v_add3_u32 v57, v4, v7, 0x4e40
	v_add3_u32 v59, v4, v30, 0x4e40
	v_mad_u64_u32 v[4:5], null, 0x90, v21, v[2:3]
	s_waitcnt lgkmcnt(0)
	v_add_co_u32 v21, s2, s6, v22
	v_add_co_ci_u32_e64 v22, null, s7, 0, s2
	v_mad_u64_u32 v[6:7], null, 0x90, v6, v[2:3]
	v_add_co_u32 v4, s2, v4, v13
	v_add_co_ci_u32_e64 v5, null, 0, v5, s2
	v_lshl_add_u32 v58, v27, 2, 0x4200
	v_add_co_u32 v27, s2, s4, v4
	v_add_co_ci_u32_e64 v30, null, s5, v5, s2
	v_mad_u64_u32 v[4:5], null, 0x90, v8, v[2:3]
	v_add_co_u32 v6, s2, v6, v13
	v_add_co_ci_u32_e64 v7, null, 0, v7, s2
	v_add_co_u32 v61, s2, v27, 16
	v_add_co_ci_u32_e64 v62, null, 0, v30, s2
	v_add_co_u32 v6, s2, s4, v6
	v_add_co_ci_u32_e64 v7, null, s5, v7, s2
	v_add_co_u32 v8, s2, v4, v13
	v_add_co_ci_u32_e64 v27, null, 0, v5, s2
	v_mad_u64_u32 v[4:5], null, 0x90, v10, v[2:3]
	v_add_co_u32 v63, s2, v6, 16
	v_add_co_ci_u32_e64 v64, null, 0, v7, s2
	v_add_co_u32 v6, s2, s4, v8
	v_add_co_ci_u32_e64 v7, null, s5, v27, s2
	v_add_co_u32 v8, s2, v4, v13
	v_add_co_ci_u32_e64 v10, null, 0, v5, s2
	v_mad_u64_u32 v[4:5], null, 0x90, v12, v[2:3]
	v_add_co_u32 v65, s2, v6, 16
	v_add_co_ci_u32_e64 v66, null, 0, v7, s2
	v_add_co_u32 v6, s2, s4, v8
	v_add_co_ci_u32_e64 v7, null, s5, v10, s2
	v_add_co_u32 v8, s2, v4, v13
	v_add_co_ci_u32_e64 v10, null, 0, v5, s2
	;; [unrolled: 7-line block ×11, first 2 shown]
	v_mad_u64_u32 v[4:5], null, 0x90, v29, v[2:3]
	v_add_co_u32 v85, s2, v6, 16
	s_mul_i32 s21, s17, 0x78
	v_add_co_ci_u32_e64 v86, null, 0, v7, s2
	v_add_co_u32 v6, s2, s4, v8
	v_lshlrev_b32_e32 v51, 4, v1
	v_mad_i32_i24 v1, s17, v1, s21
	v_add_co_ci_u32_e64 v7, null, s5, v10, s2
	v_add_co_u32 v4, s2, v4, v13
	v_add_co_ci_u32_e64 v5, null, 0, v5, s2
	v_mad_u64_u32 v[1:2], null, 0x90, v1, v[2:3]
	v_add_co_u32 v4, s2, s4, v4
	v_add_co_ci_u32_e64 v5, null, s5, v5, s2
	v_add_co_u32 v87, s2, v6, 16
	v_add_co_ci_u32_e64 v88, null, 0, v7, s2
	;; [unrolled: 2-line block ×4, first 2 shown]
	v_mad_u64_u32 v[1:2], null, 0x90, v17, 0
	v_add_co_u32 v3, s2, s4, v3
	v_add_co_ci_u32_e64 v4, null, s5, v4, s2
	v_cndmask_b32_e64 v5, 0, 1, s1
	v_add_co_u32 v91, s1, v3, 16
	v_add_co_ci_u32_e64 v92, null, 0, v4, s1
	v_mad_u64_u32 v[3:4], null, 0x90, v16, 0
	v_add_co_u32 v1, s1, s14, v1
	v_lshlrev_b32_e32 v5, 2, v5
	v_lshlrev_b32_e32 v7, 2, v9
	v_add_co_ci_u32_e64 v2, null, s15, v2, s1
	v_add_co_u32 v3, s1, s14, v3
	v_or_b32_e32 v6, v1, v5
	v_add_co_ci_u32_e64 v4, null, s15, v4, s1
	v_add_co_u32 v1, s1, v1, v7
	v_add_co_ci_u32_e64 v8, null, 0, v2, s1
	v_add_co_u32 v6, s1, s4, v6
	;; [unrolled: 2-line block ×5, first 2 shown]
	v_or_b32_e32 v1, v3, v5
	v_cmp_gt_u32_e32 vcc_lo, 4, v0
	v_cmp_gt_i32_e64 s0, s8, v31
	v_add_co_ci_u32_e64 v96, null, 0, v8, s1
	v_add_co_u32 v2, s1, v3, v7
	v_add_co_ci_u32_e64 v3, null, 0, v4, s1
	v_add_co_u32 v1, s1, s4, v1
	v_mul_lo_u32 v60, v31, s9
	s_ashr_i32 s19, s18, 31
	s_and_b32 s20, vcc_lo, s0
	v_add_co_ci_u32_e64 v4, null, s5, v4, s1
	v_add_co_u32 v2, s1, s4, v2
	s_add_u32 s22, s4, s14
	s_addc_u32 s23, s5, s15
	v_add_co_ci_u32_e64 v3, null, s5, v3, s1
	v_mul_u32_u24_e32 v107, 0x84, v0
	v_add_co_u32 v97, s1, v1, 4
	v_mad_u64_u32 v[24:25], null, 0x90, v25, s[22:23]
	v_add_co_ci_u32_e64 v98, null, 0, v4, s1
	v_add_co_u32 v99, s1, v2, 4
	v_mov_b32_e32 v118, 0
	v_add_nc_u32_e32 v34, 0x840, v33
	v_add_nc_u32_e32 v35, 0xc60, v33
	;; [unrolled: 1-line block ×8, first 2 shown]
	v_add_co_ci_u32_e64 v100, null, 0, v3, s1
	v_add_nc_u32_e32 v101, v19, v51
	v_add_nc_u32_e32 v102, 0x2940, v33
	;; [unrolled: 1-line block ×7, first 2 shown]
	v_ashrrev_i32_e32 v109, 31, v60
	v_add_nc_u32_e32 v110, 0x1080, v107
	v_add_nc_u32_e32 v111, 0x1088, v107
	;; [unrolled: 1-line block ×7, first 2 shown]
	v_mov_b32_e32 v117, v0
	v_mov_b32_e32 v120, 0
	;; [unrolled: 1-line block ×4, first 2 shown]
	s_movk_i32 s2, 0x80
	s_branch .LBB231_6
.LBB231_4:                              ;   in Loop: Header=BB231_6 Depth=1
	s_or_b32 exec_lo, exec_lo, s4
	s_waitcnt lgkmcnt(0)
	s_barrier
	buffer_gl0_inv
	ds_read2_b32 v[28:29], v107 offset0:16 offset1:17
	ds_read_b128 v[17:20], v47
	ds_read_b128 v[9:12], v47 offset:16
	ds_read2_b32 v[30:31], v107 offset0:18 offset1:19
	ds_read_b128 v[13:16], v47 offset:32
	ds_read_b128 v[5:8], v47 offset:48
	ds_read_b32 v121, v53
	v_mov_b32_e32 v127, 0
	ds_read2_b32 v[124:125], v107 offset0:20 offset1:21
	ds_read2_b32 v[26:27], v52 offset0:1 offset1:3
	v_add_nc_u32_e32 v122, 0x10c0, v107
	v_mov_b32_e32 v128, 0
	ds_read_b128 v[1:4], v51 offset:20560
	ds_read2_b32 v[130:131], v107 offset0:22 offset1:23
	ds_read2_b32 v[132:133], v107 offset0:24 offset1:25
	v_add_nc_u32_e32 v123, 0x10c8, v107
	v_mov_b32_e32 v129, 0
	v_add_nc_u32_e32 v126, 0x10d0, v107
	v_add_nc_u32_e32 v138, 0x2140, v107
	v_mov_b32_e32 v151, 0
	v_mov_b32_e32 v153, 0
	v_add_nc_u32_e32 v148, 0x31c0, v107
	s_waitcnt lgkmcnt(11)
	v_and_b32_e32 v134, 0xf0f0f0f, v28
	v_and_b32_e32 v136, 0xf0f0f0f, v29
	v_lshrrev_b32_e32 v28, 4, v28
	v_lshrrev_b32_e32 v29, 4, v29
	v_mov_b32_e32 v155, 0
	s_waitcnt lgkmcnt(10)
	v_dot4c_i32_i8 v127, v134, v17
	ds_read2_b32 v[134:135], v122 offset1:1
	s_waitcnt lgkmcnt(9)
	v_and_b32_e32 v122, 0xf0f0f0f, v30
	v_and_b32_e32 v28, 0xf0f0f0f, v28
	v_lshrrev_b32_e32 v30, 4, v30
	v_dot4c_i32_i8 v127, v136, v18
	v_and_b32_e32 v136, 0xf0f0f0f, v31
	v_and_b32_e32 v29, 0xf0f0f0f, v29
	s_waitcnt lgkmcnt(8)
	v_dot4c_i32_i8 v128, v28, v13
	s_waitcnt lgkmcnt(5)
	v_and_b32_e32 v28, 0xf0f0f0f, v124
	v_dot4c_i32_i8 v127, v122, v19
	v_lshrrev_b32_e32 v31, 4, v31
	v_and_b32_e32 v30, 0xf0f0f0f, v30
	v_dot4c_i32_i8 v128, v29, v14
	v_and_b32_e32 v122, 0xf0f0f0f, v125
	v_dot4c_i32_i8 v127, v136, v20
	v_and_b32_e32 v31, 0xf0f0f0f, v31
	v_lshrrev_b32_e32 v124, 4, v124
	v_dot4c_i32_i8 v128, v30, v15
	s_waitcnt lgkmcnt(2)
	v_and_b32_e32 v30, 0xf0f0f0f, v130
	v_dot4c_i32_i8 v127, v28, v9
	ds_read2_b32 v[28:29], v123 offset1:1
	v_and_b32_e32 v136, 0xf0f0f0f, v124
	v_dot4c_i32_i8 v128, v31, v16
	s_waitcnt lgkmcnt(1)
	v_and_b32_e32 v31, 0xf0f0f0f, v134
	v_dot4c_i32_i8 v127, v122, v10
	ds_read_b32 v122, v55 offset:128
	ds_read_b32 v123, v57 offset:256
	;; [unrolled: 1-line block ×3, first 2 shown]
	v_lshrrev_b32_e32 v125, 4, v125
	v_dot4c_i32_i8 v128, v136, v5
	v_dot4c_i32_i8 v129, v31, v17
	;; [unrolled: 1-line block ×3, first 2 shown]
	ds_read2_b32 v[30:31], v126 offset1:1
	v_and_b32_e32 v136, 0xf0f0f0f, v135
	v_add_nc_u32_e32 v126, 0x10d8, v107
	v_and_b32_e32 v125, 0xf0f0f0f, v125
	v_lshrrev_b32_e32 v130, 4, v130
	v_and_b32_e32 v140, 0xf0f0f0f, v131
	v_dot4c_i32_i8 v129, v136, v18
	ds_read2_b32 v[136:137], v126 offset1:1
	ds_read2_b32 v[138:139], v138 offset1:1
	v_dot4c_i32_i8 v128, v125, v6
	v_and_b32_e32 v125, 0xf0f0f0f, v130
	s_waitcnt lgkmcnt(6)
	v_and_b32_e32 v126, 0xf0f0f0f, v28
	v_lshrrev_b32_e32 v130, 4, v131
	v_lshrrev_b32_e32 v131, 4, v134
	;; [unrolled: 1-line block ×3, first 2 shown]
	v_dot4c_i32_i8 v128, v125, v7
	v_dot4c_i32_i8 v129, v126, v19
	v_and_b32_e32 v126, 0xf0f0f0f, v29
	v_and_b32_e32 v125, 0xf0f0f0f, v130
	;; [unrolled: 1-line block ×3, first 2 shown]
	v_lshrrev_b32_e32 v131, 4, v135
	v_and_b32_e32 v28, 0xf0f0f0f, v28
	v_dot4c_i32_i8 v129, v126, v20
	s_waitcnt lgkmcnt(2)
	v_and_b32_e32 v126, 0xf0f0f0f, v30
	v_dot4c_i32_i8 v128, v125, v8
	v_and_b32_e32 v125, 0xf0f0f0f, v31
	v_dot4c_i32_i8 v151, v130, v13
	s_waitcnt lgkmcnt(1)
	v_and_b32_e32 v142, 0xf0f0f0f, v136
	v_dot4c_i32_i8 v129, v126, v9
	v_and_b32_e32 v126, 0xf0f0f0f, v131
	v_lshrrev_b32_e32 v29, 4, v29
	v_lshrrev_b32_e32 v30, 4, v30
	v_dot4c_i32_i8 v127, v140, v12
	v_dot4c_i32_i8 v129, v125, v10
	;; [unrolled: 1-line block ×3, first 2 shown]
	v_and_b32_e32 v126, 0xf0f0f0f, v29
	ds_read2_b32 v[130:131], v107 offset0:26 offset1:27
	ds_read2_b32 v[134:135], v107 offset0:28 offset1:29
	;; [unrolled: 1-line block ×3, first 2 shown]
	v_and_b32_e32 v30, 0xf0f0f0f, v30
	v_dot4c_i32_i8 v129, v142, v11
	v_dot4c_i32_i8 v151, v28, v15
	v_add_nc_u32_e32 v142, 0x2148, v107
	v_and_b32_e32 v144, 0xf0f0f0f, v137
	v_lshrrev_b32_e32 v31, 4, v31
	ds_read2_b32 v[28:29], v54 offset0:1 offset1:3
	v_dot4c_i32_i8 v151, v126, v16
	ds_read2_b32 v[142:143], v142 offset1:1
	v_dot4c_i32_i8 v129, v144, v12
	s_waitcnt lgkmcnt(5)
	v_and_b32_e32 v126, 0xf0f0f0f, v138
	v_and_b32_e32 v31, 0xf0f0f0f, v31
	v_dot4c_i32_i8 v151, v30, v5
	v_add_nc_u32_e32 v30, 0x2150, v107
	v_lshrrev_b32_e32 v136, 4, v136
	v_dot4c_i32_i8 v153, v126, v17
	v_and_b32_e32 v126, 0xf0f0f0f, v139
	v_dot4c_i32_i8 v151, v31, v6
	ds_read2_b32 v[144:145], v30 offset1:1
	v_add_nc_u32_e32 v30, 0x2158, v107
	ds_read2_b32 v[146:147], v30 offset1:1
	ds_read2_b32 v[148:149], v148 offset1:1
	v_dot4c_i32_i8 v153, v126, v18
	v_lshrrev_b32_e32 v126, 4, v138
	v_and_b32_e32 v31, 0xf0f0f0f, v136
	s_waitcnt lgkmcnt(3)
	v_and_b32_e32 v30, 0xf0f0f0f, v142
	v_lshrrev_b32_e32 v136, 4, v139
	v_add_nc_u32_e32 v139, 0x31c8, v107
	v_and_b32_e32 v126, 0xf0f0f0f, v126
	v_dot4c_i32_i8 v151, v31, v7
	v_dot4c_i32_i8 v153, v30, v19
	v_and_b32_e32 v30, 0xf0f0f0f, v143
	v_lshrrev_b32_e32 v31, 4, v137
	v_dot4c_i32_i8 v155, v126, v13
	v_and_b32_e32 v126, 0xf0f0f0f, v136
	v_lshrrev_b32_e32 v136, 4, v142
	v_dot4c_i32_i8 v153, v30, v20
	s_waitcnt lgkmcnt(2)
	v_and_b32_e32 v30, 0xf0f0f0f, v144
	v_lshrrev_b32_e32 v137, 4, v143
	v_dot4c_i32_i8 v155, v126, v14
	v_and_b32_e32 v136, 0xf0f0f0f, v136
	v_and_b32_e32 v138, 0xf0f0f0f, v145
	v_dot4c_i32_i8 v153, v30, v9
	v_lshrrev_b32_e32 v143, 4, v145
	v_and_b32_e32 v31, 0xf0f0f0f, v31
	v_dot4c_i32_i8 v155, v136, v15
	v_and_b32_e32 v136, 0xf0f0f0f, v137
	v_lshrrev_b32_e32 v137, 4, v144
	v_dot4c_i32_i8 v153, v138, v10
	s_waitcnt lgkmcnt(1)
	v_and_b32_e32 v138, 0xf0f0f0f, v146
	v_mov_b32_e32 v144, 0
	v_dot4c_i32_i8 v155, v136, v16
	v_and_b32_e32 v142, 0xf0f0f0f, v137
	ds_read2_b32 v[136:137], v139 offset1:1
	v_dot4c_i32_i8 v153, v138, v11
	v_and_b32_e32 v138, 0xf0f0f0f, v147
	v_and_b32_e32 v139, 0xf0f0f0f, v143
	v_dot4c_i32_i8 v155, v142, v5
	s_waitcnt lgkmcnt(1)
	v_and_b32_e32 v142, 0xf0f0f0f, v148
	v_lshrrev_b32_e32 v148, 4, v148
	v_dot4c_i32_i8 v153, v138, v12
	v_add_nc_u32_e32 v138, 0x31d0, v107
	v_dot4c_i32_i8 v155, v139, v6
	v_dot4c_i32_i8 v144, v142, v17
	v_and_b32_e32 v17, 0xf0f0f0f, v149
	v_add_nc_u32_e32 v142, 0x31d8, v107
	ds_read2_b32 v[138:139], v138 offset1:1
	v_add_nc_u32_e32 v143, 0x10e0, v107
	v_and_b32_e32 v148, 0xf0f0f0f, v148
	v_dot4c_i32_i8 v144, v17, v18
	v_mov_b32_e32 v158, 0
	v_lshrrev_b32_e32 v149, 4, v149
	v_dot4c_i32_i8 v151, v31, v8
	s_waitcnt lgkmcnt(1)
	v_and_b32_e32 v157, 0xf0f0f0f, v136
	ds_read2_b32 v[30:31], v56 offset0:1 offset1:3
	ds_read2_b32 v[17:18], v142 offset1:1
	ds_read2_b32 v[142:143], v143 offset1:1
	v_dot4c_i32_i8 v158, v148, v13
	v_and_b32_e32 v13, 0xf0f0f0f, v149
	v_dot4c_i32_i8 v144, v157, v19
	v_and_b32_e32 v19, 0xf0f0f0f, v137
	v_lshrrev_b32_e32 v136, 4, v136
	v_lshrrev_b32_e32 v146, 4, v146
	v_dot4c_i32_i8 v158, v13, v14
	v_lshrrev_b32_e32 v14, 4, v137
	v_dot4c_i32_i8 v144, v19, v20
	v_and_b32_e32 v13, 0xf0f0f0f, v136
	s_waitcnt lgkmcnt(3)
	v_and_b32_e32 v19, 0xf0f0f0f, v138
	v_cvt_f32_ubyte0_e32 v150, v27
	v_and_b32_e32 v146, 0xf0f0f0f, v146
	v_cvt_f32_ubyte1_e32 v152, v27
	v_dot4c_i32_i8 v158, v13, v15
	v_dot4c_i32_i8 v144, v19, v9
	v_and_b32_e32 v9, 0xf0f0f0f, v139
	v_and_b32_e32 v13, 0xf0f0f0f, v14
	v_lshrrev_b32_e32 v14, 4, v138
	v_dot4c_i32_i8 v155, v146, v7
	v_cvt_f32_f16_sdwa v125, v121 dst_sel:DWORD dst_unused:UNUSED_PAD src0_sel:WORD_1
	v_dot4c_i32_i8 v144, v9, v10
	v_dot4c_i32_i8 v158, v13, v16
	v_and_b32_e32 v10, 0xf0f0f0f, v14
	v_lshrrev_b32_e32 v13, 4, v139
	s_waitcnt lgkmcnt(1)
	v_and_b32_e32 v9, 0xf0f0f0f, v17
	v_lshrrev_b32_e32 v20, 4, v147
	ds_read2_b32 v[136:137], v58 offset0:1 offset1:3
	v_dot4c_i32_i8 v158, v10, v5
	v_and_b32_e32 v5, 0xff, v26
	v_and_b32_e32 v10, 0xf0f0f0f, v13
	v_bfe_u32 v13, v26, 8, 8
	v_dot4c_i32_i8 v144, v9, v11
	v_lshrrev_b32_e32 v11, 4, v17
	v_mul_lo_u32 v5, v127, v5
	v_dot4c_i32_i8 v158, v10, v6
	v_mul_lo_u32 v10, v128, v13
	v_and_b32_e32 v9, 0xf0f0f0f, v18
	v_and_b32_e32 v6, 0xf0f0f0f, v11
	;; [unrolled: 1-line block ×3, first 2 shown]
	v_cvt_f32_ubyte0_e32 v154, v29
	v_cvt_f32_ubyte1_e32 v156, v29
	v_cvt_f32_i32_e32 v5, v5
	v_dot4c_i32_i8 v158, v6, v7
	v_fma_mix_f32 v6, v1, v150, 0 op_sel:[1,0,0] op_sel_hi:[1,0,0]
	v_lshrrev_b32_e32 v7, 4, v18
	v_dot4c_i32_i8 v144, v9, v12
	v_cvt_f32_i32_e32 v9, v10
	v_and_b32_e32 v10, 0xff, v28
	v_fma_mix_f32 v5, v1, v5, 0 op_sel_hi:[1,0,0]
	v_fma_mix_f32 v6, v2, v152, v6 op_sel:[1,0,0] op_sel_hi:[1,0,0]
	v_and_b32_e32 v7, 0xf0f0f0f, v7
	v_bfe_u32 v12, v28, 8, 8
	v_mul_lo_u32 v10, v129, v10
	v_fma_mix_f32 v5, v2, v9, v5 op_sel_hi:[1,0,0]
	v_mul_f32_e32 v6, v6, v125
	v_dot4c_i32_i8 v158, v7, v8
	v_and_b32_e32 v7, 0xff, v30
	v_mul_lo_u32 v9, v151, v12
	v_dot4c_i32_i8 v155, v15, v8
	v_fma_mix_f32 v5, v5, v121, -v6 op_sel_hi:[0,1,0]
	v_cvt_f32_i32_e32 v6, v10
	v_bfe_u32 v10, v30, 8, 8
	v_mul_lo_u32 v7, v153, v7
	v_fma_mix_f32 v8, v1, v154, 0 op_sel:[1,0,0] op_sel_hi:[1,0,0]
	v_cvt_f32_ubyte0_e32 v145, v31
	v_cvt_f32_f16_sdwa v126, v122 dst_sel:DWORD dst_unused:UNUSED_PAD src0_sel:WORD_1
	v_mul_lo_u32 v10, v155, v10
	v_cvt_f32_i32_e32 v9, v9
	v_fma_mix_f32 v6, v1, v6, 0 op_sel_hi:[1,0,0]
	v_fma_mix_f32 v8, v2, v156, v8 op_sel:[1,0,0] op_sel_hi:[1,0,0]
	v_cvt_f32_ubyte1_e32 v11, v31
	v_cvt_f32_i32_e32 v12, v7
	v_fma_mix_f32 v13, v1, v145, 0 op_sel:[1,0,0] op_sel_hi:[1,0,0]
	v_add_f32_e32 v146, v118, v5
	v_fma_mix_f32 v9, v2, v9, v6 op_sel_hi:[1,0,0]
	v_mul_f32_e32 v14, v8, v126
	ds_read_b128 v[5:8], v47 offset:64
	v_cvt_f32_i32_e32 v10, v10
	v_fma_mix_f32 v12, v1, v12, 0 op_sel_hi:[1,0,0]
	v_fma_mix_f32 v11, v2, v11, v13 op_sel:[1,0,0] op_sel_hi:[1,0,0]
	s_waitcnt lgkmcnt(1)
	v_and_b32_e32 v13, 0xff, v136
	v_cvt_f32_f16_sdwa v138, v123 dst_sel:DWORD dst_unused:UNUSED_PAD src0_sel:WORD_1
	v_fma_mix_f32 v9, v9, v122, -v14 op_sel_hi:[0,1,0]
	v_fma_mix_f32 v10, v2, v10, v12 op_sel_hi:[1,0,0]
	v_and_b32_e32 v19, 0xf0f0f0f, v132
	v_mul_lo_u32 v12, v144, v13
	v_mul_f32_e32 v11, v11, v138
	v_add_f32_e32 v120, v120, v9
	v_bfe_u32 v9, v136, 8, 8
	v_mov_b32_e32 v147, 0
	v_cvt_f32_ubyte0_e32 v17, v137
	v_fma_mix_f32 v18, v10, v123, -v11 op_sel_hi:[0,1,0]
	v_and_b32_e32 v127, 0xf0f0f0f, v131
	v_mul_lo_u32 v20, v158, v9
	v_cvt_f32_i32_e32 v118, v12
	ds_read_b128 v[9:12], v47 offset:80
	ds_read_b128 v[13:16], v47 offset:96
	s_waitcnt lgkmcnt(2)
	v_dot4c_i32_i8 v147, v19, v5
	v_and_b32_e32 v19, 0xf0f0f0f, v133
	v_add_f32_e32 v148, v119, v18
	v_mov_b32_e32 v150, 0
	v_lshrrev_b32_e32 v129, 4, v133
	v_cvt_f32_i32_e32 v18, v20
	v_fma_mix_f32 v20, v1, v118, 0 op_sel_hi:[1,0,0]
	v_dot4c_i32_i8 v147, v19, v6
	v_and_b32_e32 v19, 0xf0f0f0f, v130
	v_fma_mix_f32 v1, v1, v17, 0 op_sel:[1,0,0] op_sel_hi:[1,0,0]
	v_lshrrev_b32_e32 v17, 4, v132
	v_cvt_f32_ubyte1_e32 v119, v137
	v_fma_mix_f32 v118, v2, v18, v20 op_sel_hi:[1,0,0]
	v_dot4c_i32_i8 v147, v19, v7
	v_cvt_f32_f16_sdwa v151, v124 dst_sel:DWORD dst_unused:UNUSED_PAD src0_sel:WORD_1
	v_and_b32_e32 v128, 0xf0f0f0f, v17
	ds_read_b128 v[17:20], v47 offset:112
	v_fma_mix_f32 v1, v2, v119, v1 op_sel:[1,0,0] op_sel_hi:[1,0,0]
	v_dot4c_i32_i8 v147, v127, v8
	v_and_b32_e32 v127, 0xf0f0f0f, v134
	s_waitcnt lgkmcnt(1)
	v_dot4c_i32_i8 v150, v128, v13
	v_and_b32_e32 v128, 0xf0f0f0f, v129
	v_lshrrev_b32_e32 v129, 4, v130
	v_and_b32_e32 v2, 0xf0f0f0f, v135
	v_dot4c_i32_i8 v147, v127, v9
	v_lshrrev_b32_e32 v127, 4, v131
	v_dot4c_i32_i8 v150, v128, v14
	v_and_b32_e32 v119, 0xf0f0f0f, v129
	v_mul_f32_e32 v1, v1, v151
	v_dot4c_i32_i8 v147, v2, v10
	v_and_b32_e32 v2, 0xf0f0f0f, v140
	v_lshrrev_b32_e32 v128, 4, v135
	v_dot4c_i32_i8 v150, v119, v15
	v_and_b32_e32 v119, 0xf0f0f0f, v127
	v_lshrrev_b32_e32 v127, 4, v134
	v_dot4c_i32_i8 v147, v2, v11
	v_and_b32_e32 v2, 0xf0f0f0f, v141
	v_fma_mix_f32 v135, v118, v124, -v1 op_sel_hi:[0,1,0]
	v_dot4c_i32_i8 v150, v119, v16
	v_add_nc_u32_e32 v119, 0x10e8, v107
	v_and_b32_e32 v127, 0xf0f0f0f, v127
	v_dot4c_i32_i8 v147, v2, v12
	v_and_b32_e32 v118, 0xf0f0f0f, v128
	v_add_nc_u32_e32 v128, 0x10f0, v107
	ds_read2_b32 v[1:2], v119 offset1:1
	s_waitcnt lgkmcnt(1)
	v_dot4c_i32_i8 v150, v127, v17
	v_lshrrev_b32_e32 v119, 4, v140
	v_and_b32_e32 v127, 0xf0f0f0f, v142
	v_mov_b32_e32 v140, 0
	v_lshrrev_b32_e32 v131, 4, v142
	v_dot4c_i32_i8 v150, v118, v18
	v_and_b32_e32 v129, 0xf0f0f0f, v119
	ds_read2_b32 v[118:119], v128 offset1:1
	v_dot4c_i32_i8 v140, v127, v5
	v_and_b32_e32 v127, 0xf0f0f0f, v143
	v_add_nc_u32_e32 v128, 0x10f8, v107
	v_lshrrev_b32_e32 v133, 4, v141
	v_and_b32_e32 v131, 0xf0f0f0f, v131
	v_mov_b32_e32 v141, 0
	v_dot4c_i32_i8 v140, v127, v6
	v_lshrrev_b32_e32 v134, 4, v143
	v_add_nc_u32_e32 v130, 0x2160, v107
	v_dot4c_i32_i8 v150, v129, v19
	ds_read2_b32 v[127:128], v128 offset1:1
	ds_read2_b32 v[129:130], v130 offset1:1
	s_waitcnt lgkmcnt(3)
	v_and_b32_e32 v132, 0xf0f0f0f, v1
	v_dot4c_i32_i8 v141, v131, v13
	v_and_b32_e32 v131, 0xf0f0f0f, v134
	v_lshrrev_b32_e32 v1, 4, v1
	v_and_b32_e32 v133, 0xf0f0f0f, v133
	v_dot4c_i32_i8 v140, v132, v7
	v_and_b32_e32 v132, 0xf0f0f0f, v2
	v_dot4c_i32_i8 v141, v131, v14
	v_and_b32_e32 v1, 0xf0f0f0f, v1
	v_lshrrev_b32_e32 v2, 4, v2
	v_dot4c_i32_i8 v150, v133, v20
	v_dot4c_i32_i8 v140, v132, v8
	s_waitcnt lgkmcnt(2)
	v_and_b32_e32 v132, 0xf0f0f0f, v118
	v_dot4c_i32_i8 v141, v1, v15
	v_and_b32_e32 v133, 0xf0f0f0f, v2
	v_lshrrev_b32_e32 v118, 4, v118
	v_and_b32_e32 v131, 0xf0f0f0f, v119
	v_dot4c_i32_i8 v140, v132, v9
	v_add_nc_u32_e32 v132, 0x2168, v107
	v_dot4c_i32_i8 v141, v133, v16
	v_and_b32_e32 v118, 0xf0f0f0f, v118
	v_mov_b32_e32 v142, 0
	v_dot4c_i32_i8 v140, v131, v10
	ds_read2_b32 v[1:2], v132 offset1:1
	v_add_nc_u32_e32 v132, 0x2170, v107
	s_waitcnt lgkmcnt(1)
	v_and_b32_e32 v131, 0xf0f0f0f, v129
	v_dot4c_i32_i8 v141, v118, v17
	v_lshrrev_b32_e32 v133, 4, v119
	v_add_nc_u32_e32 v134, 0x31e0, v107
	ds_read2_b32 v[118:119], v132 offset1:1
	v_dot4c_i32_i8 v142, v131, v5
	v_and_b32_e32 v131, 0xf0f0f0f, v130
	v_add_nc_u32_e32 v132, 0x2178, v107
	v_and_b32_e32 v143, 0xf0f0f0f, v127
	v_and_b32_e32 v153, 0xf0f0f0f, v133
	v_lshrrev_b32_e32 v127, 4, v127
	v_dot4c_i32_i8 v142, v131, v6
	ds_read2_b32 v[131:132], v132 offset1:1
	ds_read2_b32 v[133:134], v134 offset1:1
	v_lshrrev_b32_e32 v129, 4, v129
	v_dot4c_i32_i8 v141, v153, v18
	v_and_b32_e32 v127, 0xf0f0f0f, v127
	v_dot4c_i32_i8 v140, v143, v11
	v_and_b32_e32 v143, 0xf0f0f0f, v128
	s_waitcnt lgkmcnt(3)
	v_and_b32_e32 v154, 0xf0f0f0f, v1
	v_and_b32_e32 v153, 0xf0f0f0f, v2
	v_dot4c_i32_i8 v141, v127, v19
	v_lshrrev_b32_e32 v128, 4, v128
	v_and_b32_e32 v129, 0xf0f0f0f, v129
	v_dot4c_i32_i8 v142, v154, v7
	s_waitcnt lgkmcnt(2)
	v_and_b32_e32 v127, 0xf0f0f0f, v118
	v_lshrrev_b32_e32 v130, 4, v130
	v_and_b32_e32 v128, 0xf0f0f0f, v128
	v_lshrrev_b32_e32 v1, 4, v1
	v_dot4c_i32_i8 v142, v153, v8
	v_mov_b32_e32 v153, 0
	v_lshrrev_b32_e32 v2, 4, v2
	v_dot4c_i32_i8 v141, v128, v20
	v_and_b32_e32 v1, 0xf0f0f0f, v1
	v_dot4c_i32_i8 v142, v127, v9
	v_and_b32_e32 v127, 0xf0f0f0f, v119
	;; [unrolled: 2-line block ×3, first 2 shown]
	v_add_nc_u32_e32 v128, 0x31e8, v107
	v_lshrrev_b32_e32 v118, 4, v118
	v_dot4c_i32_i8 v142, v127, v10
	s_waitcnt lgkmcnt(1)
	v_and_b32_e32 v127, 0xf0f0f0f, v131
	v_dot4c_i32_i8 v153, v129, v14
	v_and_b32_e32 v129, 0xf0f0f0f, v2
	v_and_b32_e32 v118, 0xf0f0f0f, v118
	v_lshrrev_b32_e32 v119, 4, v119
	v_dot4c_i32_i8 v142, v127, v11
	v_and_b32_e32 v127, 0xf0f0f0f, v132
	v_dot4c_i32_i8 v153, v1, v15
	ds_read2_b32 v[1:2], v128 offset1:1
	v_mov_b32_e32 v128, 0
	v_and_b32_e32 v130, 0xf0f0f0f, v119
	v_dot4c_i32_i8 v142, v127, v12
	v_dot4c_i32_i8 v153, v129, v16
	s_waitcnt lgkmcnt(1)
	v_and_b32_e32 v127, 0xf0f0f0f, v133
	v_add_nc_u32_e32 v129, 0x31f0, v107
	v_lshrrev_b32_e32 v131, 4, v131
	v_lshrrev_b32_e32 v139, 24, v26
	v_dot4c_i32_i8 v153, v118, v17
	v_dot4c_i32_i8 v128, v127, v5
	ds_read2_b32 v[118:119], v129 offset1:1
	v_and_b32_e32 v5, 0xf0f0f0f, v134
	v_add_nc_u32_e32 v127, 0x31f8, v107
	v_dot4c_i32_i8 v153, v130, v18
	v_and_b32_e32 v130, 0xf0f0f0f, v131
	v_mov_b32_e32 v131, 0
	v_dot4c_i32_i8 v128, v5, v6
	ds_read2_b32 v[5:6], v127 offset1:1
	v_lshrrev_b32_e32 v129, 4, v133
	s_waitcnt lgkmcnt(2)
	v_and_b32_e32 v127, 0xf0f0f0f, v1
	v_lshrrev_b32_e32 v133, 4, v134
	v_lshrrev_b32_e32 v1, 4, v1
	v_dot4c_i32_i8 v140, v143, v12
	v_and_b32_e32 v129, 0xf0f0f0f, v129
	v_dot4c_i32_i8 v128, v127, v7
	v_and_b32_e32 v7, 0xf0f0f0f, v2
	v_and_b32_e32 v1, 0xf0f0f0f, v1
	v_lshrrev_b32_e32 v2, 4, v2
	v_dot4c_i32_i8 v131, v129, v13
	v_and_b32_e32 v13, 0xf0f0f0f, v133
	v_dot4c_i32_i8 v128, v7, v8
	s_waitcnt lgkmcnt(1)
	v_and_b32_e32 v7, 0xf0f0f0f, v118
	v_lshrrev_b32_e32 v145, 24, v28
	v_lshrrev_b32_e32 v127, 4, v132
	v_dot4c_i32_i8 v131, v13, v14
	v_dot4c_i32_i8 v153, v130, v19
	;; [unrolled: 1-line block ×3, first 2 shown]
	v_and_b32_e32 v7, 0xf0f0f0f, v119
	v_and_b32_e32 v8, 0xf0f0f0f, v127
	v_dot4c_i32_i8 v131, v1, v15
	v_and_b32_e32 v1, 0xf0f0f0f, v2
	v_lshrrev_b32_e32 v2, 4, v118
	v_dot4c_i32_i8 v128, v7, v10
	s_waitcnt lgkmcnt(0)
	v_and_b32_e32 v7, 0xf0f0f0f, v5
	v_bfe_u32 v10, v26, 16, 8
	v_dot4c_i32_i8 v131, v1, v16
	v_and_b32_e32 v1, 0xf0f0f0f, v2
	v_lshrrev_b32_e32 v2, 4, v119
	v_dot4c_i32_i8 v128, v7, v11
	v_and_b32_e32 v7, 0xf0f0f0f, v6
	v_lshrrev_b32_e32 v6, 4, v6
	;; [unrolled: 3-line block ×3, first 2 shown]
	v_mul_lo_u32 v5, v147, v10
	v_dot4c_i32_i8 v128, v7, v12
	v_bfe_u32 v7, v28, 16, 8
	v_dot4c_i32_i8 v131, v1, v18
	v_mul_lo_u32 v1, v150, v139
	v_and_b32_e32 v2, 0xf0f0f0f, v2
	v_mul_lo_u32 v11, v141, v145
	v_bfe_u32 v12, v136, 16, 8
	v_cvt_f32_i32_e32 v5, v5
	v_cvt_f32_ubyte2_e32 v152, v27
	v_dot4c_i32_i8 v131, v2, v19
	v_and_b32_e32 v2, 0xf0f0f0f, v6
	v_mul_lo_u32 v6, v140, v7
	v_cvt_f32_i32_e32 v1, v1
	v_fma_mix_f32 v5, v3, v5, 0 op_sel_hi:[1,0,0]
	v_lshrrev_b32_e32 v144, 24, v30
	v_lshrrev_b32_e32 v149, 24, v136
	v_dot4c_i32_i8 v153, v8, v20
	v_dot4c_i32_i8 v131, v2, v20
	v_fma_mix_f32 v1, v4, v1, v5 op_sel_hi:[1,0,0]
	v_cvt_f32_i32_e32 v5, v6
	v_bfe_u32 v6, v30, 16, 8
	v_cvt_f32_i32_e32 v11, v11
	v_mul_lo_u32 v12, v128, v12
	v_cvt_f32_ubyte3_e32 v27, v27
	v_fma_mix_f32 v5, v3, v5, 0 op_sel_hi:[1,0,0]
	v_mul_lo_u32 v6, v142, v6
	v_cvt_f32_ubyte2_e32 v143, v29
	v_cvt_f32_ubyte2_e32 v9, v31
	v_fma_mix_f32 v7, v3, v152, 0 op_sel:[1,0,0] op_sel_hi:[1,0,0]
	v_cvt_f32_ubyte2_e32 v10, v137
	v_mul_lo_u32 v13, v153, v144
	v_fma_mix_f32 v5, v4, v11, v5 op_sel_hi:[1,0,0]
	v_mul_lo_u32 v11, v131, v149
	v_cvt_f32_ubyte3_e32 v29, v29
	v_cvt_f32_ubyte3_e32 v8, v31
	v_fma_mix_f32 v2, v4, v27, v7 op_sel:[1,0,0] op_sel_hi:[1,0,0]
	v_fma_mix_f32 v7, v3, v143, 0 op_sel:[1,0,0] op_sel_hi:[1,0,0]
	v_fma_mix_f32 v9, v3, v9, 0 op_sel:[1,0,0] op_sel_hi:[1,0,0]
	v_cvt_f32_i32_e32 v6, v6
	v_cvt_f32_i32_e32 v12, v12
	v_fma_mix_f32 v10, v3, v10, 0 op_sel:[1,0,0] op_sel_hi:[1,0,0]
	v_cvt_f32_ubyte3_e32 v14, v137
	v_fma_mix_f32 v7, v4, v29, v7 op_sel:[1,0,0] op_sel_hi:[1,0,0]
	v_cvt_f32_i32_e32 v13, v13
	v_fma_mix_f32 v6, v3, v6, 0 op_sel_hi:[1,0,0]
	v_fma_mix_f32 v8, v4, v8, v9 op_sel:[1,0,0] op_sel_hi:[1,0,0]
	v_cvt_f32_i32_e32 v9, v11
	v_fma_mix_f32 v3, v3, v12, 0 op_sel_hi:[1,0,0]
	v_fma_mix_f32 v10, v4, v14, v10 op_sel:[1,0,0] op_sel_hi:[1,0,0]
	v_mul_f32_e32 v2, v2, v125
	v_mul_f32_e32 v7, v7, v126
	v_fma_mix_f32 v6, v4, v13, v6 op_sel_hi:[1,0,0]
	v_mul_f32_e32 v8, v8, v138
	v_fma_mix_f32 v3, v4, v9, v3 op_sel_hi:[1,0,0]
	v_mul_f32_e32 v4, v10, v151
	v_add_f32_e32 v9, v23, v135
	v_fma_mix_f32 v1, v1, v121, -v2 op_sel_hi:[0,1,0]
	v_fma_mix_f32 v2, v5, v122, -v7 op_sel_hi:[0,1,0]
	;; [unrolled: 1-line block ×4, first 2 shown]
	v_add_f32_e32 v118, v146, v1
	v_add_f32_e32 v120, v120, v2
	v_add_f32_e32 v119, v148, v5
	v_add_f32_e32 v23, v9, v3
	s_barrier
	buffer_gl0_inv
.LBB231_5:                              ;   in Loop: Header=BB231_6 Depth=1
	v_add_co_u32 v61, s1, 0x90, v61
	v_add_co_ci_u32_e64 v62, null, 0, v62, s1
	v_add_co_u32 v63, s1, 0x90, v63
	v_add_co_ci_u32_e64 v64, null, 0, v64, s1
	;; [unrolled: 2-line block ×20, first 2 shown]
	v_add_co_u32 v99, s1, 0x90, v99
	v_add_nc_u32_e32 v50, 8, v50
	v_add_nc_u32_e32 v48, 8, v48
	;; [unrolled: 1-line block ×3, first 2 shown]
	v_add_co_ci_u32_e64 v100, null, 0, v100, s1
	s_add_i32 s17, s17, -1
	s_addk_i32 s2, 0x100
	s_cmp_eq_u32 s17, 0
	s_cbranch_scc1 .LBB231_17
.LBB231_6:                              ; =>This Inner Loop Header: Depth=1
	v_add_co_u32 v1, s1, v61, s18
	v_add_co_ci_u32_e64 v2, null, s19, v62, s1
	v_add_co_u32 v3, s1, v63, s18
	v_add_co_ci_u32_e64 v4, null, s19, v64, s1
	;; [unrolled: 2-line block ×4, first 2 shown]
	global_load_dword v11, v[1:2], off
	global_load_dword v12, v[3:4], off
	;; [unrolled: 1-line block ×4, first 2 shown]
	v_add_co_u32 v1, s1, v69, s18
	v_add_co_ci_u32_e64 v2, null, s19, v70, s1
	v_add_co_u32 v3, s1, v71, s18
	v_add_co_ci_u32_e64 v4, null, s19, v72, s1
	;; [unrolled: 2-line block ×5, first 2 shown]
	global_load_dword v15, v[1:2], off
	global_load_dword v16, v[3:4], off
	global_load_dword v17, v[5:6], off
	global_load_dword v18, v[7:8], off
	global_load_dword v19, v[9:10], off
	v_add_co_u32 v1, s1, v79, s18
	v_add_co_ci_u32_e64 v2, null, s19, v80, s1
	v_add_co_u32 v3, s1, v81, s18
	v_add_co_ci_u32_e64 v4, null, s19, v82, s1
	;; [unrolled: 2-line block ×5, first 2 shown]
	global_load_dword v20, v[1:2], off
	global_load_dword v26, v[3:4], off
	;; [unrolled: 1-line block ×5, first 2 shown]
	v_add_co_u32 v1, s1, v95, s18
	v_add_co_ci_u32_e64 v2, null, s19, v96, s1
	v_add_co_u32 v3, s1, v93, s18
	v_add_co_ci_u32_e64 v4, null, s19, v94, s1
	;; [unrolled: 2-line block ×4, first 2 shown]
	global_load_dword v30, v[1:2], off
	global_load_dword v31, v[3:4], off
	;; [unrolled: 1-line block ×4, first 2 shown]
	v_add_co_u32 v9, s1, v89, s18
	v_add_co_ci_u32_e64 v10, null, s19, v90, s1
	v_add_co_u32 v1, s1, v91, s18
	v_add_co_ci_u32_e64 v2, null, s19, v92, s1
	;; [unrolled: 2-line block ×3, first 2 shown]
	global_load_dword v7, v[9:10], off
	global_load_dword v1, v[1:2], off
	;; [unrolled: 1-line block ×3, first 2 shown]
	v_add_nc_u32_e32 v3, 0x420, v33
	s_add_i32 s1, s2, 0xffffff80
	s_waitcnt vmcnt(20)
	ds_write_b32 v33, v11
	s_waitcnt vmcnt(19)
	ds_write_b32 v3, v12
	;; [unrolled: 2-line block ×10, first 2 shown]
	s_cmp_lt_i32 s1, s3
	s_waitcnt vmcnt(10)
	ds_write_b32 v102, v26
	s_waitcnt vmcnt(9)
	ds_write_b32 v103, v27
	s_waitcnt vmcnt(8)
	ds_write_b32 v104, v28
	s_waitcnt vmcnt(7)
	ds_write_b32 v105, v29
	s_waitcnt vmcnt(6)
	v_ashrrev_i32_e32 v3, v42, v30
	s_waitcnt vmcnt(4)
	v_ashrrev_i32_e32 v4, v42, v5
	v_ashrrev_i32_e32 v5, v44, v31
	s_waitcnt vmcnt(3)
	v_ashrrev_i32_e32 v6, v44, v6
	v_and_b32_e32 v3, 0xf0f0f0f, v3
	v_and_b32_e32 v4, 0xf0f0f0f, v4
	v_and_or_b32 v3, 0x30303030, v5, v3
	v_and_or_b32 v4, 0x30303030, v6, v4
	s_waitcnt vmcnt(2)
	ds_write_b32 v106, v7
	s_waitcnt vmcnt(1)
	ds_write_b32 v108, v1
	;; [unrolled: 2-line block ×3, first 2 shown]
	ds_write_b32 v45, v3
	ds_write_b32 v46, v4
	s_cbranch_scc0 .LBB231_5
; %bb.7:                                ;   in Loop: Header=BB231_6 Depth=1
	v_cmp_gt_i32_e64 s1, s9, v48
	s_and_b32 s4, s0, s1
	s_and_saveexec_b32 s1, s4
	s_cbranch_execz .LBB231_9
; %bb.8:                                ;   in Loop: Header=BB231_6 Depth=1
	v_add_nc_u32_e32 v1, v60, v48
	v_mad_i64_i32 v[1:2], null, v1, 36, v[21:22]
	global_load_dword v1, v[1:2], off offset:4
	s_waitcnt vmcnt(0)
	ds_write_b32 v49, v1
.LBB231_9:                              ;   in Loop: Header=BB231_6 Depth=1
	s_or_b32 exec_lo, exec_lo, s1
	v_cmp_gt_i32_e64 s1, s9, v117
	s_and_b32 s4, s20, s1
	s_and_saveexec_b32 s1, s4
	s_cbranch_execz .LBB231_11
; %bb.10:                               ;   in Loop: Header=BB231_6 Depth=1
	v_add_nc_u32_e32 v1, v60, v117
	v_mad_i64_i32 v[1:2], null, v1, 36, s[6:7]
	global_load_dword v1, v[1:2], off
	s_waitcnt vmcnt(0)
	ds_write_b32 v101, v1
.LBB231_11:                             ;   in Loop: Header=BB231_6 Depth=1
	s_or_b32 exec_lo, exec_lo, s1
	s_waitcnt lgkmcnt(0)
	s_barrier
	buffer_gl0_inv
	ds_read2_b32 v[28:29], v107 offset1:1
	ds_read_b128 v[17:20], v47
	ds_read_b128 v[9:12], v47 offset:16
	ds_read_b128 v[13:16], v47 offset:32
	;; [unrolled: 1-line block ×3, first 2 shown]
	ds_read2_b32 v[30:31], v107 offset0:2 offset1:3
	ds_read_b32 v121, v53
	v_mov_b32_e32 v127, 0
	ds_read2_b32 v[125:126], v107 offset0:4 offset1:5
	ds_read2_b32 v[130:131], v107 offset0:6 offset1:7
	ds_read2_b32 v[26:27], v52 offset1:2
	ds_read2_b32 v[132:133], v111 offset1:1
	;; [unrolled: 1-line block ×3, first 2 shown]
	ds_read_b128 v[1:4], v51 offset:20560
	ds_read_b32 v122, v55 offset:128
	ds_read2_b32 v[136:137], v110 offset1:1
	ds_read_b32 v123, v57 offset:256
	ds_read_b32 v124, v59 offset:384
	v_mov_b32_e32 v128, 0
	v_mov_b32_e32 v129, 0
	;; [unrolled: 1-line block ×4, first 2 shown]
	v_add_nc_u32_e32 v145, 0x2118, v107
	v_add_nc_u32_e32 v146, 0x3180, v107
	v_mov_b32_e32 v153, 0
	v_mov_b32_e32 v155, 0
	v_mov_b32_e32 v158, 0
	s_waitcnt lgkmcnt(16)
	v_and_b32_e32 v138, 0xf0f0f0f, v28
	v_and_b32_e32 v140, 0xf0f0f0f, v29
	v_lshrrev_b32_e32 v28, 4, v28
	v_lshrrev_b32_e32 v29, 4, v29
	s_cmp_ge_i32 s2, s3
	s_waitcnt lgkmcnt(15)
	v_dot4c_i32_i8 v127, v138, v17
	s_waitcnt lgkmcnt(11)
	v_and_b32_e32 v141, 0xf0f0f0f, v30
	v_and_b32_e32 v28, 0xf0f0f0f, v28
	;; [unrolled: 1-line block ×3, first 2 shown]
	v_lshrrev_b32_e32 v30, 4, v30
	v_dot4c_i32_i8 v127, v140, v18
	v_and_b32_e32 v29, 0xf0f0f0f, v29
	v_dot4c_i32_i8 v128, v28, v13
	s_waitcnt lgkmcnt(9)
	v_and_b32_e32 v140, 0xf0f0f0f, v125
	v_lshrrev_b32_e32 v31, 4, v31
	v_dot4c_i32_i8 v127, v141, v19
	v_and_b32_e32 v30, 0xf0f0f0f, v30
	v_dot4c_i32_i8 v128, v29, v14
	v_and_b32_e32 v28, 0xf0f0f0f, v126
	v_lshrrev_b32_e32 v125, 4, v125
	v_dot4c_i32_i8 v127, v142, v20
	v_and_b32_e32 v31, 0xf0f0f0f, v31
	v_dot4c_i32_i8 v128, v30, v15
	v_lshrrev_b32_e32 v30, 4, v126
	s_waitcnt lgkmcnt(2)
	v_and_b32_e32 v126, 0xf0f0f0f, v136
	v_dot4c_i32_i8 v127, v140, v9
	v_and_b32_e32 v29, 0xf0f0f0f, v130
	v_dot4c_i32_i8 v128, v31, v16
	;; [unrolled: 2-line block ×3, first 2 shown]
	v_dot4c_i32_i8 v127, v28, v10
	v_and_b32_e32 v28, 0xf0f0f0f, v125
	v_lshrrev_b32_e32 v125, 4, v130
	v_and_b32_e32 v126, 0xf0f0f0f, v132
	v_dot4c_i32_i8 v129, v31, v18
	v_dot4c_i32_i8 v127, v29, v11
	v_and_b32_e32 v29, 0xf0f0f0f, v131
	v_dot4c_i32_i8 v128, v28, v5
	v_and_b32_e32 v28, 0xf0f0f0f, v30
	ds_read2_b32 v[138:139], v107 offset0:8 offset1:9
	ds_read2_b32 v[30:31], v113 offset1:1
	ds_read2_b32 v[140:141], v114 offset1:1
	v_dot4c_i32_i8 v127, v29, v12
	v_lshrrev_b32_e32 v29, 4, v131
	v_dot4c_i32_i8 v128, v28, v6
	v_and_b32_e32 v28, 0xf0f0f0f, v125
	v_dot4c_i32_i8 v129, v126, v19
	v_and_b32_e32 v125, 0xf0f0f0f, v133
	v_lshrrev_b32_e32 v126, 4, v136
	v_cvt_f32_ubyte0_e32 v148, v27
	v_dot4c_i32_i8 v128, v28, v7
	v_and_b32_e32 v28, 0xf0f0f0f, v29
	v_dot4c_i32_i8 v129, v125, v20
	v_and_b32_e32 v29, 0xf0f0f0f, v134
	v_and_b32_e32 v125, 0xf0f0f0f, v126
	v_lshrrev_b32_e32 v126, 4, v137
	v_dot4c_i32_i8 v128, v28, v8
	v_and_b32_e32 v28, 0xf0f0f0f, v135
	v_dot4c_i32_i8 v129, v29, v9
	v_dot4c_i32_i8 v149, v125, v13
	v_and_b32_e32 v29, 0xf0f0f0f, v126
	v_lshrrev_b32_e32 v125, 4, v132
	v_lshrrev_b32_e32 v126, 4, v133
	v_dot4c_i32_i8 v129, v28, v10
	s_waitcnt lgkmcnt(1)
	v_and_b32_e32 v28, 0xf0f0f0f, v30
	v_dot4c_i32_i8 v149, v29, v14
	v_and_b32_e32 v29, 0xf0f0f0f, v125
	ds_read2_b32 v[130:131], v107 offset0:10 offset1:11
	ds_read2_b32 v[132:133], v107 offset0:12 offset1:13
	;; [unrolled: 1-line block ×3, first 2 shown]
	v_and_b32_e32 v126, 0xf0f0f0f, v126
	v_dot4c_i32_i8 v129, v28, v11
	v_lshrrev_b32_e32 v134, 4, v134
	v_dot4c_i32_i8 v149, v29, v15
	ds_read2_b32 v[28:29], v54 offset1:2
	ds_read2_b32 v[142:143], v115 offset1:1
	v_and_b32_e32 v144, 0xf0f0f0f, v31
	v_lshrrev_b32_e32 v30, 4, v30
	v_cvt_f32_ubyte1_e32 v150, v27
	v_dot4c_i32_i8 v149, v126, v16
	v_and_b32_e32 v126, 0xf0f0f0f, v134
	v_lshrrev_b32_e32 v134, 4, v135
	s_waitcnt lgkmcnt(5)
	v_and_b32_e32 v135, 0xf0f0f0f, v140
	v_dot4c_i32_i8 v129, v144, v12
	v_and_b32_e32 v144, 0xf0f0f0f, v141
	v_dot4c_i32_i8 v149, v126, v5
	;; [unrolled: 2-line block ×3, first 2 shown]
	ds_read2_b32 v[134:135], v116 offset1:1
	v_and_b32_e32 v30, 0xf0f0f0f, v30
	v_lshrrev_b32_e32 v140, 4, v140
	v_dot4c_i32_i8 v149, v126, v6
	v_dot4c_i32_i8 v151, v144, v18
	ds_read2_b32 v[144:145], v145 offset1:1
	ds_read2_b32 v[146:147], v146 offset1:1
	v_cvt_f32_f16_sdwa v125, v121 dst_sel:DWORD dst_unused:UNUSED_PAD src0_sel:WORD_1
	s_waitcnt lgkmcnt(3)
	v_and_b32_e32 v126, 0xf0f0f0f, v142
	v_dot4c_i32_i8 v149, v30, v7
	v_lshrrev_b32_e32 v30, 4, v31
	v_and_b32_e32 v31, 0xf0f0f0f, v143
	v_cvt_f32_ubyte0_e32 v152, v29
	v_dot4c_i32_i8 v151, v126, v19
	v_and_b32_e32 v126, 0xf0f0f0f, v140
	v_lshrrev_b32_e32 v140, 4, v141
	v_lshrrev_b32_e32 v141, 4, v143
	v_and_b32_e32 v30, 0xf0f0f0f, v30
	v_dot4c_i32_i8 v151, v31, v20
	v_dot4c_i32_i8 v153, v126, v13
	v_and_b32_e32 v126, 0xf0f0f0f, v140
	s_waitcnt lgkmcnt(2)
	v_and_b32_e32 v31, 0xf0f0f0f, v134
	v_lshrrev_b32_e32 v140, 4, v142
	v_and_b32_e32 v142, 0xf0f0f0f, v135
	v_lshrrev_b32_e32 v134, 4, v134
	v_dot4c_i32_i8 v153, v126, v14
	v_dot4c_i32_i8 v151, v31, v9
	v_and_b32_e32 v140, 0xf0f0f0f, v140
	v_lshrrev_b32_e32 v143, 4, v135
	v_dot4c_i32_i8 v149, v30, v8
	ds_read2_b32 v[30:31], v56 offset1:2
	v_dot4c_i32_i8 v151, v142, v10
	v_dot4c_i32_i8 v153, v140, v15
	v_and_b32_e32 v140, 0xf0f0f0f, v141
	s_waitcnt lgkmcnt(2)
	v_and_b32_e32 v141, 0xf0f0f0f, v144
	v_add_nc_u32_e32 v142, 0x3188, v107
	v_lshrrev_b32_e32 v144, 4, v144
	v_cvt_f32_ubyte1_e32 v154, v29
	v_dot4c_i32_i8 v153, v140, v16
	v_and_b32_e32 v140, 0xf0f0f0f, v134
	v_dot4c_i32_i8 v151, v141, v11
	ds_read2_b32 v[134:135], v142 offset1:1
	v_and_b32_e32 v141, 0xf0f0f0f, v145
	v_and_b32_e32 v144, 0xf0f0f0f, v144
	v_dot4c_i32_i8 v153, v140, v5
	v_and_b32_e32 v140, 0xf0f0f0f, v143
	v_add_nc_u32_e32 v143, 0x10a0, v107
	v_dot4c_i32_i8 v151, v141, v12
	v_add_nc_u32_e32 v141, 0x3190, v107
	v_cvt_f32_f16_sdwa v126, v122 dst_sel:DWORD dst_unused:UNUSED_PAD src0_sel:WORD_1
	v_dot4c_i32_i8 v153, v140, v6
	s_waitcnt lgkmcnt(1)
	v_cvt_f32_ubyte0_e32 v156, v31
	ds_read2_b32 v[140:141], v141 offset1:1
	v_and_b32_e32 v142, 0xf0f0f0f, v146
	v_lshrrev_b32_e32 v146, 4, v146
	v_dot4c_i32_i8 v153, v144, v7
	v_dot4c_i32_i8 v155, v142, v17
	v_and_b32_e32 v17, 0xf0f0f0f, v147
	v_add_nc_u32_e32 v142, 0x3198, v107
	s_waitcnt lgkmcnt(1)
	v_and_b32_e32 v157, 0xf0f0f0f, v134
	v_and_b32_e32 v146, 0xf0f0f0f, v146
	v_lshrrev_b32_e32 v147, 4, v147
	v_dot4c_i32_i8 v155, v17, v18
	ds_read2_b32 v[17:18], v142 offset1:1
	ds_read2_b32 v[142:143], v143 offset1:1
	v_lshrrev_b32_e32 v134, 4, v134
	v_dot4c_i32_i8 v158, v146, v13
	v_and_b32_e32 v13, 0xf0f0f0f, v147
	v_dot4c_i32_i8 v155, v157, v19
	v_and_b32_e32 v19, 0xf0f0f0f, v135
	v_mov_b32_e32 v147, 0
	v_lshrrev_b32_e32 v146, 24, v30
	v_dot4c_i32_i8 v158, v13, v14
	v_and_b32_e32 v13, 0xf0f0f0f, v134
	v_dot4c_i32_i8 v155, v19, v20
	s_waitcnt lgkmcnt(2)
	v_and_b32_e32 v19, 0xf0f0f0f, v140
	v_lshrrev_b32_e32 v14, 4, v135
	v_lshrrev_b32_e32 v20, 4, v145
	v_dot4c_i32_i8 v158, v13, v15
	ds_read2_b32 v[134:135], v58 offset1:2
	v_dot4c_i32_i8 v155, v19, v9
	v_and_b32_e32 v9, 0xf0f0f0f, v141
	v_and_b32_e32 v13, 0xf0f0f0f, v14
	v_lshrrev_b32_e32 v14, 4, v140
	v_and_b32_e32 v15, 0xf0f0f0f, v20
	v_cvt_f32_f16_sdwa v140, v123 dst_sel:DWORD dst_unused:UNUSED_PAD src0_sel:WORD_1
	v_dot4c_i32_i8 v155, v9, v10
	v_dot4c_i32_i8 v158, v13, v16
	v_and_b32_e32 v10, 0xf0f0f0f, v14
	v_lshrrev_b32_e32 v13, 4, v141
	s_waitcnt lgkmcnt(2)
	v_and_b32_e32 v9, 0xf0f0f0f, v17
	v_dot4c_i32_i8 v153, v15, v8
	v_and_b32_e32 v19, 0xf0f0f0f, v138
	v_dot4c_i32_i8 v158, v10, v5
	v_and_b32_e32 v5, 0xff, v26
	v_and_b32_e32 v10, 0xf0f0f0f, v13
	v_bfe_u32 v13, v26, 8, 8
	v_dot4c_i32_i8 v155, v9, v11
	v_lshrrev_b32_e32 v11, 4, v17
	v_mul_lo_u32 v5, v127, v5
	v_dot4c_i32_i8 v158, v10, v6
	v_mul_lo_u32 v10, v128, v13
	v_and_b32_e32 v9, 0xf0f0f0f, v18
	v_and_b32_e32 v6, 0xf0f0f0f, v11
	v_cvt_f32_ubyte1_e32 v11, v31
	v_fma_mix_f32 v13, v1, v156, 0 op_sel:[1,0,0] op_sel_hi:[1,0,0]
	s_waitcnt lgkmcnt(0)
	v_cvt_f32_ubyte0_e32 v17, v135
	v_cvt_f32_i32_e32 v5, v5
	v_dot4c_i32_i8 v158, v6, v7
	v_fma_mix_f32 v6, v1, v148, 0 op_sel:[1,0,0] op_sel_hi:[1,0,0]
	v_lshrrev_b32_e32 v7, 4, v18
	v_dot4c_i32_i8 v155, v9, v12
	v_cvt_f32_i32_e32 v9, v10
	v_and_b32_e32 v10, 0xff, v28
	v_fma_mix_f32 v5, v1, v5, 0 op_sel_hi:[1,0,0]
	v_fma_mix_f32 v6, v2, v150, v6 op_sel:[1,0,0] op_sel_hi:[1,0,0]
	v_and_b32_e32 v7, 0xf0f0f0f, v7
	v_bfe_u32 v12, v28, 8, 8
	v_mul_lo_u32 v10, v129, v10
	v_fma_mix_f32 v5, v2, v9, v5 op_sel_hi:[1,0,0]
	v_mul_f32_e32 v6, v6, v125
	v_dot4c_i32_i8 v158, v7, v8
	v_and_b32_e32 v7, 0xff, v30
	v_mul_lo_u32 v9, v149, v12
	v_fma_mix_f32 v8, v1, v152, 0 op_sel:[1,0,0] op_sel_hi:[1,0,0]
	v_fma_mix_f32 v5, v5, v121, -v6 op_sel_hi:[0,1,0]
	v_cvt_f32_i32_e32 v6, v10
	v_bfe_u32 v10, v30, 8, 8
	v_mul_lo_u32 v7, v151, v7
	v_fma_mix_f32 v8, v2, v154, v8 op_sel:[1,0,0] op_sel_hi:[1,0,0]
	v_add_f32_e32 v144, v118, v5
	v_cvt_f32_i32_e32 v9, v9
	v_mul_lo_u32 v10, v153, v10
	v_fma_mix_f32 v6, v1, v6, 0 op_sel_hi:[1,0,0]
	v_mul_f32_e32 v14, v8, v126
	v_fma_mix_f32 v11, v2, v11, v13 op_sel:[1,0,0] op_sel_hi:[1,0,0]
	v_cvt_f32_i32_e32 v12, v7
	v_and_b32_e32 v13, 0xff, v134
	v_fma_mix_f32 v9, v2, v9, v6 op_sel_hi:[1,0,0]
	ds_read_b128 v[5:8], v47 offset:64
	v_cvt_f32_i32_e32 v10, v10
	v_fma_mix_f32 v12, v1, v12, 0 op_sel_hi:[1,0,0]
	v_mul_f32_e32 v11, v11, v140
	v_fma_mix_f32 v9, v9, v122, -v14 op_sel_hi:[0,1,0]
	v_and_b32_e32 v127, 0xf0f0f0f, v131
	v_lshrrev_b32_e32 v129, 4, v139
	v_fma_mix_f32 v10, v2, v10, v12 op_sel_hi:[1,0,0]
	v_mul_lo_u32 v12, v155, v13
	v_add_f32_e32 v120, v120, v9
	v_bfe_u32 v9, v134, 8, 8
	v_mov_b32_e32 v150, 0
	v_fma_mix_f32 v18, v10, v123, -v11 op_sel_hi:[0,1,0]
	v_lshrrev_b32_e32 v141, 24, v26
	v_lshrrev_b32_e32 v145, 24, v28
	v_mul_lo_u32 v20, v158, v9
	v_cvt_f32_i32_e32 v118, v12
	ds_read_b128 v[9:12], v47 offset:80
	ds_read_b128 v[13:16], v47 offset:96
	v_add_f32_e32 v148, v119, v18
	v_cvt_f32_ubyte1_e32 v119, v135
	s_waitcnt lgkmcnt(2)
	v_dot4c_i32_i8 v147, v19, v5
	v_and_b32_e32 v19, 0xf0f0f0f, v139
	v_cvt_f32_f16_sdwa v139, v124 dst_sel:DWORD dst_unused:UNUSED_PAD src0_sel:WORD_1
	v_cvt_f32_i32_e32 v18, v20
	v_fma_mix_f32 v20, v1, v118, 0 op_sel_hi:[1,0,0]
	v_fma_mix_f32 v1, v1, v17, 0 op_sel:[1,0,0] op_sel_hi:[1,0,0]
	v_dot4c_i32_i8 v147, v19, v6
	v_and_b32_e32 v19, 0xf0f0f0f, v130
	v_lshrrev_b32_e32 v17, 4, v138
	v_mov_b32_e32 v138, 0
	v_fma_mix_f32 v118, v2, v18, v20 op_sel_hi:[1,0,0]
	v_fma_mix_f32 v1, v2, v119, v1 op_sel:[1,0,0] op_sel_hi:[1,0,0]
	v_dot4c_i32_i8 v147, v19, v7
	v_and_b32_e32 v128, 0xf0f0f0f, v17
	ds_read_b128 v[17:20], v47 offset:112
	v_and_b32_e32 v2, 0xf0f0f0f, v133
	v_mul_f32_e32 v1, v1, v139
	v_dot4c_i32_i8 v147, v127, v8
	v_and_b32_e32 v127, 0xf0f0f0f, v132
	s_waitcnt lgkmcnt(1)
	v_dot4c_i32_i8 v138, v128, v13
	v_and_b32_e32 v128, 0xf0f0f0f, v129
	v_lshrrev_b32_e32 v129, 4, v130
	v_add_nc_u32_e32 v130, 0x2120, v107
	v_dot4c_i32_i8 v147, v127, v9
	v_lshrrev_b32_e32 v127, 4, v131
	v_dot4c_i32_i8 v138, v128, v14
	v_and_b32_e32 v119, 0xf0f0f0f, v129
	v_lshrrev_b32_e32 v128, 4, v133
	v_dot4c_i32_i8 v147, v2, v10
	v_and_b32_e32 v2, 0xf0f0f0f, v136
	v_fma_mix_f32 v133, v118, v124, -v1 op_sel_hi:[0,1,0]
	v_dot4c_i32_i8 v138, v119, v15
	v_and_b32_e32 v119, 0xf0f0f0f, v127
	v_lshrrev_b32_e32 v127, 4, v132
	v_dot4c_i32_i8 v147, v2, v11
	v_and_b32_e32 v2, 0xf0f0f0f, v137
	v_and_b32_e32 v118, 0xf0f0f0f, v128
	v_dot4c_i32_i8 v138, v119, v16
	v_add_nc_u32_e32 v119, 0x10a8, v107
	v_and_b32_e32 v127, 0xf0f0f0f, v127
	v_dot4c_i32_i8 v147, v2, v12
	v_add_nc_u32_e32 v128, 0x10b0, v107
	v_lshrrev_b32_e32 v131, 4, v142
	ds_read2_b32 v[1:2], v119 offset1:1
	s_waitcnt lgkmcnt(1)
	v_dot4c_i32_i8 v138, v127, v17
	v_lshrrev_b32_e32 v119, 4, v136
	v_and_b32_e32 v127, 0xf0f0f0f, v142
	v_lshrrev_b32_e32 v136, 4, v137
	v_and_b32_e32 v131, 0xf0f0f0f, v131
	v_dot4c_i32_i8 v138, v118, v18
	v_and_b32_e32 v129, 0xf0f0f0f, v119
	ds_read2_b32 v[118:119], v128 offset1:1
	v_dot4c_i32_i8 v150, v127, v5
	v_and_b32_e32 v127, 0xf0f0f0f, v143
	v_add_nc_u32_e32 v128, 0x10b8, v107
	v_mov_b32_e32 v142, 0
	v_lshrrev_b32_e32 v137, 4, v143
	v_dot4c_i32_i8 v138, v129, v19
	v_dot4c_i32_i8 v150, v127, v6
	ds_read2_b32 v[127:128], v128 offset1:1
	ds_read2_b32 v[129:130], v130 offset1:1
	v_dot4c_i32_i8 v142, v131, v13
	v_and_b32_e32 v131, 0xf0f0f0f, v137
	v_and_b32_e32 v136, 0xf0f0f0f, v136
	s_waitcnt lgkmcnt(3)
	v_and_b32_e32 v132, 0xf0f0f0f, v1
	v_lshrrev_b32_e32 v1, 4, v1
	v_mov_b32_e32 v143, 0
	v_dot4c_i32_i8 v142, v131, v14
	v_dot4c_i32_i8 v138, v136, v20
	;; [unrolled: 1-line block ×3, first 2 shown]
	v_and_b32_e32 v132, 0xf0f0f0f, v2
	v_and_b32_e32 v1, 0xf0f0f0f, v1
	v_lshrrev_b32_e32 v2, 4, v2
	s_waitcnt lgkmcnt(2)
	v_and_b32_e32 v131, 0xf0f0f0f, v119
	v_add_nc_u32_e32 v137, 0x31a0, v107
	v_dot4c_i32_i8 v150, v132, v8
	v_and_b32_e32 v132, 0xf0f0f0f, v118
	v_dot4c_i32_i8 v142, v1, v15
	v_and_b32_e32 v136, 0xf0f0f0f, v2
	v_lshrrev_b32_e32 v118, 4, v118
	s_waitcnt lgkmcnt(1)
	v_and_b32_e32 v152, 0xf0f0f0f, v127
	v_dot4c_i32_i8 v150, v132, v9
	v_add_nc_u32_e32 v132, 0x2128, v107
	v_dot4c_i32_i8 v142, v136, v16
	v_and_b32_e32 v118, 0xf0f0f0f, v118
	v_lshrrev_b32_e32 v136, 4, v119
	v_dot4c_i32_i8 v150, v131, v10
	ds_read2_b32 v[1:2], v132 offset1:1
	v_add_nc_u32_e32 v132, 0x2130, v107
	s_waitcnt lgkmcnt(1)
	v_and_b32_e32 v131, 0xf0f0f0f, v129
	v_dot4c_i32_i8 v142, v118, v17
	v_and_b32_e32 v153, 0xf0f0f0f, v136
	v_lshrrev_b32_e32 v127, 4, v127
	ds_read2_b32 v[118:119], v132 offset1:1
	v_dot4c_i32_i8 v143, v131, v5
	v_and_b32_e32 v131, 0xf0f0f0f, v130
	v_add_nc_u32_e32 v132, 0x2138, v107
	v_dot4c_i32_i8 v142, v153, v18
	v_and_b32_e32 v127, 0xf0f0f0f, v127
	v_lshrrev_b32_e32 v129, 4, v129
	v_dot4c_i32_i8 v143, v131, v6
	ds_read2_b32 v[131:132], v132 offset1:1
	ds_read2_b32 v[136:137], v137 offset1:1
	v_dot4c_i32_i8 v150, v152, v11
	v_and_b32_e32 v152, 0xf0f0f0f, v128
	v_dot4c_i32_i8 v142, v127, v19
	v_lshrrev_b32_e32 v128, 4, v128
	v_and_b32_e32 v129, 0xf0f0f0f, v129
	s_waitcnt lgkmcnt(3)
	v_and_b32_e32 v154, 0xf0f0f0f, v1
	v_and_b32_e32 v153, 0xf0f0f0f, v2
	v_lshrrev_b32_e32 v130, 4, v130
	v_and_b32_e32 v128, 0xf0f0f0f, v128
	v_lshrrev_b32_e32 v1, 4, v1
	v_dot4c_i32_i8 v143, v154, v7
	s_waitcnt lgkmcnt(2)
	v_and_b32_e32 v127, 0xf0f0f0f, v118
	v_lshrrev_b32_e32 v2, 4, v2
	v_dot4c_i32_i8 v142, v128, v20
	v_and_b32_e32 v1, 0xf0f0f0f, v1
	v_dot4c_i32_i8 v143, v153, v8
	v_mov_b32_e32 v153, 0
	v_add_nc_u32_e32 v128, 0x31a8, v107
	v_lshrrev_b32_e32 v118, 4, v118
	v_dot4c_i32_i8 v150, v152, v12
	v_dot4c_i32_i8 v143, v127, v9
	v_and_b32_e32 v127, 0xf0f0f0f, v119
	v_dot4c_i32_i8 v153, v129, v13
	v_and_b32_e32 v129, 0xf0f0f0f, v130
	v_and_b32_e32 v118, 0xf0f0f0f, v118
	v_lshrrev_b32_e32 v119, 4, v119
	v_dot4c_i32_i8 v143, v127, v10
	s_waitcnt lgkmcnt(1)
	v_and_b32_e32 v127, 0xf0f0f0f, v131
	v_dot4c_i32_i8 v153, v129, v14
	v_and_b32_e32 v129, 0xf0f0f0f, v2
	v_and_b32_e32 v130, 0xf0f0f0f, v119
	v_lshrrev_b32_e32 v131, 4, v131
	v_dot4c_i32_i8 v143, v127, v11
	v_and_b32_e32 v127, 0xf0f0f0f, v132
	v_dot4c_i32_i8 v153, v1, v15
	ds_read2_b32 v[1:2], v128 offset1:1
	v_mov_b32_e32 v128, 0
	v_cvt_f32_ubyte2_e32 v151, v27
	v_dot4c_i32_i8 v143, v127, v12
	v_dot4c_i32_i8 v153, v129, v16
	s_waitcnt lgkmcnt(1)
	v_and_b32_e32 v127, 0xf0f0f0f, v136
	v_add_nc_u32_e32 v129, 0x31b0, v107
	v_lshrrev_b32_e32 v149, 24, v134
	v_cvt_f32_ubyte3_e32 v27, v27
	v_dot4c_i32_i8 v153, v118, v17
	v_dot4c_i32_i8 v128, v127, v5
	ds_read2_b32 v[118:119], v129 offset1:1
	v_and_b32_e32 v5, 0xf0f0f0f, v137
	v_add_nc_u32_e32 v127, 0x31b8, v107
	v_dot4c_i32_i8 v153, v130, v18
	v_and_b32_e32 v130, 0xf0f0f0f, v131
	v_mov_b32_e32 v131, 0
	v_dot4c_i32_i8 v128, v5, v6
	ds_read2_b32 v[5:6], v127 offset1:1
	v_lshrrev_b32_e32 v129, 4, v136
	s_waitcnt lgkmcnt(2)
	v_and_b32_e32 v127, 0xf0f0f0f, v1
	v_lshrrev_b32_e32 v136, 4, v137
	v_lshrrev_b32_e32 v1, 4, v1
	v_dot4c_i32_i8 v153, v130, v19
	v_and_b32_e32 v129, 0xf0f0f0f, v129
	v_dot4c_i32_i8 v128, v127, v7
	v_and_b32_e32 v7, 0xf0f0f0f, v2
	v_and_b32_e32 v1, 0xf0f0f0f, v1
	v_lshrrev_b32_e32 v2, 4, v2
	v_dot4c_i32_i8 v131, v129, v13
	v_and_b32_e32 v13, 0xf0f0f0f, v136
	v_dot4c_i32_i8 v128, v7, v8
	s_waitcnt lgkmcnt(1)
	v_and_b32_e32 v7, 0xf0f0f0f, v118
	v_lshrrev_b32_e32 v127, 4, v132
	v_cvt_f32_ubyte2_e32 v152, v29
	v_dot4c_i32_i8 v131, v13, v14
	v_cvt_f32_ubyte3_e32 v29, v29
	v_dot4c_i32_i8 v128, v7, v9
	v_and_b32_e32 v7, 0xf0f0f0f, v119
	v_and_b32_e32 v8, 0xf0f0f0f, v127
	v_dot4c_i32_i8 v131, v1, v15
	v_and_b32_e32 v1, 0xf0f0f0f, v2
	v_lshrrev_b32_e32 v2, 4, v118
	v_dot4c_i32_i8 v128, v7, v10
	s_waitcnt lgkmcnt(0)
	v_and_b32_e32 v7, 0xf0f0f0f, v5
	v_bfe_u32 v10, v26, 16, 8
	v_dot4c_i32_i8 v131, v1, v16
	v_and_b32_e32 v1, 0xf0f0f0f, v2
	v_lshrrev_b32_e32 v2, 4, v119
	v_dot4c_i32_i8 v128, v7, v11
	v_and_b32_e32 v7, 0xf0f0f0f, v6
	v_lshrrev_b32_e32 v6, 4, v6
	;; [unrolled: 3-line block ×3, first 2 shown]
	v_mul_lo_u32 v5, v147, v10
	v_dot4c_i32_i8 v128, v7, v12
	v_bfe_u32 v7, v28, 16, 8
	v_dot4c_i32_i8 v131, v1, v18
	v_mul_lo_u32 v1, v138, v141
	v_and_b32_e32 v2, 0xf0f0f0f, v2
	v_mul_lo_u32 v11, v142, v145
	v_bfe_u32 v12, v134, 16, 8
	v_cvt_f32_i32_e32 v5, v5
	v_dot4c_i32_i8 v153, v8, v20
	v_dot4c_i32_i8 v131, v2, v19
	v_and_b32_e32 v2, 0xf0f0f0f, v6
	v_mul_lo_u32 v6, v150, v7
	v_cvt_f32_i32_e32 v1, v1
	v_fma_mix_f32 v5, v3, v5, 0 op_sel_hi:[1,0,0]
	v_cvt_f32_i32_e32 v11, v11
	v_dot4c_i32_i8 v131, v2, v20
	v_mul_lo_u32 v12, v128, v12
	v_cvt_f32_ubyte2_e32 v9, v31
	v_fma_mix_f32 v1, v4, v1, v5 op_sel_hi:[1,0,0]
	v_cvt_f32_i32_e32 v5, v6
	v_bfe_u32 v6, v30, 16, 8
	v_fma_mix_f32 v7, v3, v151, 0 op_sel:[1,0,0] op_sel_hi:[1,0,0]
	v_cvt_f32_ubyte2_e32 v10, v135
	v_mul_lo_u32 v13, v153, v146
	v_fma_mix_f32 v5, v3, v5, 0 op_sel_hi:[1,0,0]
	v_mul_lo_u32 v6, v143, v6
	v_cvt_f32_ubyte3_e32 v8, v31
	v_fma_mix_f32 v2, v4, v27, v7 op_sel:[1,0,0] op_sel_hi:[1,0,0]
	v_fma_mix_f32 v7, v3, v152, 0 op_sel:[1,0,0] op_sel_hi:[1,0,0]
	v_fma_mix_f32 v5, v4, v11, v5 op_sel_hi:[1,0,0]
	v_mul_lo_u32 v11, v131, v149
	v_fma_mix_f32 v9, v3, v9, 0 op_sel:[1,0,0] op_sel_hi:[1,0,0]
	v_cvt_f32_i32_e32 v12, v12
	v_cvt_f32_i32_e32 v6, v6
	v_fma_mix_f32 v10, v3, v10, 0 op_sel:[1,0,0] op_sel_hi:[1,0,0]
	v_cvt_f32_ubyte3_e32 v14, v135
	v_fma_mix_f32 v7, v4, v29, v7 op_sel:[1,0,0] op_sel_hi:[1,0,0]
	v_cvt_f32_i32_e32 v13, v13
	v_fma_mix_f32 v6, v3, v6, 0 op_sel_hi:[1,0,0]
	v_fma_mix_f32 v8, v4, v8, v9 op_sel:[1,0,0] op_sel_hi:[1,0,0]
	v_cvt_f32_i32_e32 v9, v11
	v_fma_mix_f32 v3, v3, v12, 0 op_sel_hi:[1,0,0]
	v_fma_mix_f32 v10, v4, v14, v10 op_sel:[1,0,0] op_sel_hi:[1,0,0]
	v_mul_f32_e32 v2, v2, v125
	v_mul_f32_e32 v7, v7, v126
	v_fma_mix_f32 v6, v4, v13, v6 op_sel_hi:[1,0,0]
	v_mul_f32_e32 v8, v8, v140
	v_fma_mix_f32 v3, v4, v9, v3 op_sel_hi:[1,0,0]
	v_mul_f32_e32 v4, v10, v139
	v_add_f32_e32 v9, v23, v133
	v_fma_mix_f32 v1, v1, v121, -v2 op_sel_hi:[0,1,0]
	v_fma_mix_f32 v2, v5, v122, -v7 op_sel_hi:[0,1,0]
	v_fma_mix_f32 v5, v6, v123, -v8 op_sel_hi:[0,1,0]
	v_fma_mix_f32 v3, v3, v124, -v4 op_sel_hi:[0,1,0]
	v_add_f32_e32 v118, v144, v1
	v_add_f32_e32 v120, v120, v2
	;; [unrolled: 1-line block ×4, first 2 shown]
	s_barrier
	buffer_gl0_inv
	s_cbranch_scc1 .LBB231_5
; %bb.12:                               ;   in Loop: Header=BB231_6 Depth=1
	v_cmp_gt_i32_e64 s1, s9, v50
	s_and_b32 s4, s0, s1
	s_and_saveexec_b32 s1, s4
	s_cbranch_execz .LBB231_14
; %bb.13:                               ;   in Loop: Header=BB231_6 Depth=1
	v_add_nc_u32_e32 v1, v60, v50
	v_mad_i64_i32 v[1:2], null, v1, 36, v[21:22]
	global_load_dword v1, v[1:2], off offset:4
	s_waitcnt vmcnt(0)
	ds_write_b32 v49, v1
.LBB231_14:                             ;   in Loop: Header=BB231_6 Depth=1
	s_or_b32 exec_lo, exec_lo, s1
	s_and_saveexec_b32 s4, vcc_lo
	s_cbranch_execz .LBB231_4
; %bb.15:                               ;   in Loop: Header=BB231_6 Depth=1
	v_add_nc_u32_e32 v1, 4, v117
	v_cmp_gt_i32_e64 s1, s9, v1
	s_and_b32 s1, s0, s1
	s_and_b32 exec_lo, exec_lo, s1
	s_cbranch_execz .LBB231_4
; %bb.16:                               ;   in Loop: Header=BB231_6 Depth=1
	v_ashrrev_i32_e32 v1, 31, v117
	v_add_co_u32 v2, s1, v60, v117
	v_add_co_ci_u32_e64 v3, null, v109, v1, s1
	v_mad_u64_u32 v[1:2], null, v2, 36, s[6:7]
	v_mad_i32_i24 v2, v3, 36, v2
	global_load_dword v1, v[1:2], off offset:144
	s_waitcnt vmcnt(0)
	ds_write_b32 v101, v1
	s_branch .LBB231_4
.LBB231_17:
	s_mul_i32 s0, s11, s8
	s_waitcnt vmcnt(0)
	v_cmp_gt_i32_e32 vcc_lo, s0, v32
	s_and_saveexec_b32 s0, vcc_lo
	s_cbranch_execz .LBB231_26
; %bb.18:
	v_add_nc_u32_e32 v1, s16, v0
	v_mul_lo_u32 v0, v32, s10
	s_mov_b32 s0, exec_lo
	v_cmpx_gt_u32_e64 s10, v1
	s_cbranch_execz .LBB231_20
; %bb.19:
	v_add_nc_u32_e32 v2, v0, v1
	v_mov_b32_e32 v3, 0
	v_bfe_u32 v4, v118, 16, 1
	v_cmp_o_f32_e32 vcc_lo, v118, v118
	v_mov_b32_e32 v5, 0x7fc0
	v_lshlrev_b64 v[2:3], 1, v[2:3]
	v_add3_u32 v4, v118, v4, 0x7fff
	v_cndmask_b32_sdwa v4, v5, v4, vcc_lo dst_sel:DWORD dst_unused:UNUSED_PAD src0_sel:DWORD src1_sel:WORD_1
	v_add_co_u32 v2, vcc_lo, s12, v2
	v_add_co_ci_u32_e64 v3, null, s13, v3, vcc_lo
	global_store_short v[2:3], v4, off
.LBB231_20:
	s_or_b32 exec_lo, exec_lo, s0
	v_add_nc_u32_e32 v2, 32, v1
	s_mov_b32 s0, exec_lo
	v_cmpx_gt_u32_e64 s10, v2
	s_cbranch_execz .LBB231_22
; %bb.21:
	v_add_nc_u32_e32 v2, v0, v2
	v_mov_b32_e32 v3, 0
	v_bfe_u32 v4, v120, 16, 1
	v_cmp_o_f32_e32 vcc_lo, v120, v120
	v_mov_b32_e32 v5, 0x7fc0
	v_lshlrev_b64 v[2:3], 1, v[2:3]
	v_add3_u32 v4, v120, v4, 0x7fff
	v_cndmask_b32_sdwa v4, v5, v4, vcc_lo dst_sel:DWORD dst_unused:UNUSED_PAD src0_sel:DWORD src1_sel:WORD_1
	v_add_co_u32 v2, vcc_lo, s12, v2
	v_add_co_ci_u32_e64 v3, null, s13, v3, vcc_lo
	global_store_short v[2:3], v4, off
.LBB231_22:
	s_or_b32 exec_lo, exec_lo, s0
	v_add_nc_u32_e32 v2, 64, v1
	s_mov_b32 s0, exec_lo
	v_cmpx_gt_u32_e64 s10, v2
	s_cbranch_execz .LBB231_24
; %bb.23:
	v_add_nc_u32_e32 v2, v0, v2
	v_mov_b32_e32 v3, 0
	v_bfe_u32 v4, v119, 16, 1
	v_cmp_o_f32_e32 vcc_lo, v119, v119
	v_mov_b32_e32 v5, 0x7fc0
	v_lshlrev_b64 v[2:3], 1, v[2:3]
	v_add3_u32 v4, v119, v4, 0x7fff
	v_cndmask_b32_sdwa v4, v5, v4, vcc_lo dst_sel:DWORD dst_unused:UNUSED_PAD src0_sel:DWORD src1_sel:WORD_1
	v_add_co_u32 v2, vcc_lo, s12, v2
	v_add_co_ci_u32_e64 v3, null, s13, v3, vcc_lo
	global_store_short v[2:3], v4, off
.LBB231_24:
	s_or_b32 exec_lo, exec_lo, s0
	v_add_nc_u32_e32 v1, 0x60, v1
	v_cmp_gt_u32_e32 vcc_lo, s10, v1
	s_and_b32 exec_lo, exec_lo, vcc_lo
	s_cbranch_execz .LBB231_26
; %bb.25:
	v_add_nc_u32_e32 v0, v0, v1
	v_mov_b32_e32 v1, 0
	v_bfe_u32 v2, v23, 16, 1
	v_cmp_o_f32_e32 vcc_lo, v23, v23
	v_mov_b32_e32 v3, 0x7fc0
	v_lshlrev_b64 v[0:1], 1, v[0:1]
	v_add3_u32 v2, v23, v2, 0x7fff
	v_cndmask_b32_sdwa v2, v3, v2, vcc_lo dst_sel:DWORD dst_unused:UNUSED_PAD src0_sel:DWORD src1_sel:WORD_1
	v_add_co_u32 v0, vcc_lo, s12, v0
	v_add_co_ci_u32_e64 v1, null, s13, v1, vcc_lo
	global_store_short v[0:1], v2, off
.LBB231_26:
	s_endpgm
	.section	.rodata,"a",@progbits
	.p2align	6, 0x0
	.amdhsa_kernel _ZL8moe_q4_KIN3c108BFloat16ELb0EEvPKvS3_PT_PKiS7_S7_iiiiiii
		.amdhsa_group_segment_fixed_size 20688
		.amdhsa_private_segment_fixed_size 0
		.amdhsa_kernarg_size 76
		.amdhsa_user_sgpr_count 6
		.amdhsa_user_sgpr_private_segment_buffer 1
		.amdhsa_user_sgpr_dispatch_ptr 0
		.amdhsa_user_sgpr_queue_ptr 0
		.amdhsa_user_sgpr_kernarg_segment_ptr 1
		.amdhsa_user_sgpr_dispatch_id 0
		.amdhsa_user_sgpr_flat_scratch_init 0
		.amdhsa_user_sgpr_private_segment_size 0
		.amdhsa_wavefront_size32 1
		.amdhsa_uses_dynamic_stack 0
		.amdhsa_system_sgpr_private_segment_wavefront_offset 0
		.amdhsa_system_sgpr_workgroup_id_x 1
		.amdhsa_system_sgpr_workgroup_id_y 1
		.amdhsa_system_sgpr_workgroup_id_z 0
		.amdhsa_system_sgpr_workgroup_info 0
		.amdhsa_system_vgpr_workitem_id 1
		.amdhsa_next_free_vgpr 159
		.amdhsa_next_free_sgpr 24
		.amdhsa_reserve_vcc 1
		.amdhsa_reserve_flat_scratch 0
		.amdhsa_float_round_mode_32 0
		.amdhsa_float_round_mode_16_64 0
		.amdhsa_float_denorm_mode_32 3
		.amdhsa_float_denorm_mode_16_64 3
		.amdhsa_dx10_clamp 1
		.amdhsa_ieee_mode 1
		.amdhsa_fp16_overflow 0
		.amdhsa_workgroup_processor_mode 1
		.amdhsa_memory_ordered 1
		.amdhsa_forward_progress 1
		.amdhsa_shared_vgpr_count 0
		.amdhsa_exception_fp_ieee_invalid_op 0
		.amdhsa_exception_fp_denorm_src 0
		.amdhsa_exception_fp_ieee_div_zero 0
		.amdhsa_exception_fp_ieee_overflow 0
		.amdhsa_exception_fp_ieee_underflow 0
		.amdhsa_exception_fp_ieee_inexact 0
		.amdhsa_exception_int_div_zero 0
	.end_amdhsa_kernel
	.section	.text._ZL8moe_q4_KIN3c108BFloat16ELb0EEvPKvS3_PT_PKiS7_S7_iiiiiii,"axG",@progbits,_ZL8moe_q4_KIN3c108BFloat16ELb0EEvPKvS3_PT_PKiS7_S7_iiiiiii,comdat
.Lfunc_end231:
	.size	_ZL8moe_q4_KIN3c108BFloat16ELb0EEvPKvS3_PT_PKiS7_S7_iiiiiii, .Lfunc_end231-_ZL8moe_q4_KIN3c108BFloat16ELb0EEvPKvS3_PT_PKiS7_S7_iiiiiii
                                        ; -- End function
	.set _ZL8moe_q4_KIN3c108BFloat16ELb0EEvPKvS3_PT_PKiS7_S7_iiiiiii.num_vgpr, 159
	.set _ZL8moe_q4_KIN3c108BFloat16ELb0EEvPKvS3_PT_PKiS7_S7_iiiiiii.num_agpr, 0
	.set _ZL8moe_q4_KIN3c108BFloat16ELb0EEvPKvS3_PT_PKiS7_S7_iiiiiii.numbered_sgpr, 24
	.set _ZL8moe_q4_KIN3c108BFloat16ELb0EEvPKvS3_PT_PKiS7_S7_iiiiiii.num_named_barrier, 0
	.set _ZL8moe_q4_KIN3c108BFloat16ELb0EEvPKvS3_PT_PKiS7_S7_iiiiiii.private_seg_size, 0
	.set _ZL8moe_q4_KIN3c108BFloat16ELb0EEvPKvS3_PT_PKiS7_S7_iiiiiii.uses_vcc, 1
	.set _ZL8moe_q4_KIN3c108BFloat16ELb0EEvPKvS3_PT_PKiS7_S7_iiiiiii.uses_flat_scratch, 0
	.set _ZL8moe_q4_KIN3c108BFloat16ELb0EEvPKvS3_PT_PKiS7_S7_iiiiiii.has_dyn_sized_stack, 0
	.set _ZL8moe_q4_KIN3c108BFloat16ELb0EEvPKvS3_PT_PKiS7_S7_iiiiiii.has_recursion, 0
	.set _ZL8moe_q4_KIN3c108BFloat16ELb0EEvPKvS3_PT_PKiS7_S7_iiiiiii.has_indirect_call, 0
	.section	.AMDGPU.csdata,"",@progbits
; Kernel info:
; codeLenInByte = 11096
; TotalNumSgprs: 26
; NumVgprs: 159
; ScratchSize: 0
; MemoryBound: 0
; FloatMode: 240
; IeeeMode: 1
; LDSByteSize: 20688 bytes/workgroup (compile time only)
; SGPRBlocks: 0
; VGPRBlocks: 19
; NumSGPRsForWavesPerEU: 26
; NumVGPRsForWavesPerEU: 159
; Occupancy: 6
; WaveLimiterHint : 1
; COMPUTE_PGM_RSRC2:SCRATCH_EN: 0
; COMPUTE_PGM_RSRC2:USER_SGPR: 6
; COMPUTE_PGM_RSRC2:TRAP_HANDLER: 0
; COMPUTE_PGM_RSRC2:TGID_X_EN: 1
; COMPUTE_PGM_RSRC2:TGID_Y_EN: 1
; COMPUTE_PGM_RSRC2:TGID_Z_EN: 0
; COMPUTE_PGM_RSRC2:TIDIG_COMP_CNT: 1
	.section	.text._ZL8moe_q4_KIN3c108BFloat16ELb1EEvPKvS3_PT_PKiS7_S7_iiiiiii,"axG",@progbits,_ZL8moe_q4_KIN3c108BFloat16ELb1EEvPKvS3_PT_PKiS7_S7_iiiiiii,comdat
	.globl	_ZL8moe_q4_KIN3c108BFloat16ELb1EEvPKvS3_PT_PKiS7_S7_iiiiiii ; -- Begin function _ZL8moe_q4_KIN3c108BFloat16ELb1EEvPKvS3_PT_PKiS7_S7_iiiiiii
	.p2align	8
	.type	_ZL8moe_q4_KIN3c108BFloat16ELb1EEvPKvS3_PT_PKiS7_S7_iiiiiii,@function
_ZL8moe_q4_KIN3c108BFloat16ELb1EEvPKvS3_PT_PKiS7_S7_iiiiiii: ; @_ZL8moe_q4_KIN3c108BFloat16ELb1EEvPKvS3_PT_PKiS7_S7_iiiiiii
; %bb.0:
	s_load_dwordx4 s[0:3], s[4:5], 0x18
	s_mov_b32 s8, s7
	s_mov_b32 s9, 0
	s_lshl_b64 s[10:11], s[8:9], 2
	s_waitcnt lgkmcnt(0)
	s_add_u32 s2, s2, s10
	s_addc_u32 s3, s3, s11
	s_load_dword s19, s[2:3], 0x0
	s_waitcnt lgkmcnt(0)
	s_cmpk_gt_u32 s19, 0xff
	s_cbranch_scc1 .LBB232_26
; %bb.1:
	s_load_dwordx2 s[2:3], s[4:5], 0x28
	s_waitcnt lgkmcnt(0)
	s_load_dword s3, s[2:3], 0x0
	s_lshl_b32 s2, s8, 3
	s_waitcnt lgkmcnt(0)
	s_cmp_gt_u32 s2, s3
	s_cbranch_scc1 .LBB232_26
; %bb.2:
	v_add_nc_u32_e32 v36, s2, v1
	v_mov_b32_e32 v37, 0
	v_lshlrev_b64 v[2:3], 2, v[36:37]
	v_mov_b32_e32 v116, v37
	v_mov_b32_e32 v117, v37
	v_mov_b32_e32 v118, v37
	v_add_co_u32 v2, vcc_lo, s0, v2
	v_add_co_ci_u32_e64 v3, null, s1, v3, vcc_lo
	global_load_dword v48, v[2:3], off
	s_clause 0x1
	s_load_dwordx8 s[8:15], s[4:5], 0x30
	s_load_dwordx2 s[2:3], s[4:5], 0x10
	s_waitcnt lgkmcnt(0)
	s_lshl_b32 s15, s6, 7
	s_cmpk_lt_i32 s9, 0x100
	s_cbranch_scc1 .LBB232_17
; %bb.3:
	v_add_nc_u32_e32 v3, 8, v1
	s_not_b32 s1, s15
	s_ashr_i32 s0, s9, 31
	s_add_i32 s1, s10, s1
	s_lshr_b32 s0, s0, 24
	v_lshlrev_b32_e32 v2, 2, v0
	v_min_i32_e32 v4, s1, v1
	v_min_i32_e32 v3, s1, v3
	v_add_nc_u32_e32 v6, 16, v1
	s_add_i32 s0, s9, s0
	s_abs_i32 s7, s14
	s_ashr_i32 s18, s0, 8
	v_mad_u64_u32 v[21:22], null, 0x84, v4, v[2:3]
	v_mul_lo_u32 v7, v4, s18
	v_mul_lo_u32 v8, v3, s18
	v_min_i32_e32 v4, s1, v6
	v_add_nc_u32_e32 v6, 24, v1
	v_mad_u64_u32 v[22:23], null, 0x84, v3, v[2:3]
	v_add_nc_u32_e32 v3, 32, v1
	v_mul_lo_u32 v9, v4, s18
	v_min_i32_e32 v6, s1, v6
	v_lshl_add_u32 v18, v1, 5, v0
	s_sub_i32 s0, 0, s7
	v_mad_u64_u32 v[23:24], null, 0x84, v4, v[2:3]
	v_min_i32_e32 v3, s1, v3
	v_add_nc_u32_e32 v4, 40, v1
	v_mul_lo_u32 v10, v6, s18
	v_and_b32_e32 v18, 0x7f, v18
	s_waitcnt vmcnt(0)
	v_sub_nc_u32_e32 v39, 0, v48
	v_mad_u64_u32 v[24:25], null, 0x84, v6, v[2:3]
	v_mul_lo_u32 v12, v3, s18
	v_min_i32_e32 v4, s1, v4
	v_add_nc_u32_e32 v6, 48, v1
	v_mad_u64_u32 v[25:26], null, 0x84, v3, v[2:3]
	v_add_nc_u32_e32 v3, 56, v1
	v_mul_lo_u32 v13, v4, s18
	v_min_i32_e32 v6, s1, v6
	v_min_i32_e32 v18, s1, v18
	v_xor_b32_e32 v46, s14, v48
	v_mad_u64_u32 v[26:27], null, 0x84, v4, v[2:3]
	v_min_i32_e32 v3, s1, v3
	v_mul_lo_u32 v14, v6, s18
	v_add_nc_u32_e32 v4, 64, v1
	v_ashrrev_i32_e32 v33, 31, v18
	v_lshlrev_b32_e32 v43, 2, v18
	v_mad_u64_u32 v[27:28], null, 0x84, v6, v[2:3]
	v_mul_lo_u32 v15, v3, s18
	v_mad_u64_u32 v[28:29], null, 0x84, v3, v[2:3]
	v_add_nc_u32_e32 v3, 0x48, v1
	v_cvt_f32_u32_e32 v6, s7
	v_min_i32_e32 v4, s1, v4
	v_lshrrev_b32_e32 v5, 5, v0
	s_mul_i32 s6, s18, s15
	v_min_i32_e32 v19, s1, v3
	v_rcp_iflag_f32_e32 v3, v6
	v_add_nc_u32_e32 v6, 0x58, v1
	v_mul_lo_u32 v17, v4, s18
	s_mul_hi_i32 s17, s6, 0x90
	s_mul_i32 s16, s6, 0x90
	v_and_b32_e32 v11, 0x7c, v2
	v_min_i32_e32 v20, s1, v6
	v_lshrrev_b32_e32 v6, 2, v0
	v_add_nc_u32_e32 v16, 0x50, v1
	v_add_nc_u32_e32 v51, 0x60, v0
	v_mad_u64_u32 v[29:30], null, 0x84, v4, v[2:3]
	v_mul_f32_e32 v3, 0x4f7ffffe, v3
	v_add_nc_u32_e32 v4, 0x60, v1
	v_mul_lo_u32 v30, v19, s18
	v_min_i32_e32 v16, s1, v16
	v_mul_lo_u32 v32, v20, s18
	v_cvt_u32_f32_e32 v3, v3
	v_min_i32_e32 v34, s1, v4
	v_lshl_add_u32 v4, v1, 3, v6
	v_lshrrev_b32_e32 v6, 27, v33
	v_mul_lo_u32 v31, v16, s18
	v_mul_lo_u32 v33, s0, v3
	v_add_nc_u32_e32 v35, 0x68, v1
	v_and_b32_e32 v4, 0x7f, v4
	v_add_nc_u32_e32 v6, v18, v6
	v_add_nc_u32_e32 v36, 0x70, v1
	;; [unrolled: 1-line block ×3, first 2 shown]
	v_lshrrev_b32_e32 v54, 3, v51
	v_min_i32_e32 v38, s1, v4
	v_mul_hi_u32 v33, v3, v33
	v_xor_b32_e32 v4, 64, v4
	v_ashrrev_i32_e32 v6, 5, v6
	v_min_i32_e32 v35, s1, v35
	v_ashrrev_i32_e32 v40, 31, v38
	v_min_i32_e32 v36, s1, v36
	v_min_i32_e32 v41, s1, v4
	v_max_i32_e32 v4, v48, v39
	v_add_nc_u32_e32 v3, v3, v33
	v_lshrrev_b32_e32 v33, 29, v40
	v_lshlrev_b32_e32 v6, 2, v6
	v_ashrrev_i32_e32 v40, 31, v41
	v_and_b32_e32 v39, 3, v0
	v_mul_hi_u32 v3, v4, v3
	v_add_nc_u32_e32 v33, v38, v33
	v_add3_u32 v49, v6, v43, 0x4e40
	v_lshrrev_b32_e32 v40, 29, v40
	v_mul_lo_u32 v37, v34, s18
	v_lshl_add_u32 v66, v51, 2, v54
	v_ashrrev_i32_e32 v33, 3, v33
	v_lshrrev_b32_e32 v55, 3, v0
	v_mul_lo_u32 v6, v3, s7
	v_add_nc_u32_e32 v40, v41, v40
	v_add_nc_u32_e32 v45, 1, v3
	v_lshlrev_b32_e32 v33, 2, v33
	v_and_b32_e32 v43, 4, v2
	v_add_nc_u32_e32 v42, 0xfe, v39
	v_ashrrev_i32_e32 v40, 3, v40
	v_cmp_gt_u32_e32 vcc_lo, 2, v39
	v_sub_nc_u32_e32 v4, v4, v6
	v_lshlrev_b32_e32 v6, 2, v39
	v_and_b32_e32 v42, 0xff, v42
	v_lshlrev_b32_e32 v40, 2, v40
	v_lshl_add_u32 v59, v1, 7, 0x4a40
	v_subrev_nc_u32_e32 v47, s7, v4
	v_cmp_le_u32_e64 s0, s7, v4
	v_add3_u32 v57, v33, v6, 0x4200
	v_add3_u32 v40, v40, v6, 0x4200
	v_ashrrev_i32_e32 v33, 31, v46
	v_cndmask_b32_e32 v42, v42, v39, vcc_lo
	v_cndmask_b32_e64 v45, v3, v45, s0
	v_cndmask_b32_e64 v6, v4, v47, s0
	v_mad_u64_u32 v[3:4], null, 0x90, v5, s[16:17]
	v_add_nc_u32_e32 v47, 64, v0
	v_add_nc_u32_e32 v46, 1, v45
	v_cmp_le_u32_e64 s0, s7, v6
	v_cmp_lt_u32_e32 vcc_lo, 1, v39
	s_load_dwordx4 s[4:7], s[4:5], 0x0
	v_lshrrev_b32_e32 v53, 3, v47
	v_lshlrev_b32_e32 v62, 4, v1
	v_cndmask_b32_e64 v6, v45, v46, s0
	v_lshlrev_b32_e32 v45, 2, v5
	v_add_nc_u32_e32 v46, 32, v0
	v_lshl_add_u32 v47, v47, 2, v53
	v_cndmask_b32_e32 v56, 0, v43, vcc_lo
	v_xor_b32_e32 v52, v6, v33
	v_mad_i64_i32 v[5:6], null, 0x90, v7, v[3:4]
	v_mad_i64_i32 v[7:8], null, 0x90, v8, v[3:4]
	v_lshrrev_b32_e32 v50, 3, v46
	v_sub_nc_u32_e32 v67, v52, v33
	v_add3_u32 v51, v2, v45, 0x4e40
	v_cndmask_b32_e64 v43, 0, 1, vcc_lo
	v_add_co_u32 v68, s0, v5, v11
	v_add_co_ci_u32_e64 v69, null, 0, v6, s0
	v_mad_i64_i32 v[5:6], null, 0x90, v9, v[3:4]
	v_add_co_u32 v70, s0, v7, v11
	v_add_co_ci_u32_e64 v71, null, 0, v8, s0
	v_mad_i64_i32 v[7:8], null, 0x90, v10, v[3:4]
	;; [unrolled: 3-line block ×10, first 2 shown]
	v_add_co_u32 v88, s0, v5, v11
	v_add_co_ci_u32_e64 v89, null, 0, v6, s0
	v_and_b32_e32 v5, 60, v50
	v_mad_u64_u32 v[30:31], null, 0x84, v19, v[2:3]
	v_add_co_u32 v90, s0, v7, v11
	v_add_co_ci_u32_e64 v91, null, 0, v8, s0
	v_and_b32_e32 v7, 60, v54
	v_min_i32_e32 v8, s1, v44
	v_add3_u32 v52, v2, v5, 0x4e40
	v_mul_lo_u32 v5, v35, s18
	v_and_b32_e32 v6, 60, v53
	v_add3_u32 v54, v2, v7, 0x4e40
	v_mul_lo_u32 v7, v36, s18
	v_mul_lo_u32 v44, v8, s18
	v_mad_u64_u32 v[31:32], null, 0x84, v16, v[2:3]
	v_mad_u64_u32 v[32:33], null, 0x84, v20, v[2:3]
	v_mad_u64_u32 v[33:34], null, 0x84, v34, v[2:3]
	v_mad_i64_i32 v[9:10], null, 0x90, v37, v[3:4]
	v_mad_u64_u32 v[34:35], null, 0x84, v35, v[2:3]
	v_mad_u64_u32 v[35:36], null, 0x84, v36, v[2:3]
	v_add3_u32 v53, v2, v6, 0x4e40
	v_add_nc_u32_e32 v16, 0x5050, v2
	v_and_b32_e32 v19, 28, v2
	v_add_nc_u32_e32 v20, v55, v2
	v_mad_i64_i32 v[5:6], null, 0x90, v5, v[3:4]
	v_mad_u64_u32 v[36:37], null, 0x84, v8, v[2:3]
	v_mad_i64_i32 v[7:8], null, 0x90, v7, v[3:4]
	v_mad_i64_i32 v[2:3], null, 0x90, v44, v[3:4]
	v_mul_lo_u32 v4, v38, s18
	v_add_co_u32 v9, s0, v9, v11
	v_add_co_ci_u32_e64 v10, null, 0, v10, s0
	v_add_co_u32 v37, s0, v5, v11
	v_mul_lo_u32 v44, v41, s18
	v_mad_i64_i32 v[4:5], null, 0x90, v4, 0
	v_add_co_ci_u32_e64 v6, null, 0, v6, s0
	v_add_co_u32 v7, s0, v7, v11
	v_add_co_ci_u32_e64 v8, null, 0, v8, s0
	v_add_co_u32 v4, vcc_lo, s16, v4
	v_add_co_ci_u32_e64 v5, null, s17, v5, vcc_lo
	v_cmp_ne_u32_e32 vcc_lo, 0, v39
	v_add_co_u32 v11, s0, v2, v11
	v_lshlrev_b32_e32 v38, 4, v38
	v_add_co_ci_u32_e64 v45, null, 0, v3, s0
	v_add_co_ci_u32_e64 v39, null, 0, v42, vcc_lo
	v_mad_i64_i32 v[2:3], null, 0x90, v44, 0
	v_add_nc_u32_e32 v57, v57, v38
	v_lshlrev_b32_e32 v44, 2, v39
	v_lshlrev_b32_e32 v39, 4, v41
	v_and_b32_e32 v38, 31, v0
	v_lshl_add_u32 v63, v20, 2, 0x4200
	v_lshlrev_b32_e32 v43, 2, v43
	v_add_co_u32 v2, vcc_lo, s16, v2
	v_add_nc_u32_e32 v58, v40, v39
	v_lshl_add_u32 v39, v46, 2, v50
	v_lshl_add_u32 v61, v38, 2, v59
	s_waitcnt lgkmcnt(0)
	v_add_co_u32 v38, s1, s6, v19
	v_or_b32_e32 v100, v4, v43
	v_lshl_add_u32 v64, v39, 2, 0x4200
	v_add_co_ci_u32_e64 v39, null, s7, 0, s1
	v_add_co_u32 v1, s1, s4, v68
	v_add_co_ci_u32_e64 v19, null, s5, v69, s1
	v_add_co_u32 v20, s1, s4, v70
	v_add_co_ci_u32_e64 v40, null, s5, v71, s1
	v_add_co_u32 v68, s1, v1, 16
	v_add_co_ci_u32_e64 v69, null, 0, v19, s1
	v_add_co_u32 v70, s1, v20, 16
	v_add_co_ci_u32_e64 v71, null, 0, v40, s1
	v_add_co_u32 v1, s1, s4, v72
	v_add_co_ci_u32_e64 v19, null, s5, v73, s1
	v_add_co_u32 v12, s1, s4, v12
	v_add_co_ci_u32_e64 v20, null, s5, v74, s1
	v_add_co_u32 v72, s1, v1, 16
	v_add_co_ci_u32_e64 v73, null, 0, v19, s1
	v_add_co_u32 v74, s1, v12, 16
	v_add_co_ci_u32_e64 v75, null, 0, v20, s1
	v_add_co_u32 v1, s1, s4, v13
	v_add_co_ci_u32_e64 v12, null, s5, v76, s1
	v_add_co_u32 v13, s1, s4, v14
	v_add_co_ci_u32_e64 v14, null, s5, v77, s1
	v_add_co_u32 v76, s1, v1, 16
	v_add_co_ci_u32_e64 v77, null, 0, v12, s1
	v_add_co_u32 v78, s1, v13, 16
	v_add_co_ci_u32_e64 v79, null, 0, v14, s1
	v_add_co_u32 v1, s1, s4, v15
	v_add_co_ci_u32_e64 v12, null, s5, v80, s1
	v_add_co_u32 v13, s1, s4, v17
	v_add_co_ci_u32_e64 v14, null, s5, v81, s1
	v_add_co_u32 v80, s1, v1, 16
	v_add_co_ci_u32_e64 v81, null, 0, v12, s1
	v_add_co_u32 v82, s1, v13, 16
	v_add_co_ci_u32_e64 v83, null, 0, v14, s1
	v_add_co_u32 v1, s1, s4, v84
	v_add_co_ci_u32_e64 v12, null, s5, v85, s1
	v_add_co_u32 v13, s1, s4, v86
	v_add_co_ci_u32_e64 v14, null, s5, v87, s1
	v_add_co_u32 v84, s1, v1, 16
	v_add_co_ci_u32_e64 v85, null, 0, v12, s1
	v_add_co_u32 v86, s1, v13, 16
	v_add_co_ci_u32_e64 v87, null, 0, v14, s1
	v_add_co_u32 v1, s1, s4, v88
	v_add_co_ci_u32_e64 v12, null, s5, v89, s1
	v_add_co_u32 v13, s1, s4, v90
	v_add_co_ci_u32_e64 v14, null, s5, v91, s1
	v_add_co_u32 v88, s1, v1, 16
	v_add_co_ci_u32_e64 v89, null, 0, v12, s1
	v_add_co_u32 v90, s1, v13, 16
	v_add_co_ci_u32_e64 v91, null, 0, v14, s1
	v_add_co_u32 v1, s1, s4, v9
	v_add_co_ci_u32_e64 v9, null, s5, v10, s1
	v_add_co_u32 v10, s1, s4, v37
	v_add_co_ci_u32_e64 v6, null, s5, v6, s1
	v_add_co_u32 v92, s1, v1, 16
	v_add_co_ci_u32_e64 v93, null, 0, v9, s1
	v_add_co_u32 v94, s1, v10, 16
	v_add_co_ci_u32_e64 v95, null, 0, v6, s1
	v_add_co_u32 v1, s1, s4, v7
	v_add_co_ci_u32_e64 v6, null, s5, v8, s1
	v_add_co_u32 v7, s1, s4, v11
	v_add_co_ci_u32_e64 v8, null, s5, v45, s1
	v_add_co_u32 v96, s1, v1, 16
	v_add_co_ci_u32_e64 v97, null, 0, v6, s1
	v_add_co_u32 v98, s1, v7, 16
	v_add_co_ci_u32_e64 v99, null, 0, v8, s1
	v_add_co_u32 v1, s1, v4, v44
	v_add_co_ci_u32_e64 v4, null, 0, v5, s1
	v_add_co_u32 v6, s1, s4, v100
	v_add_co_ci_u32_e64 v5, null, s5, v5, s1
	v_add_co_u32 v1, s1, s4, v1
	s_ashr_i32 s0, s12, 31
	v_add_co_ci_u32_e64 v4, null, s5, v4, s1
	s_lshr_b32 s0, s0, 27
	v_add_co_u32 v100, s1, v6, 4
	v_add_co_ci_u32_e64 v3, null, s17, v3, vcc_lo
	v_or_b32_e32 v43, v2, v43
	s_add_i32 s0, s12, s0
	v_add_co_ci_u32_e64 v101, null, 0, v5, s1
	v_add_co_u32 v102, s1, v1, 4
	s_ashr_i32 s10, s0, 5
	v_cmp_gt_u32_e32 vcc_lo, 4, v0
	v_cmp_gt_i32_e64 s0, s11, v67
	v_add_co_ci_u32_e64 v103, null, 0, v4, s1
	v_add_co_u32 v1, s1, v2, v44
	v_mul_lo_u32 v18, v18, s18
	v_add_co_ci_u32_e64 v2, null, 0, v3, s1
	s_mul_i32 s8, s19, s8
	v_add_co_u32 v4, s1, s4, v43
	v_mul_lo_u32 v67, v67, s10
	s_ashr_i32 s12, s8, 31
	s_and_b32 s19, vcc_lo, s0
	v_add_co_ci_u32_e64 v3, null, s5, v3, s1
	v_add_co_u32 v1, s1, s4, v1
	s_add_u32 s16, s4, s16
	s_addc_u32 s17, s5, s17
	v_add_co_ci_u32_e64 v2, null, s5, v2, s1
	v_mul_u32_u24_e32 v109, 0x84, v0
	v_add_co_u32 v104, s1, v4, 4
	v_mad_i64_i32 v[40:41], null, 0x90, v18, s[16:17]
	v_add_co_ci_u32_e64 v105, null, 0, v3, s1
	v_add_co_u32 v106, s1, v1, 4
	v_lshlrev_b32_e32 v60, 1, v42
	v_lshl_add_u32 v65, v47, 2, 0x4200
	v_lshl_add_u32 v66, v66, 2, 0x4200
	v_add_co_ci_u32_e64 v107, null, 0, v2, s1
	v_add_nc_u32_e32 v108, v16, v62
	v_mov_b32_e32 v118, 0
	v_ashrrev_i32_e32 v110, 31, v67
	v_add_nc_u32_e32 v111, 0x1080, v109
	v_add_nc_u32_e32 v112, 0x1088, v109
	;; [unrolled: 1-line block ×4, first 2 shown]
	v_mov_b32_e32 v115, v0
	v_mov_b32_e32 v117, 0
	;; [unrolled: 1-line block ×4, first 2 shown]
	s_movk_i32 s4, 0x80
	s_branch .LBB232_6
.LBB232_4:                              ;   in Loop: Header=BB232_6 Depth=1
	s_or_b32 exec_lo, exec_lo, s5
	s_waitcnt lgkmcnt(0)
	s_barrier
	buffer_gl0_inv
	ds_read2_b32 v[44:45], v109 offset0:16 offset1:17
	ds_read_b128 v[17:20], v59
	ds_read_b128 v[9:12], v59 offset:16
	ds_read2_b32 v[46:47], v109 offset0:18 offset1:19
	ds_read_b128 v[13:16], v59 offset:32
	ds_read_b128 v[5:8], v59 offset:48
	ds_read_b32 v119, v51
	v_mov_b32_e32 v125, 0
	ds_read2_b32 v[122:123], v109 offset0:20 offset1:21
	ds_read2_b32 v[42:43], v63 offset0:1 offset1:3
	v_add_nc_u32_e32 v120, 0x10c0, v109
	v_mov_b32_e32 v126, 0
	ds_read_b128 v[1:4], v62 offset:20560
	ds_read2_b32 v[128:129], v109 offset0:22 offset1:23
	ds_read2_b32 v[130:131], v109 offset0:24 offset1:25
	v_add_nc_u32_e32 v121, 0x10c8, v109
	v_mov_b32_e32 v127, 0
	v_add_nc_u32_e32 v124, 0x10d0, v109
	v_add_nc_u32_e32 v136, 0x2140, v109
	v_mov_b32_e32 v149, 0
	v_mov_b32_e32 v151, 0
	v_add_nc_u32_e32 v146, 0x31c0, v109
	s_waitcnt lgkmcnt(11)
	v_and_b32_e32 v132, 0xf0f0f0f, v44
	v_and_b32_e32 v134, 0xf0f0f0f, v45
	v_lshrrev_b32_e32 v44, 4, v44
	v_lshrrev_b32_e32 v45, 4, v45
	v_mov_b32_e32 v153, 0
	s_waitcnt lgkmcnt(10)
	v_dot4c_i32_i8 v125, v132, v17
	ds_read2_b32 v[132:133], v120 offset1:1
	s_waitcnt lgkmcnt(9)
	v_and_b32_e32 v120, 0xf0f0f0f, v46
	v_and_b32_e32 v44, 0xf0f0f0f, v44
	v_lshrrev_b32_e32 v46, 4, v46
	v_dot4c_i32_i8 v125, v134, v18
	v_and_b32_e32 v134, 0xf0f0f0f, v47
	v_and_b32_e32 v45, 0xf0f0f0f, v45
	s_waitcnt lgkmcnt(8)
	v_dot4c_i32_i8 v126, v44, v13
	s_waitcnt lgkmcnt(5)
	v_and_b32_e32 v44, 0xf0f0f0f, v122
	v_dot4c_i32_i8 v125, v120, v19
	v_lshrrev_b32_e32 v47, 4, v47
	v_and_b32_e32 v46, 0xf0f0f0f, v46
	v_dot4c_i32_i8 v126, v45, v14
	v_and_b32_e32 v120, 0xf0f0f0f, v123
	v_dot4c_i32_i8 v125, v134, v20
	v_and_b32_e32 v47, 0xf0f0f0f, v47
	v_lshrrev_b32_e32 v122, 4, v122
	v_dot4c_i32_i8 v126, v46, v15
	s_waitcnt lgkmcnt(2)
	v_and_b32_e32 v46, 0xf0f0f0f, v128
	v_dot4c_i32_i8 v125, v44, v9
	ds_read2_b32 v[44:45], v121 offset1:1
	v_and_b32_e32 v134, 0xf0f0f0f, v122
	v_dot4c_i32_i8 v126, v47, v16
	s_waitcnt lgkmcnt(1)
	v_and_b32_e32 v47, 0xf0f0f0f, v132
	v_dot4c_i32_i8 v125, v120, v10
	ds_read_b32 v120, v52 offset:128
	ds_read_b32 v121, v53 offset:256
	;; [unrolled: 1-line block ×3, first 2 shown]
	v_lshrrev_b32_e32 v123, 4, v123
	v_dot4c_i32_i8 v126, v134, v5
	v_dot4c_i32_i8 v127, v47, v17
	;; [unrolled: 1-line block ×3, first 2 shown]
	ds_read2_b32 v[46:47], v124 offset1:1
	v_and_b32_e32 v134, 0xf0f0f0f, v133
	v_add_nc_u32_e32 v124, 0x10d8, v109
	v_and_b32_e32 v123, 0xf0f0f0f, v123
	v_lshrrev_b32_e32 v128, 4, v128
	v_and_b32_e32 v138, 0xf0f0f0f, v129
	v_dot4c_i32_i8 v127, v134, v18
	ds_read2_b32 v[134:135], v124 offset1:1
	ds_read2_b32 v[136:137], v136 offset1:1
	v_dot4c_i32_i8 v126, v123, v6
	v_and_b32_e32 v123, 0xf0f0f0f, v128
	s_waitcnt lgkmcnt(6)
	v_and_b32_e32 v124, 0xf0f0f0f, v44
	v_lshrrev_b32_e32 v128, 4, v129
	v_lshrrev_b32_e32 v129, 4, v132
	;; [unrolled: 1-line block ×3, first 2 shown]
	v_dot4c_i32_i8 v126, v123, v7
	v_dot4c_i32_i8 v127, v124, v19
	v_and_b32_e32 v124, 0xf0f0f0f, v45
	v_and_b32_e32 v123, 0xf0f0f0f, v128
	;; [unrolled: 1-line block ×3, first 2 shown]
	v_lshrrev_b32_e32 v129, 4, v133
	v_and_b32_e32 v44, 0xf0f0f0f, v44
	v_dot4c_i32_i8 v127, v124, v20
	s_waitcnt lgkmcnt(2)
	v_and_b32_e32 v124, 0xf0f0f0f, v46
	v_dot4c_i32_i8 v126, v123, v8
	v_and_b32_e32 v123, 0xf0f0f0f, v47
	v_dot4c_i32_i8 v149, v128, v13
	s_waitcnt lgkmcnt(1)
	v_and_b32_e32 v140, 0xf0f0f0f, v134
	v_dot4c_i32_i8 v127, v124, v9
	v_and_b32_e32 v124, 0xf0f0f0f, v129
	v_lshrrev_b32_e32 v45, 4, v45
	v_lshrrev_b32_e32 v46, 4, v46
	v_dot4c_i32_i8 v125, v138, v12
	v_dot4c_i32_i8 v127, v123, v10
	;; [unrolled: 1-line block ×3, first 2 shown]
	v_and_b32_e32 v124, 0xf0f0f0f, v45
	ds_read2_b32 v[128:129], v109 offset0:26 offset1:27
	ds_read2_b32 v[132:133], v109 offset0:28 offset1:29
	;; [unrolled: 1-line block ×3, first 2 shown]
	v_and_b32_e32 v46, 0xf0f0f0f, v46
	v_dot4c_i32_i8 v127, v140, v11
	v_dot4c_i32_i8 v149, v44, v15
	v_add_nc_u32_e32 v140, 0x2148, v109
	v_and_b32_e32 v142, 0xf0f0f0f, v135
	v_lshrrev_b32_e32 v47, 4, v47
	ds_read2_b32 v[44:45], v64 offset0:1 offset1:3
	v_dot4c_i32_i8 v149, v124, v16
	ds_read2_b32 v[140:141], v140 offset1:1
	v_dot4c_i32_i8 v127, v142, v12
	s_waitcnt lgkmcnt(5)
	v_and_b32_e32 v124, 0xf0f0f0f, v136
	v_and_b32_e32 v47, 0xf0f0f0f, v47
	v_dot4c_i32_i8 v149, v46, v5
	v_add_nc_u32_e32 v46, 0x2150, v109
	v_lshrrev_b32_e32 v134, 4, v134
	v_dot4c_i32_i8 v151, v124, v17
	v_and_b32_e32 v124, 0xf0f0f0f, v137
	v_dot4c_i32_i8 v149, v47, v6
	ds_read2_b32 v[142:143], v46 offset1:1
	v_add_nc_u32_e32 v46, 0x2158, v109
	ds_read2_b32 v[144:145], v46 offset1:1
	ds_read2_b32 v[146:147], v146 offset1:1
	v_dot4c_i32_i8 v151, v124, v18
	v_lshrrev_b32_e32 v124, 4, v136
	v_and_b32_e32 v47, 0xf0f0f0f, v134
	s_waitcnt lgkmcnt(3)
	v_and_b32_e32 v46, 0xf0f0f0f, v140
	v_lshrrev_b32_e32 v134, 4, v137
	v_add_nc_u32_e32 v137, 0x31c8, v109
	v_and_b32_e32 v124, 0xf0f0f0f, v124
	v_dot4c_i32_i8 v149, v47, v7
	v_dot4c_i32_i8 v151, v46, v19
	v_and_b32_e32 v46, 0xf0f0f0f, v141
	v_lshrrev_b32_e32 v47, 4, v135
	v_dot4c_i32_i8 v153, v124, v13
	v_and_b32_e32 v124, 0xf0f0f0f, v134
	v_lshrrev_b32_e32 v134, 4, v140
	v_dot4c_i32_i8 v151, v46, v20
	s_waitcnt lgkmcnt(2)
	v_and_b32_e32 v46, 0xf0f0f0f, v142
	v_lshrrev_b32_e32 v135, 4, v141
	v_dot4c_i32_i8 v153, v124, v14
	v_and_b32_e32 v134, 0xf0f0f0f, v134
	v_and_b32_e32 v136, 0xf0f0f0f, v143
	v_dot4c_i32_i8 v151, v46, v9
	v_lshrrev_b32_e32 v141, 4, v143
	v_and_b32_e32 v47, 0xf0f0f0f, v47
	v_dot4c_i32_i8 v153, v134, v15
	v_and_b32_e32 v134, 0xf0f0f0f, v135
	v_lshrrev_b32_e32 v135, 4, v142
	v_dot4c_i32_i8 v151, v136, v10
	s_waitcnt lgkmcnt(1)
	v_and_b32_e32 v136, 0xf0f0f0f, v144
	v_mov_b32_e32 v142, 0
	v_dot4c_i32_i8 v153, v134, v16
	v_and_b32_e32 v140, 0xf0f0f0f, v135
	ds_read2_b32 v[134:135], v137 offset1:1
	v_dot4c_i32_i8 v151, v136, v11
	v_and_b32_e32 v136, 0xf0f0f0f, v145
	v_and_b32_e32 v137, 0xf0f0f0f, v141
	v_dot4c_i32_i8 v153, v140, v5
	s_waitcnt lgkmcnt(1)
	v_and_b32_e32 v140, 0xf0f0f0f, v146
	v_lshrrev_b32_e32 v146, 4, v146
	v_dot4c_i32_i8 v151, v136, v12
	v_add_nc_u32_e32 v136, 0x31d0, v109
	v_dot4c_i32_i8 v153, v137, v6
	v_dot4c_i32_i8 v142, v140, v17
	v_and_b32_e32 v17, 0xf0f0f0f, v147
	v_add_nc_u32_e32 v140, 0x31d8, v109
	ds_read2_b32 v[136:137], v136 offset1:1
	v_add_nc_u32_e32 v141, 0x10e0, v109
	v_and_b32_e32 v146, 0xf0f0f0f, v146
	v_dot4c_i32_i8 v142, v17, v18
	v_mov_b32_e32 v156, 0
	v_lshrrev_b32_e32 v147, 4, v147
	v_dot4c_i32_i8 v149, v47, v8
	s_waitcnt lgkmcnt(1)
	v_and_b32_e32 v155, 0xf0f0f0f, v134
	ds_read2_b32 v[46:47], v65 offset0:1 offset1:3
	ds_read2_b32 v[17:18], v140 offset1:1
	ds_read2_b32 v[140:141], v141 offset1:1
	v_dot4c_i32_i8 v156, v146, v13
	v_and_b32_e32 v13, 0xf0f0f0f, v147
	v_dot4c_i32_i8 v142, v155, v19
	v_and_b32_e32 v19, 0xf0f0f0f, v135
	v_lshrrev_b32_e32 v134, 4, v134
	v_lshrrev_b32_e32 v144, 4, v144
	v_dot4c_i32_i8 v156, v13, v14
	v_lshrrev_b32_e32 v14, 4, v135
	v_dot4c_i32_i8 v142, v19, v20
	v_and_b32_e32 v13, 0xf0f0f0f, v134
	s_waitcnt lgkmcnt(3)
	v_and_b32_e32 v19, 0xf0f0f0f, v136
	v_cvt_f32_ubyte0_e32 v148, v43
	v_and_b32_e32 v144, 0xf0f0f0f, v144
	v_cvt_f32_ubyte1_e32 v150, v43
	v_dot4c_i32_i8 v156, v13, v15
	v_dot4c_i32_i8 v142, v19, v9
	v_and_b32_e32 v9, 0xf0f0f0f, v137
	v_and_b32_e32 v13, 0xf0f0f0f, v14
	v_lshrrev_b32_e32 v14, 4, v136
	v_dot4c_i32_i8 v153, v144, v7
	v_cvt_f32_f16_sdwa v123, v119 dst_sel:DWORD dst_unused:UNUSED_PAD src0_sel:WORD_1
	v_dot4c_i32_i8 v142, v9, v10
	v_dot4c_i32_i8 v156, v13, v16
	v_and_b32_e32 v10, 0xf0f0f0f, v14
	v_lshrrev_b32_e32 v13, 4, v137
	s_waitcnt lgkmcnt(1)
	v_and_b32_e32 v9, 0xf0f0f0f, v17
	v_lshrrev_b32_e32 v20, 4, v145
	ds_read2_b32 v[134:135], v66 offset0:1 offset1:3
	v_dot4c_i32_i8 v156, v10, v5
	v_and_b32_e32 v5, 0xff, v42
	v_and_b32_e32 v10, 0xf0f0f0f, v13
	v_bfe_u32 v13, v42, 8, 8
	v_dot4c_i32_i8 v142, v9, v11
	v_lshrrev_b32_e32 v11, 4, v17
	v_mul_lo_u32 v5, v125, v5
	v_dot4c_i32_i8 v156, v10, v6
	v_mul_lo_u32 v10, v126, v13
	v_and_b32_e32 v9, 0xf0f0f0f, v18
	v_and_b32_e32 v6, 0xf0f0f0f, v11
	;; [unrolled: 1-line block ×3, first 2 shown]
	v_cvt_f32_ubyte0_e32 v152, v45
	v_cvt_f32_ubyte1_e32 v154, v45
	v_cvt_f32_i32_e32 v5, v5
	v_dot4c_i32_i8 v156, v6, v7
	v_fma_mix_f32 v6, v1, v148, 0 op_sel:[1,0,0] op_sel_hi:[1,0,0]
	v_lshrrev_b32_e32 v7, 4, v18
	v_dot4c_i32_i8 v142, v9, v12
	v_cvt_f32_i32_e32 v9, v10
	v_and_b32_e32 v10, 0xff, v44
	v_fma_mix_f32 v5, v1, v5, 0 op_sel_hi:[1,0,0]
	v_fma_mix_f32 v6, v2, v150, v6 op_sel:[1,0,0] op_sel_hi:[1,0,0]
	v_and_b32_e32 v7, 0xf0f0f0f, v7
	v_bfe_u32 v12, v44, 8, 8
	v_mul_lo_u32 v10, v127, v10
	v_fma_mix_f32 v5, v2, v9, v5 op_sel_hi:[1,0,0]
	v_mul_f32_e32 v6, v6, v123
	v_dot4c_i32_i8 v156, v7, v8
	v_and_b32_e32 v7, 0xff, v46
	v_mul_lo_u32 v9, v149, v12
	v_dot4c_i32_i8 v153, v15, v8
	v_fma_mix_f32 v5, v5, v119, -v6 op_sel_hi:[0,1,0]
	v_cvt_f32_i32_e32 v6, v10
	v_bfe_u32 v10, v46, 8, 8
	v_mul_lo_u32 v7, v151, v7
	v_fma_mix_f32 v8, v1, v152, 0 op_sel:[1,0,0] op_sel_hi:[1,0,0]
	v_cvt_f32_ubyte0_e32 v143, v47
	v_cvt_f32_f16_sdwa v124, v120 dst_sel:DWORD dst_unused:UNUSED_PAD src0_sel:WORD_1
	v_mul_lo_u32 v10, v153, v10
	v_cvt_f32_i32_e32 v9, v9
	v_fma_mix_f32 v6, v1, v6, 0 op_sel_hi:[1,0,0]
	v_fma_mix_f32 v8, v2, v154, v8 op_sel:[1,0,0] op_sel_hi:[1,0,0]
	v_cvt_f32_ubyte1_e32 v11, v47
	v_cvt_f32_i32_e32 v12, v7
	v_fma_mix_f32 v13, v1, v143, 0 op_sel:[1,0,0] op_sel_hi:[1,0,0]
	v_add_f32_e32 v118, v118, v5
	v_fma_mix_f32 v9, v2, v9, v6 op_sel_hi:[1,0,0]
	v_mul_f32_e32 v14, v8, v124
	ds_read_b128 v[5:8], v59 offset:64
	v_cvt_f32_i32_e32 v10, v10
	v_fma_mix_f32 v12, v1, v12, 0 op_sel_hi:[1,0,0]
	v_fma_mix_f32 v11, v2, v11, v13 op_sel:[1,0,0] op_sel_hi:[1,0,0]
	s_waitcnt lgkmcnt(1)
	v_and_b32_e32 v13, 0xff, v134
	v_cvt_f32_f16_sdwa v136, v121 dst_sel:DWORD dst_unused:UNUSED_PAD src0_sel:WORD_1
	v_fma_mix_f32 v9, v9, v120, -v14 op_sel_hi:[0,1,0]
	v_fma_mix_f32 v10, v2, v10, v12 op_sel_hi:[1,0,0]
	v_and_b32_e32 v19, 0xf0f0f0f, v130
	v_mul_lo_u32 v12, v142, v13
	v_mul_f32_e32 v11, v11, v136
	v_add_f32_e32 v142, v117, v9
	v_bfe_u32 v9, v134, 8, 8
	v_mov_b32_e32 v145, 0
	v_cvt_f32_ubyte0_e32 v17, v135
	v_fma_mix_f32 v18, v10, v121, -v11 op_sel_hi:[0,1,0]
	v_and_b32_e32 v125, 0xf0f0f0f, v129
	v_mul_lo_u32 v20, v156, v9
	v_cvt_f32_i32_e32 v117, v12
	ds_read_b128 v[9:12], v59 offset:80
	ds_read_b128 v[13:16], v59 offset:96
	s_waitcnt lgkmcnt(2)
	v_dot4c_i32_i8 v145, v19, v5
	v_and_b32_e32 v19, 0xf0f0f0f, v131
	v_add_f32_e32 v146, v116, v18
	v_mov_b32_e32 v148, 0
	v_lshrrev_b32_e32 v127, 4, v131
	v_cvt_f32_i32_e32 v18, v20
	v_fma_mix_f32 v20, v1, v117, 0 op_sel_hi:[1,0,0]
	v_dot4c_i32_i8 v145, v19, v6
	v_and_b32_e32 v19, 0xf0f0f0f, v128
	v_fma_mix_f32 v1, v1, v17, 0 op_sel:[1,0,0] op_sel_hi:[1,0,0]
	v_lshrrev_b32_e32 v17, 4, v130
	v_cvt_f32_ubyte1_e32 v117, v135
	v_fma_mix_f32 v116, v2, v18, v20 op_sel_hi:[1,0,0]
	v_dot4c_i32_i8 v145, v19, v7
	v_cvt_f32_f16_sdwa v149, v122 dst_sel:DWORD dst_unused:UNUSED_PAD src0_sel:WORD_1
	v_and_b32_e32 v126, 0xf0f0f0f, v17
	ds_read_b128 v[17:20], v59 offset:112
	v_fma_mix_f32 v1, v2, v117, v1 op_sel:[1,0,0] op_sel_hi:[1,0,0]
	v_dot4c_i32_i8 v145, v125, v8
	v_and_b32_e32 v125, 0xf0f0f0f, v132
	s_waitcnt lgkmcnt(1)
	v_dot4c_i32_i8 v148, v126, v13
	v_and_b32_e32 v126, 0xf0f0f0f, v127
	v_lshrrev_b32_e32 v127, 4, v128
	v_and_b32_e32 v2, 0xf0f0f0f, v133
	v_dot4c_i32_i8 v145, v125, v9
	v_lshrrev_b32_e32 v125, 4, v129
	v_dot4c_i32_i8 v148, v126, v14
	v_and_b32_e32 v117, 0xf0f0f0f, v127
	v_mul_f32_e32 v1, v1, v149
	v_dot4c_i32_i8 v145, v2, v10
	v_and_b32_e32 v2, 0xf0f0f0f, v138
	v_lshrrev_b32_e32 v126, 4, v133
	v_dot4c_i32_i8 v148, v117, v15
	v_and_b32_e32 v117, 0xf0f0f0f, v125
	v_lshrrev_b32_e32 v125, 4, v132
	v_dot4c_i32_i8 v145, v2, v11
	v_and_b32_e32 v2, 0xf0f0f0f, v139
	v_fma_mix_f32 v133, v116, v122, -v1 op_sel_hi:[0,1,0]
	v_dot4c_i32_i8 v148, v117, v16
	v_add_nc_u32_e32 v117, 0x10e8, v109
	v_and_b32_e32 v125, 0xf0f0f0f, v125
	v_dot4c_i32_i8 v145, v2, v12
	v_and_b32_e32 v116, 0xf0f0f0f, v126
	v_add_nc_u32_e32 v126, 0x10f0, v109
	ds_read2_b32 v[1:2], v117 offset1:1
	s_waitcnt lgkmcnt(1)
	v_dot4c_i32_i8 v148, v125, v17
	v_lshrrev_b32_e32 v117, 4, v138
	v_and_b32_e32 v125, 0xf0f0f0f, v140
	v_mov_b32_e32 v138, 0
	v_lshrrev_b32_e32 v129, 4, v140
	v_dot4c_i32_i8 v148, v116, v18
	v_and_b32_e32 v127, 0xf0f0f0f, v117
	ds_read2_b32 v[116:117], v126 offset1:1
	v_dot4c_i32_i8 v138, v125, v5
	v_and_b32_e32 v125, 0xf0f0f0f, v141
	v_add_nc_u32_e32 v126, 0x10f8, v109
	v_lshrrev_b32_e32 v131, 4, v139
	v_and_b32_e32 v129, 0xf0f0f0f, v129
	v_mov_b32_e32 v139, 0
	v_dot4c_i32_i8 v138, v125, v6
	v_lshrrev_b32_e32 v132, 4, v141
	v_add_nc_u32_e32 v128, 0x2160, v109
	v_dot4c_i32_i8 v148, v127, v19
	ds_read2_b32 v[125:126], v126 offset1:1
	ds_read2_b32 v[127:128], v128 offset1:1
	s_waitcnt lgkmcnt(3)
	v_and_b32_e32 v130, 0xf0f0f0f, v1
	v_dot4c_i32_i8 v139, v129, v13
	v_and_b32_e32 v129, 0xf0f0f0f, v132
	v_lshrrev_b32_e32 v1, 4, v1
	v_and_b32_e32 v131, 0xf0f0f0f, v131
	v_dot4c_i32_i8 v138, v130, v7
	v_and_b32_e32 v130, 0xf0f0f0f, v2
	v_dot4c_i32_i8 v139, v129, v14
	v_and_b32_e32 v1, 0xf0f0f0f, v1
	v_lshrrev_b32_e32 v2, 4, v2
	v_dot4c_i32_i8 v148, v131, v20
	v_dot4c_i32_i8 v138, v130, v8
	s_waitcnt lgkmcnt(2)
	v_and_b32_e32 v130, 0xf0f0f0f, v116
	v_dot4c_i32_i8 v139, v1, v15
	v_and_b32_e32 v131, 0xf0f0f0f, v2
	v_lshrrev_b32_e32 v116, 4, v116
	v_and_b32_e32 v129, 0xf0f0f0f, v117
	v_dot4c_i32_i8 v138, v130, v9
	v_add_nc_u32_e32 v130, 0x2168, v109
	v_dot4c_i32_i8 v139, v131, v16
	v_and_b32_e32 v116, 0xf0f0f0f, v116
	v_mov_b32_e32 v140, 0
	v_dot4c_i32_i8 v138, v129, v10
	ds_read2_b32 v[1:2], v130 offset1:1
	v_add_nc_u32_e32 v130, 0x2170, v109
	s_waitcnt lgkmcnt(1)
	v_and_b32_e32 v129, 0xf0f0f0f, v127
	v_dot4c_i32_i8 v139, v116, v17
	v_lshrrev_b32_e32 v131, 4, v117
	v_add_nc_u32_e32 v132, 0x31e0, v109
	ds_read2_b32 v[116:117], v130 offset1:1
	v_dot4c_i32_i8 v140, v129, v5
	v_and_b32_e32 v129, 0xf0f0f0f, v128
	v_add_nc_u32_e32 v130, 0x2178, v109
	v_and_b32_e32 v141, 0xf0f0f0f, v125
	v_and_b32_e32 v151, 0xf0f0f0f, v131
	v_lshrrev_b32_e32 v125, 4, v125
	v_dot4c_i32_i8 v140, v129, v6
	ds_read2_b32 v[129:130], v130 offset1:1
	ds_read2_b32 v[131:132], v132 offset1:1
	v_lshrrev_b32_e32 v127, 4, v127
	v_dot4c_i32_i8 v139, v151, v18
	v_and_b32_e32 v125, 0xf0f0f0f, v125
	v_dot4c_i32_i8 v138, v141, v11
	v_and_b32_e32 v141, 0xf0f0f0f, v126
	s_waitcnt lgkmcnt(3)
	v_and_b32_e32 v152, 0xf0f0f0f, v1
	v_and_b32_e32 v151, 0xf0f0f0f, v2
	v_dot4c_i32_i8 v139, v125, v19
	v_lshrrev_b32_e32 v126, 4, v126
	v_and_b32_e32 v127, 0xf0f0f0f, v127
	v_dot4c_i32_i8 v140, v152, v7
	s_waitcnt lgkmcnt(2)
	v_and_b32_e32 v125, 0xf0f0f0f, v116
	v_lshrrev_b32_e32 v128, 4, v128
	v_and_b32_e32 v126, 0xf0f0f0f, v126
	v_lshrrev_b32_e32 v1, 4, v1
	v_dot4c_i32_i8 v140, v151, v8
	v_mov_b32_e32 v151, 0
	v_lshrrev_b32_e32 v2, 4, v2
	v_dot4c_i32_i8 v139, v126, v20
	v_and_b32_e32 v1, 0xf0f0f0f, v1
	v_dot4c_i32_i8 v140, v125, v9
	v_and_b32_e32 v125, 0xf0f0f0f, v117
	;; [unrolled: 2-line block ×3, first 2 shown]
	v_add_nc_u32_e32 v126, 0x31e8, v109
	v_lshrrev_b32_e32 v116, 4, v116
	v_dot4c_i32_i8 v140, v125, v10
	s_waitcnt lgkmcnt(1)
	v_and_b32_e32 v125, 0xf0f0f0f, v129
	v_dot4c_i32_i8 v151, v127, v14
	v_and_b32_e32 v127, 0xf0f0f0f, v2
	v_and_b32_e32 v116, 0xf0f0f0f, v116
	v_lshrrev_b32_e32 v117, 4, v117
	v_dot4c_i32_i8 v140, v125, v11
	v_and_b32_e32 v125, 0xf0f0f0f, v130
	v_dot4c_i32_i8 v151, v1, v15
	ds_read2_b32 v[1:2], v126 offset1:1
	v_mov_b32_e32 v126, 0
	v_and_b32_e32 v128, 0xf0f0f0f, v117
	v_dot4c_i32_i8 v140, v125, v12
	v_dot4c_i32_i8 v151, v127, v16
	s_waitcnt lgkmcnt(1)
	v_and_b32_e32 v125, 0xf0f0f0f, v131
	v_add_nc_u32_e32 v127, 0x31f0, v109
	v_lshrrev_b32_e32 v129, 4, v129
	v_lshrrev_b32_e32 v137, 24, v42
	v_dot4c_i32_i8 v151, v116, v17
	v_dot4c_i32_i8 v126, v125, v5
	ds_read2_b32 v[116:117], v127 offset1:1
	v_and_b32_e32 v5, 0xf0f0f0f, v132
	v_add_nc_u32_e32 v125, 0x31f8, v109
	v_dot4c_i32_i8 v151, v128, v18
	v_and_b32_e32 v128, 0xf0f0f0f, v129
	v_mov_b32_e32 v129, 0
	v_dot4c_i32_i8 v126, v5, v6
	ds_read2_b32 v[5:6], v125 offset1:1
	v_lshrrev_b32_e32 v127, 4, v131
	s_waitcnt lgkmcnt(2)
	v_and_b32_e32 v125, 0xf0f0f0f, v1
	v_lshrrev_b32_e32 v131, 4, v132
	v_lshrrev_b32_e32 v1, 4, v1
	v_dot4c_i32_i8 v138, v141, v12
	v_and_b32_e32 v127, 0xf0f0f0f, v127
	v_dot4c_i32_i8 v126, v125, v7
	v_and_b32_e32 v7, 0xf0f0f0f, v2
	v_and_b32_e32 v1, 0xf0f0f0f, v1
	v_lshrrev_b32_e32 v2, 4, v2
	v_dot4c_i32_i8 v129, v127, v13
	v_and_b32_e32 v13, 0xf0f0f0f, v131
	v_dot4c_i32_i8 v126, v7, v8
	s_waitcnt lgkmcnt(1)
	v_and_b32_e32 v7, 0xf0f0f0f, v116
	v_lshrrev_b32_e32 v143, 24, v44
	v_lshrrev_b32_e32 v125, 4, v130
	v_dot4c_i32_i8 v129, v13, v14
	v_dot4c_i32_i8 v151, v128, v19
	;; [unrolled: 1-line block ×3, first 2 shown]
	v_and_b32_e32 v7, 0xf0f0f0f, v117
	v_and_b32_e32 v8, 0xf0f0f0f, v125
	v_dot4c_i32_i8 v129, v1, v15
	v_and_b32_e32 v1, 0xf0f0f0f, v2
	v_lshrrev_b32_e32 v2, 4, v116
	v_dot4c_i32_i8 v126, v7, v10
	s_waitcnt lgkmcnt(0)
	v_and_b32_e32 v7, 0xf0f0f0f, v5
	v_bfe_u32 v10, v42, 16, 8
	v_dot4c_i32_i8 v129, v1, v16
	v_and_b32_e32 v1, 0xf0f0f0f, v2
	v_lshrrev_b32_e32 v2, 4, v117
	v_dot4c_i32_i8 v126, v7, v11
	v_and_b32_e32 v7, 0xf0f0f0f, v6
	v_lshrrev_b32_e32 v6, 4, v6
	;; [unrolled: 3-line block ×3, first 2 shown]
	v_mul_lo_u32 v5, v145, v10
	v_dot4c_i32_i8 v126, v7, v12
	v_bfe_u32 v7, v44, 16, 8
	v_dot4c_i32_i8 v129, v1, v18
	v_mul_lo_u32 v1, v148, v137
	v_and_b32_e32 v2, 0xf0f0f0f, v2
	v_mul_lo_u32 v11, v139, v143
	v_bfe_u32 v12, v134, 16, 8
	v_cvt_f32_i32_e32 v5, v5
	v_cvt_f32_ubyte2_e32 v150, v43
	v_dot4c_i32_i8 v129, v2, v19
	v_and_b32_e32 v2, 0xf0f0f0f, v6
	v_mul_lo_u32 v6, v138, v7
	v_cvt_f32_i32_e32 v1, v1
	v_fma_mix_f32 v5, v3, v5, 0 op_sel_hi:[1,0,0]
	v_lshrrev_b32_e32 v144, 24, v46
	v_lshrrev_b32_e32 v147, 24, v134
	v_dot4c_i32_i8 v151, v8, v20
	v_dot4c_i32_i8 v129, v2, v20
	v_fma_mix_f32 v1, v4, v1, v5 op_sel_hi:[1,0,0]
	v_cvt_f32_i32_e32 v5, v6
	v_bfe_u32 v6, v46, 16, 8
	v_cvt_f32_i32_e32 v11, v11
	v_mul_lo_u32 v12, v126, v12
	v_cvt_f32_ubyte3_e32 v43, v43
	v_fma_mix_f32 v5, v3, v5, 0 op_sel_hi:[1,0,0]
	v_mul_lo_u32 v6, v140, v6
	v_cvt_f32_ubyte2_e32 v141, v45
	v_cvt_f32_ubyte2_e32 v9, v47
	v_fma_mix_f32 v7, v3, v150, 0 op_sel:[1,0,0] op_sel_hi:[1,0,0]
	v_cvt_f32_ubyte2_e32 v10, v135
	v_mul_lo_u32 v13, v151, v144
	v_fma_mix_f32 v5, v4, v11, v5 op_sel_hi:[1,0,0]
	v_mul_lo_u32 v11, v129, v147
	v_cvt_f32_ubyte3_e32 v45, v45
	v_cvt_f32_ubyte3_e32 v8, v47
	v_fma_mix_f32 v2, v4, v43, v7 op_sel:[1,0,0] op_sel_hi:[1,0,0]
	v_fma_mix_f32 v7, v3, v141, 0 op_sel:[1,0,0] op_sel_hi:[1,0,0]
	v_fma_mix_f32 v9, v3, v9, 0 op_sel:[1,0,0] op_sel_hi:[1,0,0]
	v_cvt_f32_i32_e32 v6, v6
	v_cvt_f32_i32_e32 v12, v12
	v_fma_mix_f32 v10, v3, v10, 0 op_sel:[1,0,0] op_sel_hi:[1,0,0]
	v_cvt_f32_ubyte3_e32 v14, v135
	v_fma_mix_f32 v7, v4, v45, v7 op_sel:[1,0,0] op_sel_hi:[1,0,0]
	v_cvt_f32_i32_e32 v13, v13
	v_fma_mix_f32 v6, v3, v6, 0 op_sel_hi:[1,0,0]
	v_fma_mix_f32 v8, v4, v8, v9 op_sel:[1,0,0] op_sel_hi:[1,0,0]
	v_cvt_f32_i32_e32 v9, v11
	v_fma_mix_f32 v3, v3, v12, 0 op_sel_hi:[1,0,0]
	v_fma_mix_f32 v10, v4, v14, v10 op_sel:[1,0,0] op_sel_hi:[1,0,0]
	v_mul_f32_e32 v2, v2, v123
	v_mul_f32_e32 v7, v7, v124
	v_fma_mix_f32 v6, v4, v13, v6 op_sel_hi:[1,0,0]
	v_mul_f32_e32 v8, v8, v136
	v_fma_mix_f32 v3, v4, v9, v3 op_sel_hi:[1,0,0]
	v_mul_f32_e32 v4, v10, v149
	v_add_f32_e32 v9, v37, v133
	v_fma_mix_f32 v1, v1, v119, -v2 op_sel_hi:[0,1,0]
	v_fma_mix_f32 v2, v5, v120, -v7 op_sel_hi:[0,1,0]
	;; [unrolled: 1-line block ×4, first 2 shown]
	v_add_f32_e32 v118, v118, v1
	v_add_f32_e32 v117, v142, v2
	;; [unrolled: 1-line block ×4, first 2 shown]
	s_barrier
	buffer_gl0_inv
.LBB232_5:                              ;   in Loop: Header=BB232_6 Depth=1
	v_add_co_u32 v68, s1, 0x90, v68
	v_add_co_ci_u32_e64 v69, null, 0, v69, s1
	v_add_co_u32 v70, s1, 0x90, v70
	v_add_co_ci_u32_e64 v71, null, 0, v71, s1
	v_add_co_u32 v72, s1, 0x90, v72
	v_add_co_ci_u32_e64 v73, null, 0, v73, s1
	v_add_co_u32 v74, s1, 0x90, v74
	v_add_co_ci_u32_e64 v75, null, 0, v75, s1
	v_add_co_u32 v76, s1, 0x90, v76
	v_add_co_ci_u32_e64 v77, null, 0, v77, s1
	v_add_co_u32 v78, s1, 0x90, v78
	v_add_co_ci_u32_e64 v79, null, 0, v79, s1
	v_add_co_u32 v80, s1, 0x90, v80
	v_add_co_ci_u32_e64 v81, null, 0, v81, s1
	v_add_co_u32 v82, s1, 0x90, v82
	v_add_co_ci_u32_e64 v83, null, 0, v83, s1
	v_add_co_u32 v84, s1, 0x90, v84
	v_add_co_ci_u32_e64 v85, null, 0, v85, s1
	v_add_co_u32 v86, s1, 0x90, v86
	v_add_co_ci_u32_e64 v87, null, 0, v87, s1
	v_add_co_u32 v88, s1, 0x90, v88
	v_add_co_ci_u32_e64 v89, null, 0, v89, s1
	v_add_co_u32 v90, s1, 0x90, v90
	v_add_co_ci_u32_e64 v91, null, 0, v91, s1
	v_add_co_u32 v92, s1, 0x90, v92
	v_add_co_ci_u32_e64 v93, null, 0, v93, s1
	v_add_co_u32 v94, s1, 0x90, v94
	v_add_co_ci_u32_e64 v95, null, 0, v95, s1
	v_add_co_u32 v96, s1, 0x90, v96
	v_add_co_ci_u32_e64 v97, null, 0, v97, s1
	v_add_co_u32 v98, s1, 0x90, v98
	v_add_co_ci_u32_e64 v99, null, 0, v99, s1
	v_add_co_u32 v40, s1, 0x90, v40
	v_add_co_ci_u32_e64 v41, null, 0, v41, s1
	v_add_co_u32 v100, s1, 0x90, v100
	v_add_co_ci_u32_e64 v101, null, 0, v101, s1
	v_add_co_u32 v102, s1, 0x90, v102
	v_add_co_ci_u32_e64 v103, null, 0, v103, s1
	v_add_co_u32 v104, s1, 0x90, v104
	v_add_co_ci_u32_e64 v105, null, 0, v105, s1
	v_add_co_u32 v106, s1, 0x90, v106
	v_add_nc_u32_e32 v50, 8, v50
	v_add_nc_u32_e32 v55, 8, v55
	;; [unrolled: 1-line block ×3, first 2 shown]
	v_add_co_ci_u32_e64 v107, null, 0, v107, s1
	s_add_i32 s18, s18, -1
	s_addk_i32 s4, 0x100
	s_cmp_eq_u32 s18, 0
	s_cbranch_scc1 .LBB232_17
.LBB232_6:                              ; =>This Inner Loop Header: Depth=1
	v_add_co_u32 v1, s1, v68, s8
	v_add_co_ci_u32_e64 v2, null, s12, v69, s1
	v_add_co_u32 v3, s1, v70, s8
	v_add_co_ci_u32_e64 v4, null, s12, v71, s1
	v_add_co_u32 v5, s1, v72, s8
	v_add_co_ci_u32_e64 v6, null, s12, v73, s1
	v_add_co_u32 v7, s1, v74, s8
	v_add_co_ci_u32_e64 v8, null, s12, v75, s1
	v_add_co_u32 v9, s1, v76, s8
	v_add_co_ci_u32_e64 v10, null, s12, v77, s1
	global_load_dword v11, v[1:2], off
	global_load_dword v12, v[3:4], off
	;; [unrolled: 1-line block ×4, first 2 shown]
	v_add_co_u32 v1, s1, v78, s8
	v_add_co_ci_u32_e64 v2, null, s12, v79, s1
	v_add_co_u32 v3, s1, v80, s8
	v_add_co_ci_u32_e64 v4, null, s12, v81, s1
	;; [unrolled: 2-line block ×4, first 2 shown]
	global_load_dword v15, v[9:10], off
	global_load_dword v16, v[1:2], off
	;; [unrolled: 1-line block ×5, first 2 shown]
	v_add_co_u32 v1, s1, v86, s8
	v_add_co_ci_u32_e64 v2, null, s12, v87, s1
	v_add_co_u32 v3, s1, v88, s8
	v_add_co_ci_u32_e64 v4, null, s12, v89, s1
	;; [unrolled: 2-line block ×5, first 2 shown]
	global_load_dword v20, v[1:2], off
	global_load_dword v42, v[3:4], off
	;; [unrolled: 1-line block ×5, first 2 shown]
	v_add_co_u32 v1, s1, v102, s8
	v_add_co_ci_u32_e64 v2, null, s12, v103, s1
	v_add_co_u32 v3, s1, v100, s8
	v_add_co_ci_u32_e64 v4, null, s12, v101, s1
	;; [unrolled: 2-line block ×4, first 2 shown]
	global_load_dword v46, v[1:2], off
	global_load_dword v47, v[3:4], off
	;; [unrolled: 1-line block ×4, first 2 shown]
	v_add_co_u32 v9, s1, v96, s8
	v_add_co_ci_u32_e64 v10, null, s12, v97, s1
	v_add_co_u32 v1, s1, v98, s8
	v_add_co_ci_u32_e64 v2, null, s12, v99, s1
	;; [unrolled: 2-line block ×3, first 2 shown]
	global_load_dword v7, v[9:10], off
	global_load_dword v1, v[1:2], off
	;; [unrolled: 1-line block ×3, first 2 shown]
	s_add_i32 s1, s4, 0xffffff80
	s_waitcnt vmcnt(20)
	ds_write_b32 v21, v11
	s_waitcnt vmcnt(19)
	ds_write_b32 v22, v12
	;; [unrolled: 2-line block ×10, first 2 shown]
	s_cmp_lt_i32 s1, s9
	s_waitcnt vmcnt(10)
	ds_write_b32 v31, v42
	s_waitcnt vmcnt(9)
	ds_write_b32 v32, v43
	;; [unrolled: 2-line block ×4, first 2 shown]
	s_waitcnt vmcnt(6)
	v_ashrrev_i32_e32 v3, v56, v46
	s_waitcnt vmcnt(4)
	v_ashrrev_i32_e32 v4, v56, v5
	v_ashrrev_i32_e32 v5, v60, v47
	s_waitcnt vmcnt(3)
	v_ashrrev_i32_e32 v6, v60, v6
	v_and_b32_e32 v3, 0xf0f0f0f, v3
	v_and_b32_e32 v4, 0xf0f0f0f, v4
	v_and_or_b32 v3, 0x30303030, v5, v3
	v_and_or_b32 v4, 0x30303030, v6, v4
	s_waitcnt vmcnt(2)
	ds_write_b32 v35, v7
	s_waitcnt vmcnt(1)
	ds_write_b32 v36, v1
	;; [unrolled: 2-line block ×3, first 2 shown]
	ds_write_b32 v57, v3
	ds_write_b32 v58, v4
	s_cbranch_scc0 .LBB232_5
; %bb.7:                                ;   in Loop: Header=BB232_6 Depth=1
	v_cmp_gt_i32_e64 s1, s10, v55
	s_and_b32 s5, s0, s1
	s_and_saveexec_b32 s1, s5
	s_cbranch_execz .LBB232_9
; %bb.8:                                ;   in Loop: Header=BB232_6 Depth=1
	v_add_nc_u32_e32 v1, v67, v55
	v_mad_i64_i32 v[1:2], null, v1, 36, v[38:39]
	global_load_dword v1, v[1:2], off offset:4
	s_waitcnt vmcnt(0)
	ds_write_b32 v61, v1
.LBB232_9:                              ;   in Loop: Header=BB232_6 Depth=1
	s_or_b32 exec_lo, exec_lo, s1
	v_cmp_gt_i32_e64 s1, s10, v115
	s_and_b32 s5, s19, s1
	s_and_saveexec_b32 s1, s5
	s_cbranch_execz .LBB232_11
; %bb.10:                               ;   in Loop: Header=BB232_6 Depth=1
	v_add_nc_u32_e32 v1, v67, v115
	v_mad_i64_i32 v[1:2], null, v1, 36, s[6:7]
	global_load_dword v1, v[1:2], off
	s_waitcnt vmcnt(0)
	ds_write_b32 v108, v1
.LBB232_11:                             ;   in Loop: Header=BB232_6 Depth=1
	s_or_b32 exec_lo, exec_lo, s1
	s_waitcnt lgkmcnt(0)
	s_barrier
	buffer_gl0_inv
	ds_read2_b32 v[44:45], v109 offset1:1
	ds_read_b128 v[17:20], v59
	ds_read_b128 v[9:12], v59 offset:16
	ds_read2_b32 v[46:47], v109 offset0:2 offset1:3
	ds_read_b128 v[13:16], v59 offset:32
	ds_read_b128 v[5:8], v59 offset:48
	ds_read2_b32 v[123:124], v109 offset0:4 offset1:5
	ds_read_b32 v119, v51
	v_mov_b32_e32 v125, 0
	ds_read2_b32 v[128:129], v109 offset0:6 offset1:7
	ds_read2_b32 v[42:43], v63 offset1:2
	v_mov_b32_e32 v126, 0
	ds_read2_b32 v[130:131], v112 offset1:1
	ds_read_b128 v[1:4], v62 offset:20560
	ds_read_b32 v120, v52 offset:128
	ds_read2_b32 v[132:133], v111 offset1:1
	v_mov_b32_e32 v127, 0
	ds_read_b32 v121, v53 offset:256
	ds_read_b32 v122, v54 offset:384
	ds_read2_b32 v[134:135], v109 offset0:8 offset1:9
	v_mov_b32_e32 v149, 0
	v_mov_b32_e32 v151, 0
	v_add_nc_u32_e32 v146, 0x3180, v109
	v_mov_b32_e32 v153, 0
	v_mov_b32_e32 v156, 0
	s_cmp_ge_i32 s4, s9
	s_waitcnt lgkmcnt(16)
	v_and_b32_e32 v136, 0xf0f0f0f, v44
	v_lshrrev_b32_e32 v44, 4, v44
	v_and_b32_e32 v137, 0xf0f0f0f, v45
	v_lshrrev_b32_e32 v45, 4, v45
	s_waitcnt lgkmcnt(13)
	v_and_b32_e32 v138, 0xf0f0f0f, v47
	v_dot4c_i32_i8 v125, v136, v17
	v_and_b32_e32 v44, 0xf0f0f0f, v44
	v_and_b32_e32 v136, 0xf0f0f0f, v46
	v_lshrrev_b32_e32 v46, 4, v46
	v_and_b32_e32 v45, 0xf0f0f0f, v45
	v_dot4c_i32_i8 v125, v137, v18
	s_waitcnt lgkmcnt(12)
	v_dot4c_i32_i8 v126, v44, v13
	v_lshrrev_b32_e32 v47, 4, v47
	v_and_b32_e32 v46, 0xf0f0f0f, v46
	s_waitcnt lgkmcnt(10)
	v_and_b32_e32 v139, 0xf0f0f0f, v123
	v_dot4c_i32_i8 v125, v136, v19
	v_dot4c_i32_i8 v126, v45, v14
	v_lshrrev_b32_e32 v45, 4, v123
	v_and_b32_e32 v47, 0xf0f0f0f, v47
	v_and_b32_e32 v137, 0xf0f0f0f, v124
	v_dot4c_i32_i8 v125, v138, v20
	v_dot4c_i32_i8 v126, v46, v15
	v_lshrrev_b32_e32 v123, 4, v124
	s_waitcnt lgkmcnt(3)
	v_and_b32_e32 v46, 0xf0f0f0f, v132
	v_and_b32_e32 v124, 0xf0f0f0f, v45
	v_dot4c_i32_i8 v125, v139, v9
	v_dot4c_i32_i8 v126, v47, v16
	v_and_b32_e32 v47, 0xf0f0f0f, v133
	v_dot4c_i32_i8 v127, v46, v17
	ds_read2_b32 v[45:46], v113 offset1:1
	v_and_b32_e32 v123, 0xf0f0f0f, v123
	v_dot4c_i32_i8 v126, v124, v5
	v_lshrrev_b32_e32 v124, 4, v128
	v_and_b32_e32 v44, 0xf0f0f0f, v128
	v_dot4c_i32_i8 v125, v137, v10
	v_dot4c_i32_i8 v127, v47, v18
	;; [unrolled: 1-line block ×3, first 2 shown]
	v_and_b32_e32 v47, 0xf0f0f0f, v124
	v_lshrrev_b32_e32 v123, 4, v129
	v_lshrrev_b32_e32 v124, 4, v132
	v_dot4c_i32_i8 v125, v44, v11
	v_add_nc_u32_e32 v44, 0x2100, v109
	ds_read2_b32 v[136:137], v114 offset1:1
	ds_read2_b32 v[138:139], v44 offset1:1
	v_and_b32_e32 v44, 0xf0f0f0f, v130
	v_dot4c_i32_i8 v126, v47, v7
	v_and_b32_e32 v47, 0xf0f0f0f, v123
	v_and_b32_e32 v123, 0xf0f0f0f, v124
	v_lshrrev_b32_e32 v124, 4, v133
	v_dot4c_i32_i8 v127, v44, v19
	v_and_b32_e32 v44, 0xf0f0f0f, v131
	v_dot4c_i32_i8 v126, v47, v8
	v_dot4c_i32_i8 v149, v123, v13
	v_and_b32_e32 v47, 0xf0f0f0f, v124
	v_lshrrev_b32_e32 v123, 4, v130
	v_dot4c_i32_i8 v127, v44, v20
	s_waitcnt lgkmcnt(2)
	v_and_b32_e32 v44, 0xf0f0f0f, v45
	v_lshrrev_b32_e32 v124, 4, v131
	v_dot4c_i32_i8 v149, v47, v14
	v_and_b32_e32 v47, 0xf0f0f0f, v123
	v_and_b32_e32 v140, 0xf0f0f0f, v129
	v_dot4c_i32_i8 v127, v44, v9
	v_and_b32_e32 v44, 0xf0f0f0f, v46
	v_lshrrev_b32_e32 v142, 4, v45
	v_dot4c_i32_i8 v149, v47, v15
	v_and_b32_e32 v47, 0xf0f0f0f, v124
	v_add_nc_u32_e32 v124, 0x2108, v109
	v_dot4c_i32_i8 v125, v140, v12
	v_dot4c_i32_i8 v127, v44, v10
	s_waitcnt lgkmcnt(1)
	v_and_b32_e32 v44, 0xf0f0f0f, v136
	ds_read2_b32 v[128:129], v109 offset0:10 offset1:11
	ds_read2_b32 v[130:131], v109 offset0:12 offset1:13
	;; [unrolled: 1-line block ×3, first 2 shown]
	v_dot4c_i32_i8 v149, v47, v16
	ds_read2_b32 v[140:141], v124 offset1:1
	v_and_b32_e32 v47, 0xf0f0f0f, v142
	v_dot4c_i32_i8 v127, v44, v11
	v_and_b32_e32 v143, 0xf0f0f0f, v137
	v_lshrrev_b32_e32 v46, 4, v46
	ds_read2_b32 v[44:45], v64 offset1:2
	v_dot4c_i32_i8 v149, v47, v5
	v_add_nc_u32_e32 v47, 0x2110, v109
	v_dot4c_i32_i8 v127, v143, v12
	v_and_b32_e32 v46, 0xf0f0f0f, v46
	v_lshrrev_b32_e32 v136, 4, v136
	v_cvt_f32_ubyte0_e32 v148, v43
	ds_read2_b32 v[142:143], v47 offset1:1
	s_waitcnt lgkmcnt(6)
	v_and_b32_e32 v124, 0xf0f0f0f, v138
	v_add_nc_u32_e32 v47, 0x2118, v109
	ds_read2_b32 v[144:145], v47 offset1:1
	ds_read2_b32 v[146:147], v146 offset1:1
	v_dot4c_i32_i8 v151, v124, v17
	v_and_b32_e32 v124, 0xf0f0f0f, v139
	s_waitcnt lgkmcnt(4)
	v_and_b32_e32 v47, 0xf0f0f0f, v140
	v_dot4c_i32_i8 v149, v46, v6
	v_and_b32_e32 v46, 0xf0f0f0f, v136
	v_lshrrev_b32_e32 v136, 4, v139
	v_dot4c_i32_i8 v151, v124, v18
	v_lshrrev_b32_e32 v124, 4, v138
	v_add_nc_u32_e32 v139, 0x3188, v109
	v_dot4c_i32_i8 v149, v46, v7
	v_lshrrev_b32_e32 v46, 4, v137
	v_dot4c_i32_i8 v151, v47, v19
	v_and_b32_e32 v47, 0xf0f0f0f, v141
	v_and_b32_e32 v124, 0xf0f0f0f, v124
	v_lshrrev_b32_e32 v137, 4, v141
	s_waitcnt lgkmcnt(2)
	v_and_b32_e32 v138, 0xf0f0f0f, v143
	v_lshrrev_b32_e32 v141, 4, v143
	v_dot4c_i32_i8 v151, v47, v20
	v_and_b32_e32 v47, 0xf0f0f0f, v142
	v_dot4c_i32_i8 v153, v124, v13
	v_and_b32_e32 v124, 0xf0f0f0f, v136
	v_lshrrev_b32_e32 v136, 4, v140
	v_and_b32_e32 v46, 0xf0f0f0f, v46
	v_dot4c_i32_i8 v151, v47, v9
	v_cvt_f32_ubyte1_e32 v150, v43
	v_dot4c_i32_i8 v153, v124, v14
	v_and_b32_e32 v136, 0xf0f0f0f, v136
	v_dot4c_i32_i8 v149, v46, v8
	v_dot4c_i32_i8 v151, v138, v10
	s_waitcnt lgkmcnt(1)
	v_and_b32_e32 v138, 0xf0f0f0f, v144
	ds_read2_b32 v[46:47], v65 offset1:2
	v_dot4c_i32_i8 v153, v136, v15
	v_and_b32_e32 v136, 0xf0f0f0f, v137
	v_lshrrev_b32_e32 v137, 4, v142
	v_dot4c_i32_i8 v151, v138, v11
	v_and_b32_e32 v138, 0xf0f0f0f, v145
	v_mov_b32_e32 v142, 0
	v_dot4c_i32_i8 v153, v136, v16
	v_and_b32_e32 v140, 0xf0f0f0f, v137
	ds_read2_b32 v[136:137], v139 offset1:1
	v_and_b32_e32 v139, 0xf0f0f0f, v141
	v_dot4c_i32_i8 v151, v138, v12
	v_add_nc_u32_e32 v138, 0x3190, v109
	v_dot4c_i32_i8 v153, v140, v5
	s_waitcnt lgkmcnt(2)
	v_and_b32_e32 v140, 0xf0f0f0f, v146
	v_lshrrev_b32_e32 v146, 4, v146
	v_add_nc_u32_e32 v141, 0x10a0, v109
	v_lshrrev_b32_e32 v144, 4, v144
	v_dot4c_i32_i8 v153, v139, v6
	ds_read2_b32 v[138:139], v138 offset1:1
	v_dot4c_i32_i8 v142, v140, v17
	v_and_b32_e32 v17, 0xf0f0f0f, v147
	v_add_nc_u32_e32 v140, 0x3198, v109
	v_and_b32_e32 v146, 0xf0f0f0f, v146
	v_lshrrev_b32_e32 v147, 4, v147
	v_and_b32_e32 v144, 0xf0f0f0f, v144
	v_dot4c_i32_i8 v142, v17, v18
	ds_read2_b32 v[17:18], v140 offset1:1
	ds_read2_b32 v[140:141], v141 offset1:1
	v_dot4c_i32_i8 v156, v146, v13
	s_waitcnt lgkmcnt(3)
	v_and_b32_e32 v155, 0xf0f0f0f, v136
	v_and_b32_e32 v13, 0xf0f0f0f, v147
	v_lshrrev_b32_e32 v136, 4, v136
	v_dot4c_i32_i8 v153, v144, v7
	v_cvt_f32_f16_sdwa v123, v119 dst_sel:DWORD dst_unused:UNUSED_PAD src0_sel:WORD_1
	v_dot4c_i32_i8 v142, v155, v19
	v_and_b32_e32 v19, 0xf0f0f0f, v137
	v_dot4c_i32_i8 v156, v13, v14
	v_and_b32_e32 v13, 0xf0f0f0f, v136
	v_lshrrev_b32_e32 v14, 4, v137
	ds_read2_b32 v[136:137], v66 offset1:2
	v_dot4c_i32_i8 v142, v19, v20
	s_waitcnt lgkmcnt(3)
	v_and_b32_e32 v19, 0xf0f0f0f, v138
	v_dot4c_i32_i8 v156, v13, v15
	v_and_b32_e32 v13, 0xf0f0f0f, v14
	v_lshrrev_b32_e32 v14, 4, v138
	v_lshrrev_b32_e32 v20, 4, v145
	v_dot4c_i32_i8 v142, v19, v9
	v_and_b32_e32 v9, 0xf0f0f0f, v139
	v_dot4c_i32_i8 v156, v13, v16
	v_lshrrev_b32_e32 v13, 4, v139
	v_and_b32_e32 v15, 0xf0f0f0f, v20
	v_cvt_f32_ubyte0_e32 v152, v45
	v_dot4c_i32_i8 v142, v9, v10
	v_and_b32_e32 v10, 0xf0f0f0f, v14
	s_waitcnt lgkmcnt(2)
	v_and_b32_e32 v9, 0xf0f0f0f, v17
	v_dot4c_i32_i8 v153, v15, v8
	v_cvt_f32_ubyte1_e32 v154, v45
	v_cvt_f32_ubyte0_e32 v143, v47
	v_dot4c_i32_i8 v156, v10, v5
	v_and_b32_e32 v5, 0xff, v42
	v_and_b32_e32 v10, 0xf0f0f0f, v13
	v_bfe_u32 v13, v42, 8, 8
	v_dot4c_i32_i8 v142, v9, v11
	v_lshrrev_b32_e32 v11, 4, v17
	v_mul_lo_u32 v5, v125, v5
	v_dot4c_i32_i8 v156, v10, v6
	v_mul_lo_u32 v10, v126, v13
	v_and_b32_e32 v9, 0xf0f0f0f, v18
	v_and_b32_e32 v6, 0xf0f0f0f, v11
	v_cvt_f32_f16_sdwa v124, v120 dst_sel:DWORD dst_unused:UNUSED_PAD src0_sel:WORD_1
	v_cvt_f32_ubyte1_e32 v11, v47
	v_fma_mix_f32 v13, v1, v143, 0 op_sel:[1,0,0] op_sel_hi:[1,0,0]
	v_cvt_f32_i32_e32 v5, v5
	v_dot4c_i32_i8 v156, v6, v7
	v_fma_mix_f32 v6, v1, v148, 0 op_sel:[1,0,0] op_sel_hi:[1,0,0]
	v_lshrrev_b32_e32 v7, 4, v18
	v_dot4c_i32_i8 v142, v9, v12
	v_cvt_f32_i32_e32 v9, v10
	v_and_b32_e32 v10, 0xff, v44
	v_fma_mix_f32 v5, v1, v5, 0 op_sel_hi:[1,0,0]
	v_fma_mix_f32 v6, v2, v150, v6 op_sel:[1,0,0] op_sel_hi:[1,0,0]
	v_and_b32_e32 v7, 0xf0f0f0f, v7
	v_bfe_u32 v12, v44, 8, 8
	v_mul_lo_u32 v10, v127, v10
	v_fma_mix_f32 v5, v2, v9, v5 op_sel_hi:[1,0,0]
	v_mul_f32_e32 v6, v6, v123
	v_dot4c_i32_i8 v156, v7, v8
	v_and_b32_e32 v7, 0xff, v46
	v_mul_lo_u32 v9, v149, v12
	v_fma_mix_f32 v8, v1, v152, 0 op_sel:[1,0,0] op_sel_hi:[1,0,0]
	v_fma_mix_f32 v5, v5, v119, -v6 op_sel_hi:[0,1,0]
	v_cvt_f32_i32_e32 v6, v10
	v_bfe_u32 v10, v46, 8, 8
	v_mul_lo_u32 v7, v151, v7
	v_fma_mix_f32 v8, v2, v154, v8 op_sel:[1,0,0] op_sel_hi:[1,0,0]
	v_add_f32_e32 v118, v118, v5
	v_cvt_f32_i32_e32 v9, v9
	v_mul_lo_u32 v10, v153, v10
	v_fma_mix_f32 v6, v1, v6, 0 op_sel_hi:[1,0,0]
	v_mul_f32_e32 v14, v8, v124
	v_fma_mix_f32 v11, v2, v11, v13 op_sel:[1,0,0] op_sel_hi:[1,0,0]
	v_cvt_f32_i32_e32 v12, v7
	s_waitcnt lgkmcnt(0)
	v_and_b32_e32 v13, 0xff, v136
	v_fma_mix_f32 v9, v2, v9, v6 op_sel_hi:[1,0,0]
	ds_read_b128 v[5:8], v59 offset:64
	v_cvt_f32_i32_e32 v10, v10
	v_fma_mix_f32 v12, v1, v12, 0 op_sel_hi:[1,0,0]
	v_cvt_f32_f16_sdwa v138, v121 dst_sel:DWORD dst_unused:UNUSED_PAD src0_sel:WORD_1
	v_fma_mix_f32 v9, v9, v120, -v14 op_sel_hi:[0,1,0]
	v_and_b32_e32 v19, 0xf0f0f0f, v134
	v_mov_b32_e32 v145, 0
	v_fma_mix_f32 v10, v2, v10, v12 op_sel_hi:[1,0,0]
	v_mul_lo_u32 v12, v142, v13
	v_mul_f32_e32 v11, v11, v138
	v_add_f32_e32 v142, v117, v9
	v_bfe_u32 v9, v136, 8, 8
	v_cvt_f32_ubyte0_e32 v17, v137
	v_and_b32_e32 v125, 0xf0f0f0f, v129
	v_fma_mix_f32 v18, v10, v121, -v11 op_sel_hi:[0,1,0]
	v_lshrrev_b32_e32 v127, 4, v135
	v_mul_lo_u32 v20, v156, v9
	v_cvt_f32_i32_e32 v117, v12
	ds_read_b128 v[9:12], v59 offset:80
	ds_read_b128 v[13:16], v59 offset:96
	v_add_f32_e32 v146, v116, v18
	s_waitcnt lgkmcnt(2)
	v_dot4c_i32_i8 v145, v19, v5
	v_and_b32_e32 v19, 0xf0f0f0f, v135
	v_cvt_f32_f16_sdwa v135, v122 dst_sel:DWORD dst_unused:UNUSED_PAD src0_sel:WORD_1
	v_mov_b32_e32 v149, 0
	v_cvt_f32_i32_e32 v18, v20
	v_fma_mix_f32 v20, v1, v117, 0 op_sel_hi:[1,0,0]
	v_dot4c_i32_i8 v145, v19, v6
	v_and_b32_e32 v19, 0xf0f0f0f, v128
	v_fma_mix_f32 v1, v1, v17, 0 op_sel:[1,0,0] op_sel_hi:[1,0,0]
	v_lshrrev_b32_e32 v17, 4, v134
	v_mov_b32_e32 v134, 0
	v_cvt_f32_ubyte1_e32 v117, v137
	v_dot4c_i32_i8 v145, v19, v7
	v_fma_mix_f32 v116, v2, v18, v20 op_sel_hi:[1,0,0]
	v_and_b32_e32 v126, 0xf0f0f0f, v17
	ds_read_b128 v[17:20], v59 offset:112
	v_fma_mix_f32 v1, v2, v117, v1 op_sel:[1,0,0] op_sel_hi:[1,0,0]
	v_dot4c_i32_i8 v145, v125, v8
	v_and_b32_e32 v125, 0xf0f0f0f, v130
	s_waitcnt lgkmcnt(1)
	v_dot4c_i32_i8 v134, v126, v13
	v_and_b32_e32 v126, 0xf0f0f0f, v127
	v_lshrrev_b32_e32 v127, 4, v128
	v_and_b32_e32 v2, 0xf0f0f0f, v131
	v_dot4c_i32_i8 v145, v125, v9
	v_lshrrev_b32_e32 v125, 4, v129
	v_dot4c_i32_i8 v134, v126, v14
	v_and_b32_e32 v117, 0xf0f0f0f, v127
	v_mul_f32_e32 v1, v1, v135
	v_dot4c_i32_i8 v145, v2, v10
	v_and_b32_e32 v2, 0xf0f0f0f, v132
	v_lshrrev_b32_e32 v126, 4, v131
	v_dot4c_i32_i8 v134, v117, v15
	v_and_b32_e32 v117, 0xf0f0f0f, v125
	v_lshrrev_b32_e32 v125, 4, v130
	v_dot4c_i32_i8 v145, v2, v11
	v_and_b32_e32 v2, 0xf0f0f0f, v133
	v_fma_mix_f32 v148, v116, v122, -v1 op_sel_hi:[0,1,0]
	v_dot4c_i32_i8 v134, v117, v16
	v_add_nc_u32_e32 v117, 0x10a8, v109
	v_and_b32_e32 v125, 0xf0f0f0f, v125
	v_dot4c_i32_i8 v145, v2, v12
	v_and_b32_e32 v116, 0xf0f0f0f, v126
	v_add_nc_u32_e32 v126, 0x10b0, v109
	ds_read2_b32 v[1:2], v117 offset1:1
	s_waitcnt lgkmcnt(1)
	v_dot4c_i32_i8 v134, v125, v17
	v_lshrrev_b32_e32 v117, 4, v132
	v_and_b32_e32 v125, 0xf0f0f0f, v140
	v_lshrrev_b32_e32 v129, 4, v140
	v_lshrrev_b32_e32 v131, 4, v133
	v_dot4c_i32_i8 v134, v116, v18
	v_and_b32_e32 v127, 0xf0f0f0f, v117
	ds_read2_b32 v[116:117], v126 offset1:1
	v_dot4c_i32_i8 v149, v125, v5
	v_and_b32_e32 v125, 0xf0f0f0f, v141
	v_add_nc_u32_e32 v126, 0x10b8, v109
	v_and_b32_e32 v129, 0xf0f0f0f, v129
	v_mov_b32_e32 v133, 0
	v_lshrrev_b32_e32 v132, 4, v141
	v_dot4c_i32_i8 v149, v125, v6
	v_add_nc_u32_e32 v128, 0x2120, v109
	v_dot4c_i32_i8 v134, v127, v19
	ds_read2_b32 v[125:126], v126 offset1:1
	ds_read2_b32 v[127:128], v128 offset1:1
	s_waitcnt lgkmcnt(3)
	v_and_b32_e32 v130, 0xf0f0f0f, v1
	v_dot4c_i32_i8 v133, v129, v13
	v_and_b32_e32 v129, 0xf0f0f0f, v132
	v_lshrrev_b32_e32 v1, 4, v1
	v_and_b32_e32 v131, 0xf0f0f0f, v131
	v_dot4c_i32_i8 v149, v130, v7
	v_and_b32_e32 v130, 0xf0f0f0f, v2
	v_dot4c_i32_i8 v133, v129, v14
	v_and_b32_e32 v1, 0xf0f0f0f, v1
	v_lshrrev_b32_e32 v2, 4, v2
	v_dot4c_i32_i8 v134, v131, v20
	v_dot4c_i32_i8 v149, v130, v8
	s_waitcnt lgkmcnt(2)
	v_and_b32_e32 v130, 0xf0f0f0f, v116
	v_dot4c_i32_i8 v133, v1, v15
	v_and_b32_e32 v131, 0xf0f0f0f, v2
	v_lshrrev_b32_e32 v116, 4, v116
	v_and_b32_e32 v129, 0xf0f0f0f, v117
	v_dot4c_i32_i8 v149, v130, v9
	v_add_nc_u32_e32 v130, 0x2128, v109
	v_dot4c_i32_i8 v133, v131, v16
	v_and_b32_e32 v116, 0xf0f0f0f, v116
	v_mov_b32_e32 v140, 0
	v_dot4c_i32_i8 v149, v129, v10
	ds_read2_b32 v[1:2], v130 offset1:1
	v_add_nc_u32_e32 v130, 0x2130, v109
	s_waitcnt lgkmcnt(1)
	v_and_b32_e32 v129, 0xf0f0f0f, v127
	v_dot4c_i32_i8 v133, v116, v17
	v_lshrrev_b32_e32 v131, 4, v117
	v_add_nc_u32_e32 v132, 0x31a0, v109
	ds_read2_b32 v[116:117], v130 offset1:1
	v_dot4c_i32_i8 v140, v129, v5
	v_and_b32_e32 v129, 0xf0f0f0f, v128
	v_add_nc_u32_e32 v130, 0x2138, v109
	v_and_b32_e32 v141, 0xf0f0f0f, v125
	v_and_b32_e32 v151, 0xf0f0f0f, v131
	v_lshrrev_b32_e32 v125, 4, v125
	v_dot4c_i32_i8 v140, v129, v6
	ds_read2_b32 v[129:130], v130 offset1:1
	ds_read2_b32 v[131:132], v132 offset1:1
	v_lshrrev_b32_e32 v127, 4, v127
	v_dot4c_i32_i8 v133, v151, v18
	v_and_b32_e32 v125, 0xf0f0f0f, v125
	v_dot4c_i32_i8 v149, v141, v11
	v_and_b32_e32 v141, 0xf0f0f0f, v126
	s_waitcnt lgkmcnt(3)
	v_and_b32_e32 v152, 0xf0f0f0f, v1
	v_and_b32_e32 v151, 0xf0f0f0f, v2
	v_dot4c_i32_i8 v133, v125, v19
	v_lshrrev_b32_e32 v126, 4, v126
	v_and_b32_e32 v127, 0xf0f0f0f, v127
	v_dot4c_i32_i8 v140, v152, v7
	s_waitcnt lgkmcnt(2)
	v_and_b32_e32 v125, 0xf0f0f0f, v116
	v_lshrrev_b32_e32 v128, 4, v128
	v_and_b32_e32 v126, 0xf0f0f0f, v126
	v_lshrrev_b32_e32 v1, 4, v1
	v_dot4c_i32_i8 v140, v151, v8
	v_mov_b32_e32 v151, 0
	v_lshrrev_b32_e32 v2, 4, v2
	v_dot4c_i32_i8 v133, v126, v20
	v_and_b32_e32 v1, 0xf0f0f0f, v1
	v_dot4c_i32_i8 v140, v125, v9
	v_and_b32_e32 v125, 0xf0f0f0f, v117
	v_dot4c_i32_i8 v151, v127, v13
	v_and_b32_e32 v127, 0xf0f0f0f, v128
	v_add_nc_u32_e32 v126, 0x31a8, v109
	v_lshrrev_b32_e32 v116, 4, v116
	v_dot4c_i32_i8 v140, v125, v10
	s_waitcnt lgkmcnt(1)
	v_and_b32_e32 v125, 0xf0f0f0f, v129
	v_dot4c_i32_i8 v151, v127, v14
	v_and_b32_e32 v127, 0xf0f0f0f, v2
	v_and_b32_e32 v116, 0xf0f0f0f, v116
	v_lshrrev_b32_e32 v117, 4, v117
	v_dot4c_i32_i8 v140, v125, v11
	v_and_b32_e32 v125, 0xf0f0f0f, v130
	v_dot4c_i32_i8 v151, v1, v15
	ds_read2_b32 v[1:2], v126 offset1:1
	v_mov_b32_e32 v126, 0
	v_and_b32_e32 v128, 0xf0f0f0f, v117
	v_dot4c_i32_i8 v140, v125, v12
	v_dot4c_i32_i8 v151, v127, v16
	s_waitcnt lgkmcnt(1)
	v_and_b32_e32 v125, 0xf0f0f0f, v131
	v_add_nc_u32_e32 v127, 0x31b0, v109
	v_lshrrev_b32_e32 v129, 4, v129
	v_lshrrev_b32_e32 v139, 24, v42
	v_dot4c_i32_i8 v151, v116, v17
	v_dot4c_i32_i8 v126, v125, v5
	ds_read2_b32 v[116:117], v127 offset1:1
	v_and_b32_e32 v5, 0xf0f0f0f, v132
	v_add_nc_u32_e32 v125, 0x31b8, v109
	v_dot4c_i32_i8 v151, v128, v18
	v_and_b32_e32 v128, 0xf0f0f0f, v129
	v_mov_b32_e32 v129, 0
	v_dot4c_i32_i8 v126, v5, v6
	ds_read2_b32 v[5:6], v125 offset1:1
	v_lshrrev_b32_e32 v127, 4, v131
	s_waitcnt lgkmcnt(2)
	v_and_b32_e32 v125, 0xf0f0f0f, v1
	v_lshrrev_b32_e32 v131, 4, v132
	v_lshrrev_b32_e32 v1, 4, v1
	v_dot4c_i32_i8 v149, v141, v12
	v_and_b32_e32 v127, 0xf0f0f0f, v127
	v_dot4c_i32_i8 v126, v125, v7
	v_and_b32_e32 v7, 0xf0f0f0f, v2
	v_and_b32_e32 v1, 0xf0f0f0f, v1
	v_lshrrev_b32_e32 v2, 4, v2
	v_dot4c_i32_i8 v129, v127, v13
	v_and_b32_e32 v13, 0xf0f0f0f, v131
	v_dot4c_i32_i8 v126, v7, v8
	s_waitcnt lgkmcnt(1)
	v_and_b32_e32 v7, 0xf0f0f0f, v116
	v_lshrrev_b32_e32 v143, 24, v44
	v_lshrrev_b32_e32 v125, 4, v130
	v_dot4c_i32_i8 v129, v13, v14
	v_dot4c_i32_i8 v151, v128, v19
	;; [unrolled: 1-line block ×3, first 2 shown]
	v_and_b32_e32 v7, 0xf0f0f0f, v117
	v_and_b32_e32 v8, 0xf0f0f0f, v125
	v_dot4c_i32_i8 v129, v1, v15
	v_and_b32_e32 v1, 0xf0f0f0f, v2
	v_lshrrev_b32_e32 v2, 4, v116
	v_dot4c_i32_i8 v126, v7, v10
	s_waitcnt lgkmcnt(0)
	v_and_b32_e32 v7, 0xf0f0f0f, v5
	v_bfe_u32 v10, v42, 16, 8
	v_dot4c_i32_i8 v129, v1, v16
	v_and_b32_e32 v1, 0xf0f0f0f, v2
	v_lshrrev_b32_e32 v2, 4, v117
	v_dot4c_i32_i8 v126, v7, v11
	v_and_b32_e32 v7, 0xf0f0f0f, v6
	v_lshrrev_b32_e32 v6, 4, v6
	;; [unrolled: 3-line block ×3, first 2 shown]
	v_mul_lo_u32 v5, v145, v10
	v_dot4c_i32_i8 v126, v7, v12
	v_bfe_u32 v7, v44, 16, 8
	v_dot4c_i32_i8 v129, v1, v18
	v_mul_lo_u32 v1, v134, v139
	v_and_b32_e32 v2, 0xf0f0f0f, v2
	v_mul_lo_u32 v11, v133, v143
	v_bfe_u32 v12, v136, 16, 8
	v_cvt_f32_i32_e32 v5, v5
	v_cvt_f32_ubyte2_e32 v150, v43
	v_dot4c_i32_i8 v129, v2, v19
	v_and_b32_e32 v2, 0xf0f0f0f, v6
	v_mul_lo_u32 v6, v149, v7
	v_cvt_f32_i32_e32 v1, v1
	v_fma_mix_f32 v5, v3, v5, 0 op_sel_hi:[1,0,0]
	v_lshrrev_b32_e32 v144, 24, v46
	v_lshrrev_b32_e32 v147, 24, v136
	v_dot4c_i32_i8 v151, v8, v20
	v_dot4c_i32_i8 v129, v2, v20
	v_fma_mix_f32 v1, v4, v1, v5 op_sel_hi:[1,0,0]
	v_cvt_f32_i32_e32 v5, v6
	v_bfe_u32 v6, v46, 16, 8
	v_cvt_f32_i32_e32 v11, v11
	v_mul_lo_u32 v12, v126, v12
	v_cvt_f32_ubyte3_e32 v43, v43
	v_fma_mix_f32 v5, v3, v5, 0 op_sel_hi:[1,0,0]
	v_mul_lo_u32 v6, v140, v6
	v_cvt_f32_ubyte2_e32 v141, v45
	v_cvt_f32_ubyte2_e32 v9, v47
	v_fma_mix_f32 v7, v3, v150, 0 op_sel:[1,0,0] op_sel_hi:[1,0,0]
	v_cvt_f32_ubyte2_e32 v10, v137
	v_mul_lo_u32 v13, v151, v144
	v_fma_mix_f32 v5, v4, v11, v5 op_sel_hi:[1,0,0]
	v_mul_lo_u32 v11, v129, v147
	v_cvt_f32_ubyte3_e32 v45, v45
	v_cvt_f32_ubyte3_e32 v8, v47
	v_fma_mix_f32 v2, v4, v43, v7 op_sel:[1,0,0] op_sel_hi:[1,0,0]
	v_fma_mix_f32 v7, v3, v141, 0 op_sel:[1,0,0] op_sel_hi:[1,0,0]
	;; [unrolled: 1-line block ×3, first 2 shown]
	v_cvt_f32_i32_e32 v6, v6
	v_cvt_f32_i32_e32 v12, v12
	v_fma_mix_f32 v10, v3, v10, 0 op_sel:[1,0,0] op_sel_hi:[1,0,0]
	v_cvt_f32_ubyte3_e32 v14, v137
	v_fma_mix_f32 v7, v4, v45, v7 op_sel:[1,0,0] op_sel_hi:[1,0,0]
	v_cvt_f32_i32_e32 v13, v13
	v_fma_mix_f32 v6, v3, v6, 0 op_sel_hi:[1,0,0]
	v_fma_mix_f32 v8, v4, v8, v9 op_sel:[1,0,0] op_sel_hi:[1,0,0]
	v_cvt_f32_i32_e32 v9, v11
	v_fma_mix_f32 v3, v3, v12, 0 op_sel_hi:[1,0,0]
	v_fma_mix_f32 v10, v4, v14, v10 op_sel:[1,0,0] op_sel_hi:[1,0,0]
	v_mul_f32_e32 v2, v2, v123
	v_mul_f32_e32 v7, v7, v124
	v_fma_mix_f32 v6, v4, v13, v6 op_sel_hi:[1,0,0]
	v_mul_f32_e32 v8, v8, v138
	v_fma_mix_f32 v3, v4, v9, v3 op_sel_hi:[1,0,0]
	v_mul_f32_e32 v4, v10, v135
	v_add_f32_e32 v9, v37, v148
	v_fma_mix_f32 v1, v1, v119, -v2 op_sel_hi:[0,1,0]
	v_fma_mix_f32 v2, v5, v120, -v7 op_sel_hi:[0,1,0]
	;; [unrolled: 1-line block ×4, first 2 shown]
	v_add_f32_e32 v118, v118, v1
	v_add_f32_e32 v117, v142, v2
	;; [unrolled: 1-line block ×4, first 2 shown]
	s_barrier
	buffer_gl0_inv
	s_cbranch_scc1 .LBB232_5
; %bb.12:                               ;   in Loop: Header=BB232_6 Depth=1
	v_cmp_gt_i32_e64 s1, s10, v50
	s_and_b32 s5, s0, s1
	s_and_saveexec_b32 s1, s5
	s_cbranch_execz .LBB232_14
; %bb.13:                               ;   in Loop: Header=BB232_6 Depth=1
	v_add_nc_u32_e32 v1, v67, v50
	v_mad_i64_i32 v[1:2], null, v1, 36, v[38:39]
	global_load_dword v1, v[1:2], off offset:4
	s_waitcnt vmcnt(0)
	ds_write_b32 v61, v1
.LBB232_14:                             ;   in Loop: Header=BB232_6 Depth=1
	s_or_b32 exec_lo, exec_lo, s1
	s_and_saveexec_b32 s5, vcc_lo
	s_cbranch_execz .LBB232_4
; %bb.15:                               ;   in Loop: Header=BB232_6 Depth=1
	v_add_nc_u32_e32 v1, 4, v115
	v_cmp_gt_i32_e64 s1, s10, v1
	s_and_b32 s1, s0, s1
	s_and_b32 exec_lo, exec_lo, s1
	s_cbranch_execz .LBB232_4
; %bb.16:                               ;   in Loop: Header=BB232_6 Depth=1
	v_ashrrev_i32_e32 v1, 31, v115
	v_add_co_u32 v2, s1, v67, v115
	v_add_co_ci_u32_e64 v3, null, v110, v1, s1
	v_mad_u64_u32 v[1:2], null, v2, 36, s[6:7]
	v_mad_i32_i24 v2, v3, 36, v2
	global_load_dword v1, v[1:2], off offset:144
	s_waitcnt vmcnt(0)
	ds_write_b32 v108, v1
	s_branch .LBB232_4
.LBB232_17:
	s_mul_i32 s0, s14, s11
	s_waitcnt vmcnt(0)
	v_cmp_gt_i32_e32 vcc_lo, s0, v48
	s_and_saveexec_b32 s0, vcc_lo
	s_cbranch_execz .LBB232_26
; %bb.18:
	v_add_nc_u32_e32 v1, s15, v0
	v_mul_lo_u32 v0, v48, s13
	s_mov_b32 s0, exec_lo
	v_cmpx_gt_u32_e64 s13, v1
	s_cbranch_execz .LBB232_20
; %bb.19:
	v_add_nc_u32_e32 v2, v0, v1
	v_mov_b32_e32 v3, 0
	v_bfe_u32 v4, v118, 16, 1
	v_cmp_o_f32_e32 vcc_lo, v118, v118
	v_mov_b32_e32 v5, 0x7fc0
	v_lshlrev_b64 v[2:3], 1, v[2:3]
	v_add3_u32 v4, v118, v4, 0x7fff
	v_cndmask_b32_sdwa v4, v5, v4, vcc_lo dst_sel:DWORD dst_unused:UNUSED_PAD src0_sel:DWORD src1_sel:WORD_1
	v_add_co_u32 v2, vcc_lo, s2, v2
	v_add_co_ci_u32_e64 v3, null, s3, v3, vcc_lo
	global_store_short v[2:3], v4, off
.LBB232_20:
	s_or_b32 exec_lo, exec_lo, s0
	v_add_nc_u32_e32 v2, 32, v1
	s_mov_b32 s0, exec_lo
	v_cmpx_gt_u32_e64 s13, v2
	s_cbranch_execz .LBB232_22
; %bb.21:
	v_add_nc_u32_e32 v2, v0, v2
	v_mov_b32_e32 v3, 0
	v_bfe_u32 v4, v117, 16, 1
	v_cmp_o_f32_e32 vcc_lo, v117, v117
	v_mov_b32_e32 v5, 0x7fc0
	v_lshlrev_b64 v[2:3], 1, v[2:3]
	v_add3_u32 v4, v117, v4, 0x7fff
	v_cndmask_b32_sdwa v4, v5, v4, vcc_lo dst_sel:DWORD dst_unused:UNUSED_PAD src0_sel:DWORD src1_sel:WORD_1
	v_add_co_u32 v2, vcc_lo, s2, v2
	v_add_co_ci_u32_e64 v3, null, s3, v3, vcc_lo
	global_store_short v[2:3], v4, off
.LBB232_22:
	s_or_b32 exec_lo, exec_lo, s0
	v_add_nc_u32_e32 v2, 64, v1
	;; [unrolled: 18-line block ×3, first 2 shown]
	v_cmp_gt_u32_e32 vcc_lo, s13, v1
	s_and_b32 exec_lo, exec_lo, vcc_lo
	s_cbranch_execz .LBB232_26
; %bb.25:
	v_add_nc_u32_e32 v0, v0, v1
	v_mov_b32_e32 v1, 0
	v_bfe_u32 v2, v37, 16, 1
	v_cmp_o_f32_e32 vcc_lo, v37, v37
	v_mov_b32_e32 v3, 0x7fc0
	v_lshlrev_b64 v[0:1], 1, v[0:1]
	v_add3_u32 v2, v37, v2, 0x7fff
	v_cndmask_b32_sdwa v2, v3, v2, vcc_lo dst_sel:DWORD dst_unused:UNUSED_PAD src0_sel:DWORD src1_sel:WORD_1
	v_add_co_u32 v0, vcc_lo, s2, v0
	v_add_co_ci_u32_e64 v1, null, s3, v1, vcc_lo
	global_store_short v[0:1], v2, off
.LBB232_26:
	s_endpgm
	.section	.rodata,"a",@progbits
	.p2align	6, 0x0
	.amdhsa_kernel _ZL8moe_q4_KIN3c108BFloat16ELb1EEvPKvS3_PT_PKiS7_S7_iiiiiii
		.amdhsa_group_segment_fixed_size 20688
		.amdhsa_private_segment_fixed_size 0
		.amdhsa_kernarg_size 76
		.amdhsa_user_sgpr_count 6
		.amdhsa_user_sgpr_private_segment_buffer 1
		.amdhsa_user_sgpr_dispatch_ptr 0
		.amdhsa_user_sgpr_queue_ptr 0
		.amdhsa_user_sgpr_kernarg_segment_ptr 1
		.amdhsa_user_sgpr_dispatch_id 0
		.amdhsa_user_sgpr_flat_scratch_init 0
		.amdhsa_user_sgpr_private_segment_size 0
		.amdhsa_wavefront_size32 1
		.amdhsa_uses_dynamic_stack 0
		.amdhsa_system_sgpr_private_segment_wavefront_offset 0
		.amdhsa_system_sgpr_workgroup_id_x 1
		.amdhsa_system_sgpr_workgroup_id_y 1
		.amdhsa_system_sgpr_workgroup_id_z 0
		.amdhsa_system_sgpr_workgroup_info 0
		.amdhsa_system_vgpr_workitem_id 1
		.amdhsa_next_free_vgpr 157
		.amdhsa_next_free_sgpr 20
		.amdhsa_reserve_vcc 1
		.amdhsa_reserve_flat_scratch 0
		.amdhsa_float_round_mode_32 0
		.amdhsa_float_round_mode_16_64 0
		.amdhsa_float_denorm_mode_32 3
		.amdhsa_float_denorm_mode_16_64 3
		.amdhsa_dx10_clamp 1
		.amdhsa_ieee_mode 1
		.amdhsa_fp16_overflow 0
		.amdhsa_workgroup_processor_mode 1
		.amdhsa_memory_ordered 1
		.amdhsa_forward_progress 1
		.amdhsa_shared_vgpr_count 0
		.amdhsa_exception_fp_ieee_invalid_op 0
		.amdhsa_exception_fp_denorm_src 0
		.amdhsa_exception_fp_ieee_div_zero 0
		.amdhsa_exception_fp_ieee_overflow 0
		.amdhsa_exception_fp_ieee_underflow 0
		.amdhsa_exception_fp_ieee_inexact 0
		.amdhsa_exception_int_div_zero 0
	.end_amdhsa_kernel
	.section	.text._ZL8moe_q4_KIN3c108BFloat16ELb1EEvPKvS3_PT_PKiS7_S7_iiiiiii,"axG",@progbits,_ZL8moe_q4_KIN3c108BFloat16ELb1EEvPKvS3_PT_PKiS7_S7_iiiiiii,comdat
.Lfunc_end232:
	.size	_ZL8moe_q4_KIN3c108BFloat16ELb1EEvPKvS3_PT_PKiS7_S7_iiiiiii, .Lfunc_end232-_ZL8moe_q4_KIN3c108BFloat16ELb1EEvPKvS3_PT_PKiS7_S7_iiiiiii
                                        ; -- End function
	.set _ZL8moe_q4_KIN3c108BFloat16ELb1EEvPKvS3_PT_PKiS7_S7_iiiiiii.num_vgpr, 157
	.set _ZL8moe_q4_KIN3c108BFloat16ELb1EEvPKvS3_PT_PKiS7_S7_iiiiiii.num_agpr, 0
	.set _ZL8moe_q4_KIN3c108BFloat16ELb1EEvPKvS3_PT_PKiS7_S7_iiiiiii.numbered_sgpr, 20
	.set _ZL8moe_q4_KIN3c108BFloat16ELb1EEvPKvS3_PT_PKiS7_S7_iiiiiii.num_named_barrier, 0
	.set _ZL8moe_q4_KIN3c108BFloat16ELb1EEvPKvS3_PT_PKiS7_S7_iiiiiii.private_seg_size, 0
	.set _ZL8moe_q4_KIN3c108BFloat16ELb1EEvPKvS3_PT_PKiS7_S7_iiiiiii.uses_vcc, 1
	.set _ZL8moe_q4_KIN3c108BFloat16ELb1EEvPKvS3_PT_PKiS7_S7_iiiiiii.uses_flat_scratch, 0
	.set _ZL8moe_q4_KIN3c108BFloat16ELb1EEvPKvS3_PT_PKiS7_S7_iiiiiii.has_dyn_sized_stack, 0
	.set _ZL8moe_q4_KIN3c108BFloat16ELb1EEvPKvS3_PT_PKiS7_S7_iiiiiii.has_recursion, 0
	.set _ZL8moe_q4_KIN3c108BFloat16ELb1EEvPKvS3_PT_PKiS7_S7_iiiiiii.has_indirect_call, 0
	.section	.AMDGPU.csdata,"",@progbits
; Kernel info:
; codeLenInByte = 11392
; TotalNumSgprs: 22
; NumVgprs: 157
; ScratchSize: 0
; MemoryBound: 0
; FloatMode: 240
; IeeeMode: 1
; LDSByteSize: 20688 bytes/workgroup (compile time only)
; SGPRBlocks: 0
; VGPRBlocks: 19
; NumSGPRsForWavesPerEU: 22
; NumVGPRsForWavesPerEU: 157
; Occupancy: 6
; WaveLimiterHint : 1
; COMPUTE_PGM_RSRC2:SCRATCH_EN: 0
; COMPUTE_PGM_RSRC2:USER_SGPR: 6
; COMPUTE_PGM_RSRC2:TRAP_HANDLER: 0
; COMPUTE_PGM_RSRC2:TGID_X_EN: 1
; COMPUTE_PGM_RSRC2:TGID_Y_EN: 1
; COMPUTE_PGM_RSRC2:TGID_Z_EN: 0
; COMPUTE_PGM_RSRC2:TIDIG_COMP_CNT: 1
	.section	.text._ZL8moe_q5_KIN3c108BFloat16ELb0EEvPKvS3_PT_PKiS7_S7_iiiiiii,"axG",@progbits,_ZL8moe_q5_KIN3c108BFloat16ELb0EEvPKvS3_PT_PKiS7_S7_iiiiiii,comdat
	.globl	_ZL8moe_q5_KIN3c108BFloat16ELb0EEvPKvS3_PT_PKiS7_S7_iiiiiii ; -- Begin function _ZL8moe_q5_KIN3c108BFloat16ELb0EEvPKvS3_PT_PKiS7_S7_iiiiiii
	.p2align	8
	.type	_ZL8moe_q5_KIN3c108BFloat16ELb0EEvPKvS3_PT_PKiS7_S7_iiiiiii,@function
_ZL8moe_q5_KIN3c108BFloat16ELb0EEvPKvS3_PT_PKiS7_S7_iiiiiii: ; @_ZL8moe_q5_KIN3c108BFloat16ELb0EEvPKvS3_PT_PKiS7_S7_iiiiiii
; %bb.0:
	s_load_dwordx4 s[0:3], s[4:5], 0x18
	s_mov_b32 s8, s7
	s_mov_b32 s9, 0
	s_lshl_b64 s[10:11], s[8:9], 2
	s_waitcnt lgkmcnt(0)
	s_add_u32 s2, s2, s10
	s_addc_u32 s3, s3, s11
	s_load_dword s14, s[2:3], 0x0
	s_waitcnt lgkmcnt(0)
	s_cmpk_gt_u32 s14, 0xff
	s_cbranch_scc1 .LBB233_26
; %bb.1:
	s_load_dwordx2 s[2:3], s[4:5], 0x28
	s_waitcnt lgkmcnt(0)
	s_load_dword s3, s[2:3], 0x0
	s_lshl_b32 s2, s8, 3
	s_waitcnt lgkmcnt(0)
	s_cmp_gt_u32 s2, s3
	s_cbranch_scc1 .LBB233_26
; %bb.2:
	v_add_nc_u32_e32 v6, s2, v1
	v_mov_b32_e32 v7, 0
	s_lshl_b32 s16, s6, 7
	v_lshlrev_b64 v[2:3], 2, v[6:7]
	v_mov_b32_e32 v121, v7
	v_mov_b32_e32 v122, v7
	;; [unrolled: 1-line block ×3, first 2 shown]
	v_add_co_u32 v2, vcc_lo, s0, v2
	v_add_co_ci_u32_e64 v3, null, s1, v3, vcc_lo
	global_load_dword v12, v[2:3], off
	s_clause 0x2
	s_load_dwordx2 s[2:3], s[4:5], 0x30
	s_load_dwordx2 s[12:13], s[4:5], 0x10
	s_load_dwordx4 s[8:11], s[4:5], 0x3c
	s_waitcnt lgkmcnt(0)
	s_cmpk_lt_i32 s3, 0x100
	s_cbranch_scc1 .LBB233_17
; %bb.3:
	s_ashr_i32 s0, s3, 31
	s_mul_i32 s17, s14, s2
	s_lshr_b32 s0, s0, 24
	s_abs_i32 s2, s11
	s_add_i32 s0, s3, s0
	v_cvt_f32_u32_e32 v14, s2
	s_ashr_i32 s18, s0, 8
	v_and_b32_e32 v5, 7, v0
	s_lshl_b32 s0, s18, 3
	v_lshlrev_b32_e32 v7, 3, v0
	v_mad_i32_i24 v9, s18, v1, s0
	v_rcp_iflag_f32_e32 v21, v14
	v_lshlrev_b32_e32 v5, 2, v5
	s_ashr_i32 s1, s9, 31
	v_lshlrev_b32_e32 v4, 2, v0
	v_add_nc_u32_e32 v10, s0, v9
	v_lshl_add_u32 v8, v1, 5, v0
	v_and_b32_e32 v18, 3, v0
	v_and_or_b32 v5, 0xc0, v7, v5
	s_lshr_b32 s1, s1, 27
	v_add_nc_u32_e32 v45, s0, v10
	v_mul_f32_e32 v7, 0x4f7ffffe, v21
	s_add_i32 s1, s9, s1
	v_and_b32_e32 v15, 0x7f, v8
	v_and_b32_e32 v20, 4, v4
	v_add_nc_u32_e32 v49, s0, v45
	s_ashr_i32 s9, s1, 5
	v_cvt_u32_f32_e32 v7, v7
	v_cmp_lt_u32_e64 s1, 1, v18
	v_lshrrev_b32_e32 v3, 2, v0
	v_add_nc_u32_e32 v53, s0, v49
	v_lshlrev_b32_e32 v11, 3, v1
	s_sub_i32 s14, 0, s2
	v_add_nc_u32_e32 v17, 0xfe, v18
	v_mul_i32_i24_e32 v101, s18, v15
	v_lshlrev_b32_e32 v21, 2, v15
	v_cndmask_b32_e64 v15, 0, v20, s1
	v_mul_lo_u32 v20, s14, v7
	v_add_nc_u32_e32 v57, s0, v53
	v_mul_u32_u24_e32 v6, 0x41, v1
	v_add_nc_u32_e32 v16, v3, v11
	v_and_b32_e32 v23, 0xff, v17
	v_cmp_gt_u32_e32 vcc_lo, 2, v18
	v_add_nc_u32_e32 v61, s0, v57
	v_and_b32_e32 v13, 6, v3
	v_and_b32_e32 v24, 0x7f, v16
	v_lshl_add_u32 v16, v6, 2, v5
	v_mul_hi_u32 v6, v7, v20
	v_lshrrev_b32_e32 v8, 3, v8
	v_add_nc_u16 v3, v3, v11
	v_cndmask_b32_e32 v5, v23, v18, vcc_lo
	v_cmp_ne_u32_e32 vcc_lo, 0, v18
	s_waitcnt vmcnt(0)
	v_sub_nc_u32_e32 v19, 0, v12
	v_add_nc_u32_e32 v11, s0, v61
	v_lshlrev_b32_e32 v22, 2, v18
	v_and_b32_e32 v8, 12, v8
	v_lshrrev_b16 v3, 1, v3
	v_add_co_ci_u32_e64 v102, null, 0, v5, vcc_lo
	v_lshlrev_b32_e32 v18, 1, v5
	v_xor_b32_e32 v5, 64, v24
	v_max_i32_e32 v27, v12, v19
	v_add_nc_u32_e32 v6, v7, v6
	v_add_nc_u32_e32 v69, s0, v11
	v_add3_u32 v17, v21, v8, 0x8e40
	v_lshl_or_b32 v8, v24, 4, v22
	v_and_b32_e32 v3, 60, v3
	v_lshrrev_b32_e32 v7, 1, v5
	v_mul_hi_u32 v6, v27, v6
	v_add_nc_u32_e32 v73, s0, v69
	v_lshrrev_b32_e32 v20, 3, v0
	v_add3_u32 v19, v8, v3, 0x8200
	v_lshl_or_b32 v3, v5, 4, v22
	v_and_b32_e32 v7, 60, v7
	v_add_nc_u32_e32 v77, s0, v73
	v_lshrrev_b32_e32 v2, 5, v0
	v_mul_i32_i24_e32 v103, s18, v5
	v_and_b32_e32 v5, 31, v0
	v_add3_u32 v22, v3, v7, 0x8200
	v_mul_lo_u32 v7, v6, s2
	v_add_nc_u32_e32 v81, s0, v77
	v_lshl_add_u32 v21, v1, 7, 0x8a40
	v_add_nc_u32_e32 v3, v20, v4
	v_mul_i32_i24_e32 v100, s18, v24
	v_add_nc_u32_e32 v8, 1, v6
	v_add_nc_u32_e32 v85, s0, v81
	v_lshl_add_u32 v24, v5, 2, v21
	v_lshlrev_b32_e32 v5, 2, v2
	v_sub_nc_u32_e32 v7, v27, v7
	v_lshl_add_u32 v26, v3, 2, 0x8200
	v_add_nc_u32_e32 v3, 32, v0
	v_add_nc_u32_e32 v89, s0, v85
	v_add3_u32 v29, v4, v5, 0x8e40
	v_subrev_nc_u32_e32 v5, s2, v7
	v_cmp_le_u32_e64 s0, s2, v7
	v_lshrrev_b32_e32 v28, 3, v3
	v_xor_b32_e32 v30, s11, v12
	v_add_nc_u32_e32 v33, 0x60, v0
	v_add_nc_u32_e32 v32, 64, v0
	v_cndmask_b32_e64 v6, v6, v8, s0
	v_cndmask_b32_e64 v5, v7, v5, s0
	v_lshl_add_u32 v3, v3, 2, v28
	s_load_dwordx4 s[4:7], s[4:5], 0x0
	v_and_b32_e32 v8, 60, v28
	v_add_nc_u32_e32 v7, 1, v6
	v_cmp_le_u32_e64 s0, s2, v5
	v_ashrrev_i32_e32 v34, 31, v30
	v_lshl_add_u32 v30, v3, 2, 0x8200
	v_lshrrev_b32_e32 v3, 3, v33
	s_mul_i32 s20, s18, s16
	v_cndmask_b32_e64 v5, v6, v7, s0
	v_lshrrev_b32_e32 v6, 3, v32
	s_mul_hi_i32 s15, s20, 0xb0
	s_mul_i32 s14, s20, 0xb0
	v_add3_u32 v31, v4, v8, 0x8e40
	v_lshl_add_u32 v8, v33, 2, v3
	v_and_b32_e32 v35, 60, v3
	v_mad_u64_u32 v[2:3], null, 0xb0, v2, s[14:15]
	v_mul_i32_i24_e32 v36, s18, v1
	v_xor_b32_e32 v5, v5, v34
	v_lshl_add_u32 v7, v32, 2, v6
	v_and_b32_e32 v95, 28, v4
	v_and_b32_e32 v6, 60, v6
	;; [unrolled: 1-line block ×3, first 2 shown]
	v_sub_nc_u32_e32 v5, v5, v34
	v_lshl_add_u32 v32, v7, 2, 0x8200
	v_lshl_add_u32 v34, v8, 2, 0x8200
	v_mad_u64_u32 v[7:8], null, 0xb0, v36, v[2:3]
	v_cmp_gt_i32_e64 s0, s8, v5
	v_mul_lo_u32 v36, v5, s9
	s_waitcnt lgkmcnt(0)
	v_add_co_u32 v5, s2, s6, v95
	v_add_nc_u32_e32 v23, 0x9050, v4
	v_add3_u32 v33, v4, v6, 0x8e40
	v_add3_u32 v35, v4, v35, 0x8e40
	v_add_co_ci_u32_e64 v6, null, s7, 0, s2
	v_add_co_u32 v4, s2, v7, v95
	v_add_co_ci_u32_e64 v37, null, 0, v8, s2
	v_add_co_u32 v7, s2, v7, v99
	v_add_co_ci_u32_e64 v8, null, 0, v8, s2
	v_add_co_u32 v4, s2, s4, v4
	v_add_co_ci_u32_e64 v38, null, s5, v37, s2
	v_add_co_u32 v39, s2, s4, v7
	v_add_co_ci_u32_e64 v40, null, s5, v8, s2
	v_mad_u64_u32 v[7:8], null, 0xb0, v9, v[2:3]
	v_add_co_u32 v37, s2, v4, 16
	v_add_co_ci_u32_e64 v38, null, 0, v38, s2
	v_add_co_u32 v39, s2, v39, 48
	v_add_co_ci_u32_e64 v40, null, 0, v40, s2
	v_add_co_u32 v4, s2, v7, v95
	v_add_co_ci_u32_e64 v9, null, 0, v8, s2
	v_add_co_u32 v7, s2, v7, v99
	v_add_co_ci_u32_e64 v8, null, 0, v8, s2
	v_add_co_u32 v4, s2, s4, v4
	v_add_co_ci_u32_e64 v9, null, s5, v9, s2
	v_add_co_u32 v43, s2, s4, v7
	v_add_co_ci_u32_e64 v44, null, s5, v8, s2
	v_mad_u64_u32 v[7:8], null, 0xb0, v10, v[2:3]
	v_add_co_u32 v41, s2, v4, 16
	v_add_co_ci_u32_e64 v42, null, 0, v9, s2
	v_add_co_u32 v43, s2, v43, 48
	;; [unrolled: 13-line block ×14, first 2 shown]
	s_mul_i32 s21, s18, 0x78
	v_add_co_ci_u32_e64 v92, null, 0, v11, s2
	v_add_co_u32 v4, s2, v7, v95
	v_lshlrev_b32_e32 v25, 4, v1
	v_mad_i32_i24 v1, s18, v1, s21
	v_add_co_ci_u32_e64 v9, null, 0, v8, s2
	v_add_co_u32 v4, s2, s4, v4
	v_mad_u64_u32 v[1:2], null, 0xb0, v1, v[2:3]
	v_add_co_ci_u32_e64 v9, null, s5, v9, s2
	v_add_co_u32 v93, s2, v4, 16
	v_cmp_gt_u32_e32 vcc_lo, 4, v0
	v_add_co_ci_u32_e64 v94, null, 0, v9, s2
	v_add_co_u32 v3, s2, v7, v99
	v_add_co_ci_u32_e64 v4, null, 0, v8, s2
	v_add_co_u32 v7, s2, v1, v95
	v_add_co_ci_u32_e64 v8, null, 0, v2, s2
	v_add_co_u32 v3, s2, s4, v3
	v_add_co_ci_u32_e64 v4, null, s5, v4, s2
	v_add_co_u32 v7, s2, s4, v7
	v_add_co_ci_u32_e64 v8, null, s5, v8, s2
	v_add_co_u32 v95, s2, v3, 48
	v_add_co_ci_u32_e64 v96, null, 0, v4, s2
	v_add_co_u32 v97, s2, v7, 16
	v_add_co_ci_u32_e64 v98, null, 0, v8, s2
	v_add_co_u32 v3, s2, v1, v99
	v_add_co_ci_u32_e64 v4, null, 0, v2, s2
	v_mad_u64_u32 v[1:2], null, 0xb0, v100, 0
	v_add_co_u32 v3, s2, s4, v3
	v_add_co_ci_u32_e64 v4, null, s5, v4, s2
	v_cndmask_b32_e64 v7, 0, 1, s1
	v_add_co_u32 v99, s1, v3, 48
	v_add_co_ci_u32_e64 v100, null, 0, v4, s1
	v_add_co_u32 v1, s1, s14, v1
	v_lshlrev_b32_e32 v3, 2, v7
	v_add_co_ci_u32_e64 v2, null, s15, v2, s1
	v_lshlrev_b32_e32 v7, 2, v102
	s_ashr_i32 s19, s17, 31
	v_or_b32_e32 v4, v1, v3
	s_and_b32 s20, vcc_lo, s0
	s_add_u32 s22, s4, s14
	s_addc_u32 s23, s5, s15
	v_mov_b32_e32 v105, 0
	v_add_co_u32 v4, s1, s4, v4
	v_add_co_ci_u32_e64 v10, null, s5, v2, s1
	v_add_co_u32 v11, s1, v1, v7
	v_add_co_ci_u32_e64 v104, null, 0, v2, s1
	v_mad_u64_u32 v[1:2], null, 0xb0, v103, 0
	v_mad_u64_u32 v[8:9], null, 0xb0, v101, s[22:23]
	v_add_co_u32 v101, s1, v4, 4
	v_add_co_ci_u32_e64 v102, null, 0, v10, s1
	v_add_co_u32 v4, s1, s4, v11
	v_add_co_ci_u32_e64 v10, null, s5, v104, s1
	;; [unrolled: 2-line block ×3, first 2 shown]
	v_add_co_u32 v103, s2, v4, 4
	v_or_b32_e32 v3, v1, v3
	v_add_co_u32 v1, s1, v1, v7
	v_add_co_ci_u32_e64 v4, null, 0, v2, s1
	v_add_co_u32 v3, s1, s4, v3
	v_add_co_ci_u32_e64 v2, null, s5, v2, s1
	;; [unrolled: 2-line block ×4, first 2 shown]
	v_add_co_u32 v108, s1, v1, 4
	v_or_b32_e32 v14, 1, v13
	v_mul_u32_u24_e32 v27, 0x104, v0
	v_add_co_ci_u32_e64 v104, null, 0, v10, s2
	v_add_co_ci_u32_e64 v109, null, 0, v4, s1
	v_add_nc_u32_e32 v110, 0x3000, v16
	v_add_nc_u32_e32 v111, 0x3800, v16
	;; [unrolled: 1-line block ×10, first 2 shown]
	v_mov_b32_e32 v120, v0
	v_mov_b32_e32 v122, 0
	;; [unrolled: 1-line block ×4, first 2 shown]
	s_movk_i32 s2, 0x80
	s_branch .LBB233_6
.LBB233_4:                              ;   in Loop: Header=BB233_6 Depth=1
	s_or_b32 exec_lo, exec_lo, s4
	s_waitcnt lgkmcnt(0)
	s_barrier
	buffer_gl0_inv
	ds_read2_b32 v[123:124], v27 offset0:32 offset1:33
	ds_read_b128 v[127:130], v21
	ds_read_b128 v[131:134], v21 offset:16
	ds_read2_b32 v[125:126], v27 offset0:34 offset1:35
	ds_read_b128 v[135:138], v21 offset:32
	ds_read_b128 v[139:142], v21 offset:48
	v_mov_b32_e32 v175, 0
	ds_read2_b32 v[143:144], v27 offset0:36 offset1:37
	ds_read2_b32 v[145:146], v27 offset0:38 offset1:39
	;; [unrolled: 1-line block ×3, first 2 shown]
	v_add_nc_u32_e32 v149, 0x2100, v27
	ds_read2_b32 v[10:11], v26 offset0:1 offset1:3
	ds_read_b128 v[1:4], v25 offset:36944
	ds_read2_b32 v[149:150], v149 offset1:1
	ds_read2_b32 v[151:152], v27 offset0:42 offset1:43
	ds_read2_b32 v[153:154], v27 offset0:44 offset1:45
	v_add_nc_u32_e32 v159, 0x2118, v27
	v_add_nc_u32_e32 v161, 0x2120, v27
	v_mov_b32_e32 v176, 0
	v_mov_b32_e32 v177, 0
	;; [unrolled: 1-line block ×4, first 2 shown]
	v_add_nc_u32_e32 v165, 0x41b0, v27
	s_waitcnt lgkmcnt(12)
	v_dot4c_i32_i8 v175, v123, v127
	v_add_nc_u32_e32 v123, 0x2108, v27
	v_add_nc_u32_e32 v167, 0x41b8, v27
	;; [unrolled: 1-line block ×4, first 2 shown]
	v_dot4c_i32_i8 v175, v124, v128
	v_add_nc_u32_e32 v124, 0x2110, v27
	ds_read2_b32 v[155:156], v123 offset1:1
	ds_read2_b32 v[157:158], v124 offset1:1
	;; [unrolled: 1-line block ×4, first 2 shown]
	s_waitcnt lgkmcnt(14)
	v_dot4c_i32_i8 v175, v125, v129
	s_waitcnt lgkmcnt(9)
	v_dot4c_i32_i8 v176, v147, v135
	ds_read_b32 v123, v31 offset:128
	ds_read_b32 v124, v33 offset:256
	;; [unrolled: 1-line block ×3, first 2 shown]
	s_waitcnt lgkmcnt(9)
	v_dot4c_i32_i8 v177, v149, v127
	v_add_nc_u32_e32 v149, 0x2138, v27
	v_dot4c_i32_i8 v175, v126, v130
	v_dot4c_i32_i8 v176, v148, v136
	ds_read2_b32 v[147:148], v27 offset0:46 offset1:47
	ds_read2_b32 v[163:164], v27 offset0:48 offset1:49
	ds_read_b32 v126, v29
	v_dot4c_i32_i8 v177, v150, v128
	v_dot4c_i32_i8 v175, v143, v131
	v_add_nc_u32_e32 v143, 0x2128, v27
	s_waitcnt lgkmcnt(11)
	v_dot4c_i32_i8 v176, v151, v137
	v_add_nc_u32_e32 v151, 0x4180, v27
	v_add_nc_u32_e32 v173, 0x6220, v27
	v_dot4c_i32_i8 v175, v144, v132
	ds_read2_b32 v[143:144], v143 offset1:1
	v_dot4c_i32_i8 v176, v152, v138
	s_waitcnt lgkmcnt(10)
	v_dot4c_i32_i8 v177, v155, v129
	s_waitcnt lgkmcnt(7)
	v_dot4c_i32_i8 v178, v161, v135
	v_dot4c_i32_i8 v175, v145, v133
	v_add_nc_u32_e32 v145, 0x2130, v27
	v_dot4c_i32_i8 v176, v153, v139
	v_dot4c_i32_i8 v177, v156, v130
	;; [unrolled: 1-line block ×4, first 2 shown]
	ds_read2_b32 v[145:146], v145 offset1:1
	ds_read2_b32 v[149:150], v149 offset1:1
	;; [unrolled: 1-line block ×3, first 2 shown]
	v_dot4c_i32_i8 v176, v154, v140
	v_dot4c_i32_i8 v177, v157, v131
	v_add_nc_u32_e32 v161, 0x41a0, v27
	v_mov_b32_e32 v184, 0
	v_mov_b32_e32 v186, 0
	s_waitcnt lgkmcnt(6)
	v_dot4c_i32_i8 v176, v147, v141
	v_dot4c_i32_i8 v177, v158, v132
	v_cvt_f32_ubyte0_e32 v179, v11
	s_waitcnt lgkmcnt(3)
	v_dot4c_i32_i8 v178, v143, v137
	v_add_nc_u32_e32 v143, 0x4188, v27
	v_dot4c_i32_i8 v176, v148, v142
	v_dot4c_i32_i8 v177, v159, v133
	v_add_nc_u32_e32 v159, 0x4198, v27
	v_dot4c_i32_i8 v178, v144, v138
	ds_read2_b32 v[143:144], v143 offset1:1
	ds_read2_b32 v[147:148], v27 offset0:58 offset1:59
	ds_read2_b32 v[153:154], v27 offset0:60 offset1:61
	ds_read2_b32 v[155:156], v27 offset0:62 offset1:63
	ds_read2_b32 v[157:158], v30 offset0:1 offset1:3
	v_dot4c_i32_i8 v177, v160, v134
	v_cvt_f32_ubyte1_e32 v180, v11
	s_waitcnt lgkmcnt(7)
	v_dot4c_i32_i8 v178, v145, v139
	v_add_nc_u32_e32 v145, 0x4190, v27
	s_waitcnt lgkmcnt(5)
	v_dot4c_i32_i8 v182, v151, v127
	v_cvt_f32_f16_sdwa v181, v126 dst_sel:DWORD dst_unused:UNUSED_PAD src0_sel:WORD_1
	v_cvt_f32_f16_sdwa v187, v123 dst_sel:DWORD dst_unused:UNUSED_PAD src0_sel:WORD_1
	v_dot4c_i32_i8 v178, v146, v140
	ds_read2_b32 v[145:146], v145 offset1:1
	ds_read2_b32 v[159:160], v159 offset1:1
	;; [unrolled: 1-line block ×3, first 2 shown]
	v_dot4c_i32_i8 v182, v152, v128
	v_mov_b32_e32 v188, 0
	v_mov_b32_e32 v191, 0
	v_dot4c_i32_i8 v178, v149, v141
	v_add_nc_u32_e32 v149, 0x41a8, v27
	ds_read2_b32 v[151:152], v149 offset1:1
	ds_read2_b32 v[165:166], v165 offset1:1
	;; [unrolled: 1-line block ×4, first 2 shown]
	s_waitcnt lgkmcnt(11)
	v_dot4c_i32_i8 v182, v143, v129
	v_add_nc_u32_e32 v143, 0x6208, v27
	v_add_nc_u32_e32 v149, 0x6210, v27
	v_dot4c_i32_i8 v178, v150, v142
	s_waitcnt lgkmcnt(7)
	v_cvt_f32_ubyte0_e32 v183, v158
	v_dot4c_i32_i8 v182, v144, v130
	ds_read2_b32 v[143:144], v143 offset1:1
	ds_read2_b32 v[149:150], v149 offset1:1
	ds_read2_b32 v[171:172], v171 offset1:1
	ds_read2_b32 v[173:174], v173 offset1:1
	v_cvt_f32_ubyte1_e32 v185, v158
	v_cvt_f32_ubyte2_e32 v190, v11
	s_waitcnt lgkmcnt(8)
	v_dot4c_i32_i8 v184, v161, v135
	v_dot4c_i32_i8 v182, v145, v131
	v_add_nc_u32_e32 v161, 0x6228, v27
	v_cvt_f32_ubyte3_e32 v11, v11
	v_dot4c_i32_i8 v184, v162, v136
	v_dot4c_i32_i8 v182, v146, v132
	ds_read2_b32 v[145:146], v32 offset0:1 offset1:3
	ds_read2_b32 v[161:162], v161 offset1:1
	s_waitcnt lgkmcnt(6)
	v_dot4c_i32_i8 v186, v169, v127
	v_dot4c_i32_i8 v182, v159, v133
	v_mov_b32_e32 v159, 0
	v_add_nc_u32_e32 v127, 0x6230, v27
	v_dot4c_i32_i8 v184, v151, v137
	v_dot4c_i32_i8 v186, v170, v128
	;; [unrolled: 1-line block ×3, first 2 shown]
	s_waitcnt lgkmcnt(2)
	v_dot4c_i32_i8 v159, v173, v135
	ds_read2_b32 v[127:128], v127 offset1:1
	v_add_nc_u32_e32 v135, 0x2140, v27
	v_dot4c_i32_i8 v186, v143, v129
	v_add_nc_u32_e32 v129, 0x6238, v27
	v_dot4c_i32_i8 v159, v174, v136
	v_dot4c_i32_i8 v184, v152, v138
	v_add_nc_u32_e32 v169, 0x2160, v27
	v_dot4c_i32_i8 v186, v144, v130
	ds_read2_b32 v[143:144], v34 offset0:1 offset1:3
	ds_read2_b32 v[129:130], v129 offset1:1
	ds_read2_b32 v[151:152], v135 offset1:1
	s_waitcnt lgkmcnt(4)
	v_dot4c_i32_i8 v159, v161, v137
	v_and_b32_e32 v135, 0xff, v10
	v_dot4c_i32_i8 v184, v165, v139
	v_dot4c_i32_i8 v186, v149, v131
	v_bfe_u32 v136, v145, 8, 8
	v_dot4c_i32_i8 v159, v162, v138
	v_mul_lo_u32 v135, v175, v135
	v_dot4c_i32_i8 v184, v166, v140
	v_dot4c_i32_i8 v186, v150, v132
	v_bfe_u32 v132, v10, 8, 8
	v_cvt_f32_ubyte0_e32 v131, v146
	s_waitcnt lgkmcnt(3)
	v_dot4c_i32_i8 v159, v127, v139
	v_dot4c_i32_i8 v184, v167, v141
	;; [unrolled: 1-line block ×3, first 2 shown]
	v_mul_lo_u32 v127, v176, v132
	v_cvt_f32_i32_e32 v133, v135
	v_dot4c_i32_i8 v159, v128, v140
	v_fma_mix_f32 v128, v1, v179, 0 op_sel:[1,0,0] op_sel_hi:[1,0,0]
	v_dot4c_i32_i8 v186, v172, v134
	v_bfe_u32 v134, v157, 8, 8
	v_fma_mix_f32 v133, v1, v133, 0 op_sel_hi:[1,0,0]
	s_waitcnt lgkmcnt(1)
	v_dot4c_i32_i8 v159, v129, v141
	v_cvt_f32_i32_e32 v127, v127
	v_and_b32_e32 v129, 0xff, v157
	v_fma_mix_f32 v128, v2, v180, v128 op_sel:[1,0,0] op_sel_hi:[1,0,0]
	v_dot4c_i32_i8 v184, v168, v142
	v_mul_lo_u32 v134, v178, v134
	v_fma_mix_f32 v127, v2, v127, v133 op_sel_hi:[1,0,0]
	v_and_b32_e32 v133, 0xff, v145
	v_mul_lo_u32 v129, v177, v129
	v_mul_f32_e32 v128, v128, v181
	v_dot4c_i32_i8 v159, v130, v142
	v_fma_mix_f32 v130, v1, v183, 0 op_sel:[1,0,0] op_sel_hi:[1,0,0]
	v_mul_lo_u32 v133, v182, v133
	v_cvt_f32_i32_e32 v134, v134
	v_fma_mix_f32 v127, v127, v126, -v128 op_sel_hi:[0,1,0]
	v_mul_lo_u32 v128, v184, v136
	v_cvt_f32_i32_e32 v129, v129
	v_fma_mix_f32 v130, v2, v185, v130 op_sel:[1,0,0] op_sel_hi:[1,0,0]
	v_cvt_f32_ubyte1_e32 v132, v146
	v_fma_mix_f32 v131, v1, v131, 0 op_sel:[1,0,0] op_sel_hi:[1,0,0]
	v_cvt_f32_i32_e32 v133, v133
	v_fma_mix_f32 v129, v1, v129, 0 op_sel_hi:[1,0,0]
	v_mul_f32_e32 v130, v130, v187
	v_cvt_f32_i32_e32 v128, v128
	v_fma_mix_f32 v131, v2, v132, v131 op_sel:[1,0,0] op_sel_hi:[1,0,0]
	v_fma_mix_f32 v133, v1, v133, 0 op_sel_hi:[1,0,0]
	v_fma_mix_f32 v129, v2, v134, v129 op_sel_hi:[1,0,0]
	v_and_b32_e32 v132, 0xff, v143
	v_cvt_f32_f16_sdwa v175, v124 dst_sel:DWORD dst_unused:UNUSED_PAD src0_sel:WORD_1
	v_add_f32_e32 v105, v105, v127
	v_fma_mix_f32 v133, v2, v128, v133 op_sel_hi:[1,0,0]
	v_fma_mix_f32 v136, v129, v123, -v130 op_sel_hi:[0,1,0]
	ds_read_b128 v[127:130], v21 offset:64
	v_bfe_u32 v134, v143, 8, 8
	v_mul_lo_u32 v132, v186, v132
	v_mul_f32_e32 v131, v131, v175
	v_add_f32_e32 v178, v122, v136
	v_mov_b32_e32 v183, 0
	v_mul_lo_u32 v134, v159, v134
	v_cvt_f32_ubyte0_e32 v135, v144
	v_fma_mix_f32 v131, v133, v124, -v131 op_sel_hi:[0,1,0]
	v_add_nc_u32_e32 v142, 0x2148, v27
	v_cvt_f32_i32_e32 v122, v132
	v_add_nc_u32_e32 v165, 0x2150, v27
	v_add_nc_u32_e32 v167, 0x2158, v27
	v_add_f32_e32 v180, v121, v131
	v_cvt_f32_i32_e32 v139, v134
	v_fma_mix_f32 v140, v1, v122, 0 op_sel_hi:[1,0,0]
	ds_read_b128 v[131:134], v21 offset:96
	ds_read2_b32 v[121:122], v27 offset0:50 offset1:51
	ds_read2_b32 v[149:150], v27 offset0:52 offset1:53
	;; [unrolled: 1-line block ×4, first 2 shown]
	v_fma_mix_f32 v1, v1, v135, 0 op_sel:[1,0,0] op_sel_hi:[1,0,0]
	v_cvt_f32_ubyte1_e32 v141, v144
	s_waitcnt lgkmcnt(5)
	v_dot4c_i32_i8 v183, v163, v127
	ds_read_b128 v[135:138], v21 offset:80
	v_mov_b32_e32 v184, 0
	v_fma_mix_f32 v171, v2, v139, v140 op_sel_hi:[1,0,0]
	v_fma_mix_f32 v172, v2, v141, v1 op_sel:[1,0,0] op_sel_hi:[1,0,0]
	v_dot4c_i32_i8 v183, v164, v128
	ds_read2_b32 v[163:164], v142 offset1:1
	ds_read2_b32 v[165:166], v165 offset1:1
	;; [unrolled: 1-line block ×4, first 2 shown]
	v_add_nc_u32_e32 v1, 0x2168, v27
	ds_read_b128 v[139:142], v21 offset:112
	v_mov_b32_e32 v185, 0
	v_cvt_f32_f16_sdwa v186, v125 dst_sel:DWORD dst_unused:UNUSED_PAD src0_sel:WORD_1
	v_add_nc_u32_e32 v173, 0x6260, v27
	ds_read2_b32 v[1:2], v1 offset1:1
	v_lshrrev_b32_e32 v176, 24, v10
	s_waitcnt lgkmcnt(10)
	v_dot4c_i32_i8 v183, v121, v129
	v_add_nc_u32_e32 v121, 0x2170, v27
	v_dot4c_i32_i8 v185, v151, v127
	s_waitcnt lgkmcnt(7)
	v_dot4c_i32_i8 v184, v161, v131
	v_add_nc_u32_e32 v151, 0x41d8, v27
	v_dot4c_i32_i8 v183, v122, v130
	ds_read2_b32 v[121:122], v121 offset1:1
	v_dot4c_i32_i8 v185, v152, v128
	v_dot4c_i32_i8 v184, v162, v132
	v_add_nc_u32_e32 v161, 0x41f8, v27
	s_waitcnt lgkmcnt(7)
	v_dot4c_i32_i8 v183, v149, v135
	v_add_nc_u32_e32 v149, 0x41c0, v27
	s_waitcnt lgkmcnt(3)
	v_dot4c_i32_i8 v188, v169, v131
	v_dot4c_i32_i8 v184, v147, v133
	;; [unrolled: 1-line block ×3, first 2 shown]
	v_add_nc_u32_e32 v147, 0x2178, v27
	v_dot4c_i32_i8 v183, v150, v136
	v_dot4c_i32_i8 v188, v170, v132
	;; [unrolled: 1-line block ×4, first 2 shown]
	ds_read2_b32 v[147:148], v147 offset1:1
	ds_read2_b32 v[149:150], v149 offset1:1
	v_dot4c_i32_i8 v183, v159, v137
	s_waitcnt lgkmcnt(3)
	v_dot4c_i32_i8 v188, v1, v133
	v_dot4c_i32_i8 v184, v153, v139
	v_mul_f32_e32 v1, v172, v186
	v_dot4c_i32_i8 v185, v165, v135
	v_add_nc_u32_e32 v153, 0x41e0, v27
	v_dot4c_i32_i8 v188, v2, v134
	v_dot4c_i32_i8 v184, v154, v140
	v_fma_mix_f32 v189, v171, v125, -v1 op_sel_hi:[0,1,0]
	v_add_nc_u32_e32 v1, 0x41c8, v27
	v_dot4c_i32_i8 v185, v166, v136
	s_waitcnt lgkmcnt(2)
	v_dot4c_i32_i8 v188, v121, v139
	v_dot4c_i32_i8 v184, v155, v141
	v_add_nc_u32_e32 v121, 0x41d0, v27
	v_add_nc_u32_e32 v155, 0x41e8, v27
	;; [unrolled: 1-line block ×4, first 2 shown]
	v_dot4c_i32_i8 v183, v160, v138
	v_dot4c_i32_i8 v184, v156, v142
	;; [unrolled: 1-line block ×3, first 2 shown]
	ds_read2_b32 v[1:2], v1 offset1:1
	ds_read2_b32 v[121:122], v121 offset1:1
	;; [unrolled: 1-line block ×8, first 2 shown]
	v_add_nc_u32_e32 v165, 0x6248, v27
	v_dot4c_i32_i8 v185, v167, v137
	v_add_nc_u32_e32 v167, 0x6250, v27
	v_add_nc_u32_e32 v171, 0x6258, v27
	ds_read2_b32 v[165:166], v165 offset1:1
	ds_read2_b32 v[169:170], v167 offset1:1
	;; [unrolled: 1-line block ×4, first 2 shown]
	s_waitcnt lgkmcnt(12)
	v_dot4c_i32_i8 v191, v149, v127
	v_dot4c_i32_i8 v188, v147, v141
	v_add_nc_u32_e32 v147, 0x6268, v27
	v_mov_b32_e32 v149, 0
	v_bfe_u32 v10, v10, 16, 8
	v_dot4c_i32_i8 v191, v150, v128
	v_mov_b32_e32 v150, 0
	v_dot4c_i32_i8 v188, v148, v142
	ds_read2_b32 v[147:148], v147 offset1:1
	s_waitcnt lgkmcnt(9)
	v_dot4c_i32_i8 v149, v153, v131
	v_dot4c_i32_i8 v191, v1, v129
	v_add_nc_u32_e32 v1, 0x6270, v27
	s_waitcnt lgkmcnt(5)
	v_dot4c_i32_i8 v150, v163, v127
	v_mov_b32_e32 v127, 0
	v_dot4c_i32_i8 v149, v154, v132
	v_dot4c_i32_i8 v191, v2, v130
	ds_read2_b32 v[1:2], v1 offset1:1
	v_dot4c_i32_i8 v150, v164, v128
	v_dot4c_i32_i8 v185, v168, v138
	s_waitcnt lgkmcnt(2)
	v_dot4c_i32_i8 v127, v173, v131
	v_dot4c_i32_i8 v191, v121, v135
	v_add_nc_u32_e32 v121, 0x6278, v27
	v_dot4c_i32_i8 v150, v165, v129
	v_dot4c_i32_i8 v149, v155, v133
	;; [unrolled: 1-line block ×4, first 2 shown]
	ds_read2_b32 v[121:122], v121 offset1:1
	v_dot4c_i32_i8 v150, v166, v130
	v_dot4c_i32_i8 v149, v156, v134
	s_waitcnt lgkmcnt(2)
	v_dot4c_i32_i8 v127, v147, v133
	v_mul_lo_u32 v129, v184, v176
	v_bfe_u32 v130, v157, 16, 8
	v_dot4c_i32_i8 v150, v169, v135
	v_dot4c_i32_i8 v149, v159, v139
	;; [unrolled: 1-line block ×3, first 2 shown]
	v_lshrrev_b32_e32 v177, 24, v157
	v_dot4c_i32_i8 v191, v151, v137
	v_dot4c_i32_i8 v150, v170, v136
	;; [unrolled: 1-line block ×3, first 2 shown]
	s_waitcnt lgkmcnt(1)
	v_dot4c_i32_i8 v127, v1, v139
	v_mul_lo_u32 v1, v183, v10
	v_dot4c_i32_i8 v191, v152, v138
	v_dot4c_i32_i8 v150, v171, v137
	;; [unrolled: 1-line block ×4, first 2 shown]
	v_mul_lo_u32 v132, v188, v177
	v_lshrrev_b32_e32 v179, 24, v145
	v_dot4c_i32_i8 v150, v172, v138
	v_cvt_f32_i32_e32 v1, v1
	s_waitcnt lgkmcnt(0)
	v_dot4c_i32_i8 v127, v121, v141
	v_cvt_f32_i32_e32 v121, v129
	v_mul_lo_u32 v129, v185, v130
	v_fma_mix_f32 v130, v3, v190, 0 op_sel:[1,0,0] op_sel_hi:[1,0,0]
	v_fma_mix_f32 v1, v3, v1, 0 op_sel_hi:[1,0,0]
	v_dot4c_i32_i8 v127, v122, v142
	v_bfe_u32 v122, v145, 16, 8
	v_lshrrev_b32_e32 v182, 24, v143
	v_fma_mix_f32 v11, v4, v11, v130 op_sel:[1,0,0] op_sel_hi:[1,0,0]
	v_bfe_u32 v130, v143, 16, 8
	v_fma_mix_f32 v1, v4, v121, v1 op_sel_hi:[1,0,0]
	v_cvt_f32_i32_e32 v121, v129
	v_dot4c_i32_i8 v149, v162, v142
	v_mul_lo_u32 v122, v191, v122
	v_mul_lo_u32 v130, v150, v130
	v_cvt_f32_ubyte2_e32 v167, v158
	v_cvt_f32_ubyte2_e32 v10, v146
	;; [unrolled: 1-line block ×3, first 2 shown]
	v_cvt_f32_i32_e32 v132, v132
	v_fma_mix_f32 v121, v3, v121, 0 op_sel_hi:[1,0,0]
	v_mul_lo_u32 v133, v149, v179
	v_mul_lo_u32 v127, v127, v182
	v_cvt_f32_ubyte3_e32 v128, v158
	v_cvt_f32_ubyte3_e32 v2, v146
	v_fma_mix_f32 v129, v3, v167, 0 op_sel:[1,0,0] op_sel_hi:[1,0,0]
	v_fma_mix_f32 v121, v4, v132, v121 op_sel_hi:[1,0,0]
	v_fma_mix_f32 v10, v3, v10, 0 op_sel:[1,0,0] op_sel_hi:[1,0,0]
	v_cvt_f32_i32_e32 v122, v122
	v_cvt_f32_i32_e32 v130, v130
	v_fma_mix_f32 v131, v3, v131, 0 op_sel:[1,0,0] op_sel_hi:[1,0,0]
	v_cvt_f32_ubyte3_e32 v132, v144
	v_fma_mix_f32 v128, v4, v128, v129 op_sel:[1,0,0] op_sel_hi:[1,0,0]
	v_cvt_f32_i32_e32 v129, v133
	v_fma_mix_f32 v122, v3, v122, 0 op_sel_hi:[1,0,0]
	v_fma_mix_f32 v2, v4, v2, v10 op_sel:[1,0,0] op_sel_hi:[1,0,0]
	v_cvt_f32_i32_e32 v10, v127
	v_fma_mix_f32 v3, v3, v130, 0 op_sel_hi:[1,0,0]
	v_fma_mix_f32 v127, v4, v132, v131 op_sel:[1,0,0] op_sel_hi:[1,0,0]
	v_mul_f32_e32 v11, v11, v181
	v_mul_f32_e32 v128, v128, v187
	v_fma_mix_f32 v122, v4, v129, v122 op_sel_hi:[1,0,0]
	v_mul_f32_e32 v2, v2, v175
	v_fma_mix_f32 v3, v4, v10, v3 op_sel_hi:[1,0,0]
	v_mul_f32_e32 v4, v127, v186
	v_add_f32_e32 v7, v7, v189
	v_fma_mix_f32 v1, v1, v126, -v11 op_sel_hi:[0,1,0]
	v_fma_mix_f32 v10, v121, v123, -v128 op_sel_hi:[0,1,0]
	;; [unrolled: 1-line block ×4, first 2 shown]
	v_add_f32_e32 v105, v105, v1
	v_add_f32_e32 v122, v178, v10
	v_add_f32_e32 v121, v180, v2
	v_add_f32_e32 v7, v7, v3
	s_barrier
	buffer_gl0_inv
.LBB233_5:                              ;   in Loop: Header=BB233_6 Depth=1
	v_add_co_u32 v37, s1, 0xb0, v37
	v_add_co_ci_u32_e64 v38, null, 0, v38, s1
	v_add_co_u32 v39, s1, 0xb0, v39
	v_add_co_ci_u32_e64 v40, null, 0, v40, s1
	;; [unrolled: 2-line block ×36, first 2 shown]
	v_add_co_u32 v108, s1, 0xb0, v108
	v_add_nc_u32_e32 v28, 8, v28
	v_add_nc_u32_e32 v20, 8, v20
	;; [unrolled: 1-line block ×3, first 2 shown]
	v_add_co_ci_u32_e64 v109, null, 0, v109, s1
	s_add_i32 s18, s18, -1
	s_addk_i32 s2, 0x100
	s_cmp_eq_u32 s18, 0
	s_cbranch_scc1 .LBB233_17
.LBB233_6:                              ; =>This Inner Loop Header: Depth=1
	v_add_co_u32 v1, s1, v39, s17
	v_add_co_ci_u32_e64 v2, null, s19, v40, s1
	v_add_co_u32 v10, s1, v37, s17
	v_add_co_ci_u32_e64 v11, null, s19, v38, s1
	;; [unrolled: 2-line block ×4, first 2 shown]
	global_load_dword v4, v[1:2], off
	global_load_dword v2, v[10:11], off
	global_load_dword v1, v[123:124], off
	global_load_dword v3, v[125:126], off
	v_add_co_u32 v10, s1, v47, s17
	v_add_co_ci_u32_e64 v11, null, s19, v48, s1
	v_add_co_u32 v123, s1, v45, s17
	v_add_co_ci_u32_e64 v124, null, s19, v46, s1
	v_add_co_u32 v125, s1, v51, s17
	v_add_co_ci_u32_e64 v126, null, s19, v52, s1
	v_add_co_u32 v127, s1, v49, s17
	v_add_co_ci_u32_e64 v128, null, s19, v50, s1
	v_add_co_u32 v129, s1, v55, s17
	v_add_co_ci_u32_e64 v130, null, s19, v56, s1
	global_load_dword v131, v[10:11], off
	global_load_dword v132, v[123:124], off
	global_load_dword v133, v[125:126], off
	global_load_dword v134, v[127:128], off
	global_load_dword v135, v[129:130], off
	v_add_co_u32 v10, s1, v53, s17
	v_add_co_ci_u32_e64 v11, null, s19, v54, s1
	v_add_co_u32 v123, s1, v59, s17
	v_add_co_ci_u32_e64 v124, null, s19, v60, s1
	v_add_co_u32 v125, s1, v57, s17
	v_add_co_ci_u32_e64 v126, null, s19, v58, s1
	v_add_co_u32 v127, s1, v63, s17
	v_add_co_ci_u32_e64 v128, null, s19, v64, s1
	v_add_co_u32 v129, s1, v61, s17
	v_add_co_ci_u32_e64 v130, null, s19, v62, s1
	global_load_dword v136, v[10:11], off
	global_load_dword v137, v[123:124], off
	global_load_dword v138, v[125:126], off
	global_load_dword v139, v[127:128], off
	global_load_dword v140, v[129:130], off
	v_add_co_u32 v10, s1, v67, s17
	v_add_co_ci_u32_e64 v11, null, s19, v68, s1
	v_add_co_u32 v123, s1, v65, s17
	v_add_co_ci_u32_e64 v124, null, s19, v66, s1
	v_add_co_u32 v125, s1, v71, s17
	v_add_co_ci_u32_e64 v126, null, s19, v72, s1
	v_add_co_u32 v127, s1, v69, s17
	v_add_co_ci_u32_e64 v128, null, s19, v70, s1
	v_add_co_u32 v129, s1, v75, s17
	v_add_co_ci_u32_e64 v130, null, s19, v76, s1
	global_load_dword v141, v[10:11], off
	global_load_dword v142, v[123:124], off
	global_load_dword v143, v[125:126], off
	global_load_dword v144, v[127:128], off
	global_load_dword v145, v[129:130], off
	v_add_co_u32 v10, s1, v73, s17
	v_add_co_ci_u32_e64 v11, null, s19, v74, s1
	v_add_co_u32 v123, s1, v79, s17
	v_add_co_ci_u32_e64 v124, null, s19, v80, s1
	v_add_co_u32 v125, s1, v77, s17
	v_add_co_ci_u32_e64 v126, null, s19, v78, s1
	v_add_co_u32 v127, s1, v83, s17
	v_add_co_ci_u32_e64 v128, null, s19, v84, s1
	v_add_co_u32 v129, s1, v81, s17
	v_add_co_ci_u32_e64 v130, null, s19, v82, s1
	global_load_dword v146, v[10:11], off
	global_load_dword v147, v[123:124], off
	global_load_dword v148, v[125:126], off
	;; [unrolled: 1-line block ×3, first 2 shown]
	v_add_co_u32 v10, s1, v87, s17
	v_add_co_ci_u32_e64 v11, null, s19, v88, s1
	v_add_co_u32 v123, s1, v85, s17
	v_add_co_ci_u32_e64 v124, null, s19, v86, s1
	v_add_co_u32 v125, s1, v91, s17
	v_add_co_ci_u32_e64 v126, null, s19, v92, s1
	v_add_co_u32 v127, s1, v89, s17
	v_add_co_ci_u32_e64 v128, null, s19, v90, s1
	global_load_dword v129, v[129:130], off
	global_load_dword v130, v[10:11], off
	;; [unrolled: 1-line block ×5, first 2 shown]
	v_add_co_u32 v10, s1, v95, s17
	v_add_co_ci_u32_e64 v11, null, s19, v96, s1
	v_add_co_u32 v123, s1, v93, s17
	v_add_co_ci_u32_e64 v124, null, s19, v94, s1
	;; [unrolled: 2-line block ×3, first 2 shown]
	global_load_dword v128, v[10:11], off
	global_load_dword v152, v[123:124], off
	v_add_co_u32 v10, s1, v97, s17
	v_add_co_ci_u32_e64 v11, null, s19, v98, s1
	v_add_co_u32 v123, s1, v103, s17
	v_add_co_ci_u32_e64 v124, null, s19, v104, s1
	global_load_dword v153, v[125:126], off
	global_load_dword v154, v[10:11], off
	;; [unrolled: 1-line block ×3, first 2 shown]
	v_add_co_u32 v10, s1, v101, s17
	v_add_co_ci_u32_e64 v11, null, s19, v102, s1
	v_add_co_u32 v123, s1, v108, s17
	v_add_co_ci_u32_e64 v124, null, s19, v109, s1
	;; [unrolled: 2-line block ×3, first 2 shown]
	global_load_dword v123, v[123:124], off
	global_load_dword v124, v[10:11], off
	;; [unrolled: 1-line block ×3, first 2 shown]
	v_add_co_u32 v10, s1, v8, s17
	v_add_co_ci_u32_e64 v11, null, s19, v9, s1
	v_add_nc_u32_e32 v126, 0x1000, v16
	v_add_nc_u32_e32 v156, 0x1800, v16
	;; [unrolled: 1-line block ×3, first 2 shown]
	global_load_dword v10, v[10:11], off
	v_add_nc_u32_e32 v11, 0x800, v16
	v_add_nc_u32_e32 v158, 0x2800, v16
	s_add_i32 s1, s2, 0xffffff80
	s_cmp_lt_i32 s1, s3
	s_waitcnt vmcnt(36)
	v_and_b32_e32 v159, 0xf0f0f0f, v4
	v_lshrrev_b32_e32 v4, 4, v4
	s_waitcnt vmcnt(35)
	v_ashrrev_i32_e32 v160, v13, v2
	v_ashrrev_i32_e32 v2, v14, v2
	s_waitcnt vmcnt(34)
	v_and_b32_e32 v161, 0xf0f0f0f, v1
	v_lshrrev_b32_e32 v1, 4, v1
	s_waitcnt vmcnt(33)
	v_ashrrev_i32_e32 v162, v13, v3
	v_ashrrev_i32_e32 v3, v14, v3
	v_lshlrev_b32_e32 v160, 4, v160
	v_and_b32_e32 v4, 0xf0f0f0f, v4
	v_lshlrev_b32_e32 v2, 4, v2
	v_lshlrev_b32_e32 v162, 4, v162
	v_and_b32_e32 v1, 0xf0f0f0f, v1
	v_lshlrev_b32_e32 v3, 4, v3
	v_and_or_b32 v159, 0x10101010, v160, v159
	v_and_or_b32 v2, 0x10101010, v2, v4
	;; [unrolled: 1-line block ×4, first 2 shown]
	s_waitcnt vmcnt(32)
	v_and_b32_e32 v163, 0xf0f0f0f, v131
	v_lshrrev_b32_e32 v131, 4, v131
	s_waitcnt vmcnt(31)
	v_ashrrev_i32_e32 v164, v13, v132
	v_ashrrev_i32_e32 v132, v14, v132
	s_waitcnt vmcnt(30)
	v_and_b32_e32 v165, 0xf0f0f0f, v133
	v_lshrrev_b32_e32 v133, 4, v133
	s_waitcnt vmcnt(29)
	v_ashrrev_i32_e32 v166, v13, v134
	v_ashrrev_i32_e32 v134, v14, v134
	s_waitcnt vmcnt(28)
	v_and_b32_e32 v167, 0xf0f0f0f, v135
	v_lshrrev_b32_e32 v135, 4, v135
	v_lshlrev_b32_e32 v164, 4, v164
	v_and_b32_e32 v131, 0xf0f0f0f, v131
	v_lshlrev_b32_e32 v132, 4, v132
	v_lshlrev_b32_e32 v166, 4, v166
	v_and_b32_e32 v133, 0xf0f0f0f, v133
	v_lshlrev_b32_e32 v134, 4, v134
	v_and_b32_e32 v135, 0xf0f0f0f, v135
	v_and_or_b32 v3, 0x10101010, v164, v163
	v_and_or_b32 v131, 0x10101010, v132, v131
	;; [unrolled: 1-line block ×4, first 2 shown]
	s_waitcnt vmcnt(27)
	v_ashrrev_i32_e32 v168, v13, v136
	v_ashrrev_i32_e32 v136, v14, v136
	s_waitcnt vmcnt(26)
	v_and_b32_e32 v169, 0xf0f0f0f, v137
	v_lshrrev_b32_e32 v137, 4, v137
	s_waitcnt vmcnt(25)
	v_ashrrev_i32_e32 v170, v13, v138
	v_ashrrev_i32_e32 v138, v14, v138
	s_waitcnt vmcnt(24)
	v_and_b32_e32 v171, 0xf0f0f0f, v139
	v_lshrrev_b32_e32 v139, 4, v139
	s_waitcnt vmcnt(23)
	v_ashrrev_i32_e32 v172, v13, v140
	v_ashrrev_i32_e32 v140, v14, v140
	v_lshlrev_b32_e32 v168, 4, v168
	v_lshlrev_b32_e32 v136, 4, v136
	v_and_b32_e32 v137, 0xf0f0f0f, v137
	v_lshlrev_b32_e32 v170, 4, v170
	v_lshlrev_b32_e32 v138, 4, v138
	v_and_b32_e32 v139, 0xf0f0f0f, v139
	v_lshlrev_b32_e32 v172, 4, v172
	v_lshlrev_b32_e32 v140, 4, v140
	v_and_or_b32 v134, 0x10101010, v168, v167
	v_and_or_b32 v135, 0x10101010, v136, v135
	;; [unrolled: 1-line block ×3, first 2 shown]
	s_waitcnt vmcnt(22)
	v_and_b32_e32 v173, 0xf0f0f0f, v141
	v_lshrrev_b32_e32 v141, 4, v141
	s_waitcnt vmcnt(21)
	v_ashrrev_i32_e32 v174, v13, v142
	v_ashrrev_i32_e32 v142, v14, v142
	s_waitcnt vmcnt(20)
	v_and_b32_e32 v175, 0xf0f0f0f, v143
	v_lshrrev_b32_e32 v143, 4, v143
	s_waitcnt vmcnt(19)
	v_ashrrev_i32_e32 v176, v13, v144
	v_ashrrev_i32_e32 v144, v14, v144
	s_waitcnt vmcnt(18)
	v_and_b32_e32 v177, 0xf0f0f0f, v145
	v_lshrrev_b32_e32 v145, 4, v145
	v_and_b32_e32 v141, 0xf0f0f0f, v141
	v_lshlrev_b32_e32 v174, 4, v174
	v_lshlrev_b32_e32 v142, 4, v142
	v_and_b32_e32 v143, 0xf0f0f0f, v143
	v_lshlrev_b32_e32 v176, 4, v176
	v_lshlrev_b32_e32 v144, 4, v144
	v_and_b32_e32 v145, 0xf0f0f0f, v145
	v_and_or_b32 v137, 0x10101010, v138, v137
	v_and_or_b32 v138, 0x10101010, v172, v171
	;; [unrolled: 1-line block ×5, first 2 shown]
	s_waitcnt vmcnt(17)
	v_ashrrev_i32_e32 v178, v13, v146
	v_ashrrev_i32_e32 v146, v14, v146
	s_waitcnt vmcnt(16)
	v_and_b32_e32 v179, 0xf0f0f0f, v147
	v_lshrrev_b32_e32 v147, 4, v147
	s_waitcnt vmcnt(15)
	v_ashrrev_i32_e32 v180, v13, v148
	v_ashrrev_i32_e32 v148, v14, v148
	s_waitcnt vmcnt(14)
	v_and_b32_e32 v181, 0xf0f0f0f, v149
	v_lshrrev_b32_e32 v149, 4, v149
	v_lshlrev_b32_e32 v178, 4, v178
	v_lshlrev_b32_e32 v146, 4, v146
	v_and_b32_e32 v147, 0xf0f0f0f, v147
	v_lshlrev_b32_e32 v180, 4, v180
	v_lshlrev_b32_e32 v148, 4, v148
	v_and_b32_e32 v149, 0xf0f0f0f, v149
	v_and_or_b32 v142, 0x10101010, v176, v175
	v_and_or_b32 v143, 0x10101010, v144, v143
	s_waitcnt vmcnt(13)
	v_ashrrev_i32_e32 v182, v13, v129
	v_ashrrev_i32_e32 v129, v14, v129
	s_waitcnt vmcnt(12)
	v_and_b32_e32 v183, 0xf0f0f0f, v130
	v_lshrrev_b32_e32 v130, 4, v130
	s_waitcnt vmcnt(11)
	v_ashrrev_i32_e32 v184, v13, v150
	v_ashrrev_i32_e32 v150, v14, v150
	s_waitcnt vmcnt(10)
	v_and_b32_e32 v185, 0xf0f0f0f, v151
	v_lshrrev_b32_e32 v151, 4, v151
	s_waitcnt vmcnt(9)
	v_ashrrev_i32_e32 v186, v13, v127
	v_ashrrev_i32_e32 v127, v14, v127
	v_lshlrev_b32_e32 v182, 4, v182
	v_lshlrev_b32_e32 v129, 4, v129
	v_and_b32_e32 v130, 0xf0f0f0f, v130
	v_lshlrev_b32_e32 v184, 4, v184
	v_lshlrev_b32_e32 v150, 4, v150
	v_and_b32_e32 v151, 0xf0f0f0f, v151
	s_waitcnt vmcnt(8)
	v_and_b32_e32 v187, 0xf0f0f0f, v128
	v_lshrrev_b32_e32 v128, 4, v128
	s_waitcnt vmcnt(7)
	v_ashrrev_i32_e32 v188, v13, v152
	v_ashrrev_i32_e32 v152, v14, v152
	v_lshlrev_b32_e32 v186, 4, v186
	v_lshlrev_b32_e32 v127, 4, v127
	v_and_b32_e32 v128, 0xf0f0f0f, v128
	v_lshlrev_b32_e32 v188, 4, v188
	v_lshlrev_b32_e32 v152, 4, v152
	s_waitcnt vmcnt(6)
	v_and_b32_e32 v189, 0xf0f0f0f, v153
	v_lshrrev_b32_e32 v153, 4, v153
	s_waitcnt vmcnt(5)
	v_ashrrev_i32_e32 v190, v13, v154
	v_ashrrev_i32_e32 v154, v14, v154
	s_waitcnt vmcnt(4)
	v_ashrrev_i32_e32 v155, v15, v155
	v_and_or_b32 v144, 0x10101010, v178, v177
	v_and_or_b32 v145, 0x10101010, v146, v145
	;; [unrolled: 1-line block ×8, first 2 shown]
	ds_write2_b32 v16, v159, v2 offset1:8
	ds_write2_b32 v11, v4, v1 offset0:8 offset1:16
	ds_write2_b32 v126, v3, v131 offset0:16 offset1:24
	;; [unrolled: 1-line block ×12, first 2 shown]
	s_waitcnt vmcnt(3)
	v_ashrrev_i32_e32 v1, v15, v123
	v_and_b32_e32 v153, 0xf0f0f0f, v153
	v_lshlrev_b32_e32 v190, 4, v190
	v_lshlrev_b32_e32 v154, 4, v154
	v_and_or_b32 v150, 0x10101010, v186, v185
	v_and_or_b32 v127, 0x10101010, v127, v151
	v_and_b32_e32 v4, 0xf0f0f0f, v155
	s_waitcnt vmcnt(2)
	v_ashrrev_i32_e32 v11, v18, v124
	v_and_or_b32 v151, 0x10101010, v188, v187
	v_and_or_b32 v128, 0x10101010, v152, v128
	v_and_b32_e32 v1, 0xf0f0f0f, v1
	s_waitcnt vmcnt(1)
	v_ashrrev_i32_e32 v123, v18, v125
	v_and_or_b32 v2, 0x10101010, v190, v189
	v_and_or_b32 v3, 0x10101010, v154, v153
	ds_write2_b32 v117, v150, v127 offset0:104 offset1:112
	ds_write2_b32 v118, v151, v128 offset0:112 offset1:120
	;; [unrolled: 1-line block ×3, first 2 shown]
	v_and_or_b32 v2, 0x30303030, v11, v4
	v_and_or_b32 v1, 0x30303030, v123, v1
	s_waitcnt vmcnt(0)
	ds_write_b32 v17, v10
	ds_write_b32 v19, v2
	;; [unrolled: 1-line block ×3, first 2 shown]
	s_cbranch_scc0 .LBB233_5
; %bb.7:                                ;   in Loop: Header=BB233_6 Depth=1
	v_cmp_gt_i32_e64 s1, s9, v20
	s_and_b32 s4, s0, s1
	s_and_saveexec_b32 s1, s4
	s_cbranch_execz .LBB233_9
; %bb.8:                                ;   in Loop: Header=BB233_6 Depth=1
	v_add_nc_u32_e32 v1, v36, v20
	v_mad_i64_i32 v[1:2], null, v1, 36, v[5:6]
	global_load_dword v1, v[1:2], off offset:4
	s_waitcnt vmcnt(0)
	ds_write_b32 v24, v1
.LBB233_9:                              ;   in Loop: Header=BB233_6 Depth=1
	s_or_b32 exec_lo, exec_lo, s1
	v_cmp_gt_i32_e64 s1, s9, v120
	s_and_b32 s4, s20, s1
	s_and_saveexec_b32 s1, s4
	s_cbranch_execz .LBB233_11
; %bb.10:                               ;   in Loop: Header=BB233_6 Depth=1
	v_add_nc_u32_e32 v1, v36, v120
	v_mad_i64_i32 v[1:2], null, v1, 36, s[6:7]
	global_load_dword v1, v[1:2], off
	v_add_nc_u32_e32 v2, v23, v25
	s_waitcnt vmcnt(0)
	ds_write_b32 v2, v1
.LBB233_11:                             ;   in Loop: Header=BB233_6 Depth=1
	s_or_b32 exec_lo, exec_lo, s1
	s_waitcnt lgkmcnt(0)
	s_barrier
	buffer_gl0_inv
	ds_read2_b32 v[123:124], v27 offset1:1
	ds_read_b128 v[127:130], v21
	ds_read_b128 v[131:134], v21 offset:16
	ds_read_b128 v[135:138], v21 offset:32
	ds_read_b128 v[139:142], v21 offset:48
	ds_read2_b32 v[125:126], v27 offset0:2 offset1:3
	ds_read2_b32 v[143:144], v27 offset0:4 offset1:5
	;; [unrolled: 1-line block ×4, first 2 shown]
	v_add_nc_u32_e32 v151, 0x2080, v27
	v_mov_b32_e32 v175, 0
	ds_read2_b32 v[10:11], v26 offset1:2
	ds_read_b128 v[1:4], v25 offset:36944
	ds_read2_b32 v[149:150], v27 offset0:10 offset1:11
	v_mov_b32_e32 v176, 0
	ds_read2_b32 v[151:152], v151 offset1:1
	v_add_nc_u32_e32 v161, 0x2090, v27
	v_add_nc_u32_e32 v162, 0x20a0, v27
	v_mov_b32_e32 v177, 0
	v_add_nc_u32_e32 v163, 0x2098, v27
	v_mov_b32_e32 v178, 0
	v_mov_b32_e32 v182, 0
	s_waitcnt lgkmcnt(11)
	v_dot4c_i32_i8 v175, v123, v127
	v_add_nc_u32_e32 v123, 0x2088, v27
	ds_read2_b32 v[153:154], v27 offset0:12 offset1:13
	ds_read2_b32 v[155:156], v27 offset0:14 offset1:15
	ds_read2_b32 v[157:158], v27 offset0:16 offset1:17
	ds_read2_b32 v[159:160], v123 offset1:1
	v_add_nc_u32_e32 v165, 0x4130, v27
	v_dot4c_i32_i8 v175, v124, v128
	v_add_nc_u32_e32 v167, 0x4138, v27
	s_waitcnt lgkmcnt(8)
	v_dot4c_i32_i8 v176, v147, v135
	v_add_nc_u32_e32 v169, 0x6180, v27
	v_add_nc_u32_e32 v171, 0x6198, v27
	v_dot4c_i32_i8 v175, v125, v129
	ds_read_b32 v123, v31 offset:128
	ds_read_b32 v124, v33 offset:256
	;; [unrolled: 1-line block ×3, first 2 shown]
	v_dot4c_i32_i8 v176, v148, v136
	ds_read2_b32 v[147:148], v161 offset1:1
	ds_read2_b32 v[161:162], v162 offset1:1
	s_waitcnt lgkmcnt(9)
	v_dot4c_i32_i8 v177, v151, v127
	v_dot4c_i32_i8 v175, v126, v130
	ds_read_b32 v126, v29
	v_dot4c_i32_i8 v176, v149, v137
	v_add_nc_u32_e32 v151, 0x4100, v27
	v_dot4c_i32_i8 v177, v152, v128
	v_dot4c_i32_i8 v175, v143, v131
	v_add_nc_u32_e32 v143, 0x20a8, v27
	v_dot4c_i32_i8 v176, v150, v138
	ds_read2_b32 v[149:150], v163 offset1:1
	s_waitcnt lgkmcnt(7)
	v_dot4c_i32_i8 v177, v159, v129
	v_dot4c_i32_i8 v175, v144, v132
	ds_read2_b32 v[143:144], v143 offset1:1
	v_dot4c_i32_i8 v176, v153, v139
	v_add_nc_u32_e32 v173, 0x61a0, v27
	v_dot4c_i32_i8 v177, v160, v130
	v_dot4c_i32_i8 v175, v145, v133
	v_add_nc_u32_e32 v145, 0x20b0, v27
	v_dot4c_i32_i8 v176, v154, v140
	s_waitcnt lgkmcnt(3)
	v_dot4c_i32_i8 v178, v161, v135
	v_dot4c_i32_i8 v177, v147, v131
	;; [unrolled: 1-line block ×3, first 2 shown]
	ds_read2_b32 v[145:146], v145 offset1:1
	v_add_nc_u32_e32 v147, 0x20b8, v27
	v_dot4c_i32_i8 v178, v162, v136
	v_dot4c_i32_i8 v177, v148, v132
	ds_read2_b32 v[147:148], v147 offset1:1
	ds_read2_b32 v[151:152], v151 offset1:1
	v_dot4c_i32_i8 v176, v155, v141
	s_waitcnt lgkmcnt(4)
	v_dot4c_i32_i8 v177, v149, v133
	v_add_nc_u32_e32 v161, 0x4118, v27
	s_waitcnt lgkmcnt(3)
	v_dot4c_i32_i8 v178, v143, v137
	v_add_nc_u32_e32 v143, 0x4108, v27
	v_dot4c_i32_i8 v176, v156, v142
	v_add_nc_u32_e32 v163, 0x4120, v27
	v_dot4c_i32_i8 v177, v150, v134
	v_dot4c_i32_i8 v178, v144, v138
	ds_read2_b32 v[143:144], v143 offset1:1
	ds_read2_b32 v[153:154], v27 offset0:26 offset1:27
	ds_read2_b32 v[155:156], v27 offset0:28 offset1:29
	;; [unrolled: 1-line block ×3, first 2 shown]
	ds_read2_b32 v[149:150], v30 offset1:2
	v_mov_b32_e32 v184, 0
	v_mov_b32_e32 v186, 0
	s_waitcnt lgkmcnt(7)
	v_dot4c_i32_i8 v178, v145, v139
	v_add_nc_u32_e32 v145, 0x4110, v27
	v_cvt_f32_ubyte0_e32 v179, v11
	v_cvt_f32_ubyte1_e32 v180, v11
	v_cvt_f32_f16_sdwa v181, v126 dst_sel:DWORD dst_unused:UNUSED_PAD src0_sel:WORD_1
	v_dot4c_i32_i8 v178, v146, v140
	s_waitcnt lgkmcnt(5)
	v_dot4c_i32_i8 v182, v151, v127
	ds_read2_b32 v[145:146], v145 offset1:1
	ds_read2_b32 v[161:162], v161 offset1:1
	;; [unrolled: 1-line block ×3, first 2 shown]
	v_cvt_f32_f16_sdwa v187, v123 dst_sel:DWORD dst_unused:UNUSED_PAD src0_sel:WORD_1
	v_mov_b32_e32 v188, 0
	v_dot4c_i32_i8 v178, v147, v141
	v_add_nc_u32_e32 v147, 0x4128, v27
	v_dot4c_i32_i8 v182, v152, v128
	ds_read2_b32 v[151:152], v147 offset1:1
	ds_read2_b32 v[165:166], v165 offset1:1
	;; [unrolled: 1-line block ×4, first 2 shown]
	s_waitcnt lgkmcnt(11)
	v_dot4c_i32_i8 v182, v143, v129
	v_add_nc_u32_e32 v143, 0x6188, v27
	v_add_nc_u32_e32 v147, 0x6190, v27
	v_dot4c_i32_i8 v178, v148, v142
	s_waitcnt lgkmcnt(7)
	v_cvt_f32_ubyte0_e32 v183, v150
	v_dot4c_i32_i8 v182, v144, v130
	ds_read2_b32 v[143:144], v143 offset1:1
	ds_read2_b32 v[147:148], v147 offset1:1
	;; [unrolled: 1-line block ×4, first 2 shown]
	v_cvt_f32_ubyte1_e32 v185, v150
	v_mov_b32_e32 v191, 0
	v_cvt_f32_ubyte2_e32 v190, v11
	s_waitcnt lgkmcnt(8)
	v_dot4c_i32_i8 v184, v163, v135
	v_dot4c_i32_i8 v182, v145, v131
	v_add_nc_u32_e32 v163, 0x61a8, v27
	v_cvt_f32_ubyte3_e32 v11, v11
	s_cmp_ge_i32 s2, s3
	v_dot4c_i32_i8 v184, v164, v136
	v_dot4c_i32_i8 v182, v146, v132
	ds_read2_b32 v[145:146], v32 offset1:2
	ds_read2_b32 v[163:164], v163 offset1:1
	s_waitcnt lgkmcnt(6)
	v_dot4c_i32_i8 v186, v169, v127
	v_add_nc_u32_e32 v127, 0x61b0, v27
	v_dot4c_i32_i8 v182, v161, v133
	v_mov_b32_e32 v161, 0
	v_dot4c_i32_i8 v184, v151, v137
	v_dot4c_i32_i8 v186, v170, v128
	ds_read2_b32 v[127:128], v127 offset1:1
	v_dot4c_i32_i8 v182, v162, v134
	s_waitcnt lgkmcnt(3)
	v_dot4c_i32_i8 v161, v173, v135
	v_add_nc_u32_e32 v135, 0x20c0, v27
	v_dot4c_i32_i8 v186, v143, v129
	v_add_nc_u32_e32 v129, 0x61b8, v27
	v_dot4c_i32_i8 v184, v152, v138
	v_dot4c_i32_i8 v161, v174, v136
	v_add_nc_u32_e32 v169, 0x20e0, v27
	v_dot4c_i32_i8 v186, v144, v130
	ds_read2_b32 v[143:144], v34 offset1:2
	ds_read2_b32 v[129:130], v129 offset1:1
	;; [unrolled: 1-line block ×3, first 2 shown]
	v_and_b32_e32 v135, 0xff, v10
	s_waitcnt lgkmcnt(4)
	v_dot4c_i32_i8 v161, v163, v137
	v_dot4c_i32_i8 v184, v165, v139
	;; [unrolled: 1-line block ×3, first 2 shown]
	v_bfe_u32 v136, v145, 8, 8
	v_mul_lo_u32 v135, v175, v135
	v_dot4c_i32_i8 v161, v164, v138
	v_dot4c_i32_i8 v184, v166, v140
	;; [unrolled: 1-line block ×3, first 2 shown]
	v_bfe_u32 v132, v10, 8, 8
	v_cvt_f32_ubyte0_e32 v131, v146
	s_waitcnt lgkmcnt(3)
	v_dot4c_i32_i8 v161, v127, v139
	v_dot4c_i32_i8 v184, v167, v141
	v_dot4c_i32_i8 v186, v171, v133
	v_mul_lo_u32 v127, v176, v132
	v_cvt_f32_i32_e32 v133, v135
	v_dot4c_i32_i8 v161, v128, v140
	v_fma_mix_f32 v128, v1, v179, 0 op_sel:[1,0,0] op_sel_hi:[1,0,0]
	v_dot4c_i32_i8 v186, v172, v134
	v_bfe_u32 v134, v149, 8, 8
	v_fma_mix_f32 v133, v1, v133, 0 op_sel_hi:[1,0,0]
	s_waitcnt lgkmcnt(1)
	v_dot4c_i32_i8 v161, v129, v141
	v_cvt_f32_i32_e32 v127, v127
	v_and_b32_e32 v129, 0xff, v149
	v_fma_mix_f32 v128, v2, v180, v128 op_sel:[1,0,0] op_sel_hi:[1,0,0]
	v_dot4c_i32_i8 v184, v168, v142
	v_mul_lo_u32 v134, v178, v134
	v_fma_mix_f32 v127, v2, v127, v133 op_sel_hi:[1,0,0]
	v_and_b32_e32 v133, 0xff, v145
	v_mul_lo_u32 v129, v177, v129
	v_mul_f32_e32 v128, v128, v181
	v_dot4c_i32_i8 v161, v130, v142
	v_fma_mix_f32 v130, v1, v183, 0 op_sel:[1,0,0] op_sel_hi:[1,0,0]
	v_mul_lo_u32 v133, v182, v133
	v_cvt_f32_i32_e32 v134, v134
	v_fma_mix_f32 v127, v127, v126, -v128 op_sel_hi:[0,1,0]
	v_mul_lo_u32 v128, v184, v136
	v_cvt_f32_i32_e32 v129, v129
	v_fma_mix_f32 v130, v2, v185, v130 op_sel:[1,0,0] op_sel_hi:[1,0,0]
	v_cvt_f32_ubyte1_e32 v132, v146
	v_fma_mix_f32 v131, v1, v131, 0 op_sel:[1,0,0] op_sel_hi:[1,0,0]
	v_cvt_f32_i32_e32 v133, v133
	v_fma_mix_f32 v129, v1, v129, 0 op_sel_hi:[1,0,0]
	v_mul_f32_e32 v130, v130, v187
	v_cvt_f32_i32_e32 v128, v128
	v_fma_mix_f32 v131, v2, v132, v131 op_sel:[1,0,0] op_sel_hi:[1,0,0]
	v_fma_mix_f32 v133, v1, v133, 0 op_sel_hi:[1,0,0]
	v_fma_mix_f32 v129, v2, v134, v129 op_sel_hi:[1,0,0]
	v_and_b32_e32 v132, 0xff, v143
	v_cvt_f32_f16_sdwa v175, v124 dst_sel:DWORD dst_unused:UNUSED_PAD src0_sel:WORD_1
	v_add_f32_e32 v105, v105, v127
	v_fma_mix_f32 v133, v2, v128, v133 op_sel_hi:[1,0,0]
	v_fma_mix_f32 v136, v129, v123, -v130 op_sel_hi:[0,1,0]
	ds_read_b128 v[127:130], v21 offset:64
	v_bfe_u32 v134, v143, 8, 8
	v_mul_lo_u32 v132, v186, v132
	v_mul_f32_e32 v131, v131, v175
	v_add_f32_e32 v178, v122, v136
	v_mov_b32_e32 v183, 0
	v_mul_lo_u32 v134, v161, v134
	v_cvt_f32_ubyte0_e32 v135, v144
	v_fma_mix_f32 v131, v133, v124, -v131 op_sel_hi:[0,1,0]
	v_add_nc_u32_e32 v142, 0x20c8, v27
	v_cvt_f32_i32_e32 v122, v132
	v_add_nc_u32_e32 v165, 0x20d0, v27
	v_add_nc_u32_e32 v167, 0x20d8, v27
	v_add_f32_e32 v180, v121, v131
	v_cvt_f32_i32_e32 v139, v134
	v_fma_mix_f32 v140, v1, v122, 0 op_sel_hi:[1,0,0]
	ds_read_b128 v[131:134], v21 offset:96
	ds_read2_b32 v[121:122], v27 offset0:18 offset1:19
	ds_read2_b32 v[147:148], v27 offset0:20 offset1:21
	;; [unrolled: 1-line block ×4, first 2 shown]
	v_fma_mix_f32 v1, v1, v135, 0 op_sel:[1,0,0] op_sel_hi:[1,0,0]
	v_cvt_f32_ubyte1_e32 v141, v144
	s_waitcnt lgkmcnt(5)
	v_dot4c_i32_i8 v183, v157, v127
	ds_read_b128 v[135:138], v21 offset:80
	v_mov_b32_e32 v184, 0
	v_fma_mix_f32 v171, v2, v139, v140 op_sel_hi:[1,0,0]
	v_fma_mix_f32 v172, v2, v141, v1 op_sel:[1,0,0] op_sel_hi:[1,0,0]
	v_dot4c_i32_i8 v183, v158, v128
	ds_read2_b32 v[157:158], v142 offset1:1
	ds_read2_b32 v[165:166], v165 offset1:1
	;; [unrolled: 1-line block ×4, first 2 shown]
	v_add_nc_u32_e32 v1, 0x20e8, v27
	ds_read_b128 v[139:142], v21 offset:112
	v_mov_b32_e32 v185, 0
	v_cvt_f32_f16_sdwa v186, v125 dst_sel:DWORD dst_unused:UNUSED_PAD src0_sel:WORD_1
	v_add_nc_u32_e32 v173, 0x61e0, v27
	ds_read2_b32 v[1:2], v1 offset1:1
	v_lshrrev_b32_e32 v176, 24, v10
	s_waitcnt lgkmcnt(10)
	v_dot4c_i32_i8 v183, v121, v129
	v_add_nc_u32_e32 v121, 0x20f0, v27
	v_dot4c_i32_i8 v185, v151, v127
	s_waitcnt lgkmcnt(7)
	v_dot4c_i32_i8 v184, v163, v131
	v_add_nc_u32_e32 v151, 0x4140, v27
	v_dot4c_i32_i8 v183, v122, v130
	ds_read2_b32 v[121:122], v121 offset1:1
	v_dot4c_i32_i8 v185, v152, v128
	v_dot4c_i32_i8 v184, v164, v132
	v_add_nc_u32_e32 v163, 0x61c0, v27
	s_waitcnt lgkmcnt(7)
	v_dot4c_i32_i8 v183, v147, v135
	v_add_nc_u32_e32 v147, 0x20f8, v27
	s_waitcnt lgkmcnt(3)
	v_dot4c_i32_i8 v188, v169, v131
	v_dot4c_i32_i8 v184, v153, v133
	;; [unrolled: 1-line block ×4, first 2 shown]
	ds_read2_b32 v[147:148], v147 offset1:1
	ds_read2_b32 v[151:152], v151 offset1:1
	v_dot4c_i32_i8 v188, v170, v132
	v_dot4c_i32_i8 v184, v154, v134
	;; [unrolled: 1-line block ×4, first 2 shown]
	v_add_nc_u32_e32 v153, 0x4158, v27
	s_waitcnt lgkmcnt(3)
	v_dot4c_i32_i8 v188, v1, v133
	v_dot4c_i32_i8 v184, v155, v139
	v_mul_f32_e32 v1, v172, v186
	v_dot4c_i32_i8 v185, v165, v135
	v_add_nc_u32_e32 v155, 0x4160, v27
	v_dot4c_i32_i8 v188, v2, v134
	v_dot4c_i32_i8 v184, v156, v140
	v_fma_mix_f32 v189, v171, v125, -v1 op_sel_hi:[0,1,0]
	v_add_nc_u32_e32 v1, 0x4148, v27
	v_dot4c_i32_i8 v185, v166, v136
	s_waitcnt lgkmcnt(2)
	v_dot4c_i32_i8 v188, v121, v139
	v_dot4c_i32_i8 v184, v159, v141
	v_add_nc_u32_e32 v121, 0x4150, v27
	v_add_nc_u32_e32 v157, 0x4168, v27
	;; [unrolled: 1-line block ×4, first 2 shown]
	v_dot4c_i32_i8 v183, v162, v138
	v_dot4c_i32_i8 v184, v160, v142
	;; [unrolled: 1-line block ×3, first 2 shown]
	ds_read2_b32 v[1:2], v1 offset1:1
	ds_read2_b32 v[121:122], v121 offset1:1
	ds_read2_b32 v[153:154], v153 offset1:1
	ds_read2_b32 v[155:156], v155 offset1:1
	ds_read2_b32 v[157:158], v157 offset1:1
	ds_read2_b32 v[159:160], v159 offset1:1
	ds_read2_b32 v[161:162], v161 offset1:1
	ds_read2_b32 v[163:164], v163 offset1:1
	v_add_nc_u32_e32 v165, 0x61c8, v27
	v_dot4c_i32_i8 v185, v167, v137
	v_add_nc_u32_e32 v167, 0x61d0, v27
	v_add_nc_u32_e32 v171, 0x61d8, v27
	ds_read2_b32 v[165:166], v165 offset1:1
	ds_read2_b32 v[169:170], v167 offset1:1
	;; [unrolled: 1-line block ×4, first 2 shown]
	s_waitcnt lgkmcnt(12)
	v_dot4c_i32_i8 v191, v151, v127
	v_dot4c_i32_i8 v188, v147, v141
	v_add_nc_u32_e32 v147, 0x61e8, v27
	v_mov_b32_e32 v151, 0
	v_bfe_u32 v10, v10, 16, 8
	v_dot4c_i32_i8 v191, v152, v128
	v_mov_b32_e32 v152, 0
	v_dot4c_i32_i8 v188, v148, v142
	ds_read2_b32 v[147:148], v147 offset1:1
	s_waitcnt lgkmcnt(9)
	v_dot4c_i32_i8 v151, v155, v131
	v_dot4c_i32_i8 v191, v1, v129
	v_add_nc_u32_e32 v1, 0x61f0, v27
	s_waitcnt lgkmcnt(5)
	v_dot4c_i32_i8 v152, v163, v127
	v_mov_b32_e32 v127, 0
	v_dot4c_i32_i8 v151, v156, v132
	v_dot4c_i32_i8 v191, v2, v130
	ds_read2_b32 v[1:2], v1 offset1:1
	v_dot4c_i32_i8 v152, v164, v128
	v_dot4c_i32_i8 v185, v168, v138
	s_waitcnt lgkmcnt(2)
	v_dot4c_i32_i8 v127, v173, v131
	v_dot4c_i32_i8 v191, v121, v135
	v_add_nc_u32_e32 v121, 0x61f8, v27
	v_dot4c_i32_i8 v152, v165, v129
	v_dot4c_i32_i8 v151, v157, v133
	;; [unrolled: 1-line block ×4, first 2 shown]
	ds_read2_b32 v[121:122], v121 offset1:1
	v_dot4c_i32_i8 v152, v166, v130
	v_dot4c_i32_i8 v151, v158, v134
	s_waitcnt lgkmcnt(2)
	v_dot4c_i32_i8 v127, v147, v133
	v_mul_lo_u32 v129, v184, v176
	v_bfe_u32 v130, v149, 16, 8
	v_dot4c_i32_i8 v152, v169, v135
	v_dot4c_i32_i8 v151, v159, v139
	;; [unrolled: 1-line block ×3, first 2 shown]
	v_lshrrev_b32_e32 v177, 24, v149
	v_dot4c_i32_i8 v191, v153, v137
	v_dot4c_i32_i8 v152, v170, v136
	;; [unrolled: 1-line block ×3, first 2 shown]
	s_waitcnt lgkmcnt(1)
	v_dot4c_i32_i8 v127, v1, v139
	v_mul_lo_u32 v1, v183, v10
	v_dot4c_i32_i8 v191, v154, v138
	v_dot4c_i32_i8 v152, v171, v137
	;; [unrolled: 1-line block ×4, first 2 shown]
	v_mul_lo_u32 v132, v188, v177
	v_lshrrev_b32_e32 v179, 24, v145
	v_dot4c_i32_i8 v152, v172, v138
	v_cvt_f32_i32_e32 v1, v1
	s_waitcnt lgkmcnt(0)
	v_dot4c_i32_i8 v127, v121, v141
	v_cvt_f32_i32_e32 v121, v129
	v_mul_lo_u32 v129, v185, v130
	v_fma_mix_f32 v130, v3, v190, 0 op_sel:[1,0,0] op_sel_hi:[1,0,0]
	v_fma_mix_f32 v1, v3, v1, 0 op_sel_hi:[1,0,0]
	v_dot4c_i32_i8 v127, v122, v142
	v_bfe_u32 v122, v145, 16, 8
	v_lshrrev_b32_e32 v182, 24, v143
	v_fma_mix_f32 v11, v4, v11, v130 op_sel:[1,0,0] op_sel_hi:[1,0,0]
	v_bfe_u32 v130, v143, 16, 8
	v_fma_mix_f32 v1, v4, v121, v1 op_sel_hi:[1,0,0]
	v_cvt_f32_i32_e32 v121, v129
	v_dot4c_i32_i8 v151, v162, v142
	v_mul_lo_u32 v122, v191, v122
	v_mul_lo_u32 v130, v152, v130
	v_cvt_f32_ubyte2_e32 v167, v150
	v_cvt_f32_ubyte2_e32 v10, v146
	;; [unrolled: 1-line block ×3, first 2 shown]
	v_cvt_f32_i32_e32 v132, v132
	v_fma_mix_f32 v121, v3, v121, 0 op_sel_hi:[1,0,0]
	v_mul_lo_u32 v133, v151, v179
	v_mul_lo_u32 v127, v127, v182
	v_cvt_f32_ubyte3_e32 v128, v150
	v_cvt_f32_ubyte3_e32 v2, v146
	v_fma_mix_f32 v129, v3, v167, 0 op_sel:[1,0,0] op_sel_hi:[1,0,0]
	v_fma_mix_f32 v121, v4, v132, v121 op_sel_hi:[1,0,0]
	v_fma_mix_f32 v10, v3, v10, 0 op_sel:[1,0,0] op_sel_hi:[1,0,0]
	v_cvt_f32_i32_e32 v122, v122
	v_cvt_f32_i32_e32 v130, v130
	v_fma_mix_f32 v131, v3, v131, 0 op_sel:[1,0,0] op_sel_hi:[1,0,0]
	v_cvt_f32_ubyte3_e32 v132, v144
	v_fma_mix_f32 v128, v4, v128, v129 op_sel:[1,0,0] op_sel_hi:[1,0,0]
	v_cvt_f32_i32_e32 v129, v133
	v_fma_mix_f32 v122, v3, v122, 0 op_sel_hi:[1,0,0]
	v_fma_mix_f32 v2, v4, v2, v10 op_sel:[1,0,0] op_sel_hi:[1,0,0]
	v_cvt_f32_i32_e32 v10, v127
	v_fma_mix_f32 v3, v3, v130, 0 op_sel_hi:[1,0,0]
	v_fma_mix_f32 v127, v4, v132, v131 op_sel:[1,0,0] op_sel_hi:[1,0,0]
	v_mul_f32_e32 v11, v11, v181
	v_mul_f32_e32 v128, v128, v187
	v_fma_mix_f32 v122, v4, v129, v122 op_sel_hi:[1,0,0]
	v_mul_f32_e32 v2, v2, v175
	v_fma_mix_f32 v3, v4, v10, v3 op_sel_hi:[1,0,0]
	v_mul_f32_e32 v4, v127, v186
	v_add_f32_e32 v7, v7, v189
	v_fma_mix_f32 v1, v1, v126, -v11 op_sel_hi:[0,1,0]
	v_fma_mix_f32 v10, v121, v123, -v128 op_sel_hi:[0,1,0]
	;; [unrolled: 1-line block ×4, first 2 shown]
	v_add_f32_e32 v105, v105, v1
	v_add_f32_e32 v122, v178, v10
	;; [unrolled: 1-line block ×4, first 2 shown]
	s_barrier
	buffer_gl0_inv
	s_cbranch_scc1 .LBB233_5
; %bb.12:                               ;   in Loop: Header=BB233_6 Depth=1
	v_cmp_gt_i32_e64 s1, s9, v28
	s_and_b32 s4, s0, s1
	s_and_saveexec_b32 s1, s4
	s_cbranch_execz .LBB233_14
; %bb.13:                               ;   in Loop: Header=BB233_6 Depth=1
	v_add_nc_u32_e32 v1, v36, v28
	v_mad_i64_i32 v[1:2], null, v1, 36, v[5:6]
	global_load_dword v1, v[1:2], off offset:4
	s_waitcnt vmcnt(0)
	ds_write_b32 v24, v1
.LBB233_14:                             ;   in Loop: Header=BB233_6 Depth=1
	s_or_b32 exec_lo, exec_lo, s1
	s_and_saveexec_b32 s4, vcc_lo
	s_cbranch_execz .LBB233_4
; %bb.15:                               ;   in Loop: Header=BB233_6 Depth=1
	v_add_nc_u32_e32 v1, 4, v120
	v_cmp_gt_i32_e64 s1, s9, v1
	s_and_b32 s1, s0, s1
	s_and_b32 exec_lo, exec_lo, s1
	s_cbranch_execz .LBB233_4
; %bb.16:                               ;   in Loop: Header=BB233_6 Depth=1
	v_ashrrev_i32_e32 v1, 31, v120
	v_ashrrev_i32_e32 v2, 31, v36
	v_add_co_u32 v3, s1, v36, v120
	v_add_co_ci_u32_e64 v4, null, v2, v1, s1
	v_mad_u64_u32 v[1:2], null, v3, 36, s[6:7]
	v_mad_i32_i24 v2, v4, 36, v2
	global_load_dword v1, v[1:2], off offset:144
	v_add_nc_u32_e32 v2, v23, v25
	s_waitcnt vmcnt(0)
	ds_write_b32 v2, v1
	s_branch .LBB233_4
.LBB233_17:
	s_mul_i32 s0, s11, s8
	s_waitcnt vmcnt(0)
	v_cmp_gt_i32_e32 vcc_lo, s0, v12
	s_and_saveexec_b32 s0, vcc_lo
	s_cbranch_execz .LBB233_26
; %bb.18:
	v_add_nc_u32_e32 v1, s16, v0
	v_mul_lo_u32 v0, v12, s10
	s_mov_b32 s0, exec_lo
	v_cmpx_gt_u32_e64 s10, v1
	s_cbranch_execz .LBB233_20
; %bb.19:
	v_add_nc_u32_e32 v2, v0, v1
	v_mov_b32_e32 v3, 0
	v_bfe_u32 v4, v105, 16, 1
	v_cmp_o_f32_e32 vcc_lo, v105, v105
	v_mov_b32_e32 v5, 0x7fc0
	v_lshlrev_b64 v[2:3], 1, v[2:3]
	v_add3_u32 v4, v105, v4, 0x7fff
	v_cndmask_b32_sdwa v4, v5, v4, vcc_lo dst_sel:DWORD dst_unused:UNUSED_PAD src0_sel:DWORD src1_sel:WORD_1
	v_add_co_u32 v2, vcc_lo, s12, v2
	v_add_co_ci_u32_e64 v3, null, s13, v3, vcc_lo
	global_store_short v[2:3], v4, off
.LBB233_20:
	s_or_b32 exec_lo, exec_lo, s0
	v_add_nc_u32_e32 v2, 32, v1
	s_mov_b32 s0, exec_lo
	v_cmpx_gt_u32_e64 s10, v2
	s_cbranch_execz .LBB233_22
; %bb.21:
	v_add_nc_u32_e32 v2, v0, v2
	v_mov_b32_e32 v3, 0
	v_bfe_u32 v4, v122, 16, 1
	v_cmp_o_f32_e32 vcc_lo, v122, v122
	v_mov_b32_e32 v5, 0x7fc0
	v_lshlrev_b64 v[2:3], 1, v[2:3]
	v_add3_u32 v4, v122, v4, 0x7fff
	v_cndmask_b32_sdwa v4, v5, v4, vcc_lo dst_sel:DWORD dst_unused:UNUSED_PAD src0_sel:DWORD src1_sel:WORD_1
	v_add_co_u32 v2, vcc_lo, s12, v2
	v_add_co_ci_u32_e64 v3, null, s13, v3, vcc_lo
	global_store_short v[2:3], v4, off
.LBB233_22:
	s_or_b32 exec_lo, exec_lo, s0
	v_add_nc_u32_e32 v2, 64, v1
	;; [unrolled: 18-line block ×3, first 2 shown]
	v_cmp_gt_u32_e32 vcc_lo, s10, v1
	s_and_b32 exec_lo, exec_lo, vcc_lo
	s_cbranch_execz .LBB233_26
; %bb.25:
	v_add_nc_u32_e32 v0, v0, v1
	v_mov_b32_e32 v1, 0
	v_bfe_u32 v2, v7, 16, 1
	v_cmp_o_f32_e32 vcc_lo, v7, v7
	v_mov_b32_e32 v3, 0x7fc0
	v_lshlrev_b64 v[0:1], 1, v[0:1]
	v_add3_u32 v2, v7, v2, 0x7fff
	v_cndmask_b32_sdwa v2, v3, v2, vcc_lo dst_sel:DWORD dst_unused:UNUSED_PAD src0_sel:DWORD src1_sel:WORD_1
	v_add_co_u32 v0, vcc_lo, s12, v0
	v_add_co_ci_u32_e64 v1, null, s13, v1, vcc_lo
	global_store_short v[0:1], v2, off
.LBB233_26:
	s_endpgm
	.section	.rodata,"a",@progbits
	.p2align	6, 0x0
	.amdhsa_kernel _ZL8moe_q5_KIN3c108BFloat16ELb0EEvPKvS3_PT_PKiS7_S7_iiiiiii
		.amdhsa_group_segment_fixed_size 37072
		.amdhsa_private_segment_fixed_size 0
		.amdhsa_kernarg_size 76
		.amdhsa_user_sgpr_count 6
		.amdhsa_user_sgpr_private_segment_buffer 1
		.amdhsa_user_sgpr_dispatch_ptr 0
		.amdhsa_user_sgpr_queue_ptr 0
		.amdhsa_user_sgpr_kernarg_segment_ptr 1
		.amdhsa_user_sgpr_dispatch_id 0
		.amdhsa_user_sgpr_flat_scratch_init 0
		.amdhsa_user_sgpr_private_segment_size 0
		.amdhsa_wavefront_size32 1
		.amdhsa_uses_dynamic_stack 0
		.amdhsa_system_sgpr_private_segment_wavefront_offset 0
		.amdhsa_system_sgpr_workgroup_id_x 1
		.amdhsa_system_sgpr_workgroup_id_y 1
		.amdhsa_system_sgpr_workgroup_id_z 0
		.amdhsa_system_sgpr_workgroup_info 0
		.amdhsa_system_vgpr_workitem_id 1
		.amdhsa_next_free_vgpr 192
		.amdhsa_next_free_sgpr 24
		.amdhsa_reserve_vcc 1
		.amdhsa_reserve_flat_scratch 0
		.amdhsa_float_round_mode_32 0
		.amdhsa_float_round_mode_16_64 0
		.amdhsa_float_denorm_mode_32 3
		.amdhsa_float_denorm_mode_16_64 3
		.amdhsa_dx10_clamp 1
		.amdhsa_ieee_mode 1
		.amdhsa_fp16_overflow 0
		.amdhsa_workgroup_processor_mode 1
		.amdhsa_memory_ordered 1
		.amdhsa_forward_progress 1
		.amdhsa_shared_vgpr_count 0
		.amdhsa_exception_fp_ieee_invalid_op 0
		.amdhsa_exception_fp_denorm_src 0
		.amdhsa_exception_fp_ieee_div_zero 0
		.amdhsa_exception_fp_ieee_overflow 0
		.amdhsa_exception_fp_ieee_underflow 0
		.amdhsa_exception_fp_ieee_inexact 0
		.amdhsa_exception_int_div_zero 0
	.end_amdhsa_kernel
	.section	.text._ZL8moe_q5_KIN3c108BFloat16ELb0EEvPKvS3_PT_PKiS7_S7_iiiiiii,"axG",@progbits,_ZL8moe_q5_KIN3c108BFloat16ELb0EEvPKvS3_PT_PKiS7_S7_iiiiiii,comdat
.Lfunc_end233:
	.size	_ZL8moe_q5_KIN3c108BFloat16ELb0EEvPKvS3_PT_PKiS7_S7_iiiiiii, .Lfunc_end233-_ZL8moe_q5_KIN3c108BFloat16ELb0EEvPKvS3_PT_PKiS7_S7_iiiiiii
                                        ; -- End function
	.set _ZL8moe_q5_KIN3c108BFloat16ELb0EEvPKvS3_PT_PKiS7_S7_iiiiiii.num_vgpr, 192
	.set _ZL8moe_q5_KIN3c108BFloat16ELb0EEvPKvS3_PT_PKiS7_S7_iiiiiii.num_agpr, 0
	.set _ZL8moe_q5_KIN3c108BFloat16ELb0EEvPKvS3_PT_PKiS7_S7_iiiiiii.numbered_sgpr, 24
	.set _ZL8moe_q5_KIN3c108BFloat16ELb0EEvPKvS3_PT_PKiS7_S7_iiiiiii.num_named_barrier, 0
	.set _ZL8moe_q5_KIN3c108BFloat16ELb0EEvPKvS3_PT_PKiS7_S7_iiiiiii.private_seg_size, 0
	.set _ZL8moe_q5_KIN3c108BFloat16ELb0EEvPKvS3_PT_PKiS7_S7_iiiiiii.uses_vcc, 1
	.set _ZL8moe_q5_KIN3c108BFloat16ELb0EEvPKvS3_PT_PKiS7_S7_iiiiiii.uses_flat_scratch, 0
	.set _ZL8moe_q5_KIN3c108BFloat16ELb0EEvPKvS3_PT_PKiS7_S7_iiiiiii.has_dyn_sized_stack, 0
	.set _ZL8moe_q5_KIN3c108BFloat16ELb0EEvPKvS3_PT_PKiS7_S7_iiiiiii.has_recursion, 0
	.set _ZL8moe_q5_KIN3c108BFloat16ELb0EEvPKvS3_PT_PKiS7_S7_iiiiiii.has_indirect_call, 0
	.section	.AMDGPU.csdata,"",@progbits
; Kernel info:
; codeLenInByte = 11984
; TotalNumSgprs: 26
; NumVgprs: 192
; ScratchSize: 0
; MemoryBound: 0
; FloatMode: 240
; IeeeMode: 1
; LDSByteSize: 37072 bytes/workgroup (compile time only)
; SGPRBlocks: 0
; VGPRBlocks: 23
; NumSGPRsForWavesPerEU: 26
; NumVGPRsForWavesPerEU: 192
; Occupancy: 5
; WaveLimiterHint : 1
; COMPUTE_PGM_RSRC2:SCRATCH_EN: 0
; COMPUTE_PGM_RSRC2:USER_SGPR: 6
; COMPUTE_PGM_RSRC2:TRAP_HANDLER: 0
; COMPUTE_PGM_RSRC2:TGID_X_EN: 1
; COMPUTE_PGM_RSRC2:TGID_Y_EN: 1
; COMPUTE_PGM_RSRC2:TGID_Z_EN: 0
; COMPUTE_PGM_RSRC2:TIDIG_COMP_CNT: 1
	.section	.text._ZL8moe_q5_KIN3c108BFloat16ELb1EEvPKvS3_PT_PKiS7_S7_iiiiiii,"axG",@progbits,_ZL8moe_q5_KIN3c108BFloat16ELb1EEvPKvS3_PT_PKiS7_S7_iiiiiii,comdat
	.globl	_ZL8moe_q5_KIN3c108BFloat16ELb1EEvPKvS3_PT_PKiS7_S7_iiiiiii ; -- Begin function _ZL8moe_q5_KIN3c108BFloat16ELb1EEvPKvS3_PT_PKiS7_S7_iiiiiii
	.p2align	8
	.type	_ZL8moe_q5_KIN3c108BFloat16ELb1EEvPKvS3_PT_PKiS7_S7_iiiiiii,@function
_ZL8moe_q5_KIN3c108BFloat16ELb1EEvPKvS3_PT_PKiS7_S7_iiiiiii: ; @_ZL8moe_q5_KIN3c108BFloat16ELb1EEvPKvS3_PT_PKiS7_S7_iiiiiii
; %bb.0:
	s_load_dwordx4 s[0:3], s[4:5], 0x18
	s_mov_b32 s8, s7
	s_mov_b32 s9, 0
	s_lshl_b64 s[10:11], s[8:9], 2
	s_waitcnt lgkmcnt(0)
	s_add_u32 s2, s2, s10
	s_addc_u32 s3, s3, s11
	s_load_dword s2, s[2:3], 0x0
	s_waitcnt lgkmcnt(0)
	s_cmpk_gt_u32 s2, 0xff
	s_cbranch_scc1 .LBB234_26
; %bb.1:
	s_load_dwordx2 s[10:11], s[4:5], 0x28
	s_lshl_b32 s3, s8, 3
	s_waitcnt lgkmcnt(0)
	s_load_dword s7, s[10:11], 0x0
	s_waitcnt lgkmcnt(0)
	s_cmp_gt_u32 s3, s7
	s_cbranch_scc1 .LBB234_26
; %bb.2:
	v_add_nc_u32_e32 v22, s3, v1
	v_mov_b32_e32 v23, 0
	s_lshl_b32 s3, s6, 7
	v_lshlrev_b64 v[2:3], 2, v[22:23]
	v_mov_b32_e32 v127, v23
	v_mov_b32_e32 v128, v23
	;; [unrolled: 1-line block ×3, first 2 shown]
	v_add_co_u32 v2, vcc_lo, s0, v2
	v_add_co_ci_u32_e64 v3, null, s1, v3, vcc_lo
	global_load_dword v28, v[2:3], off
	s_clause 0x1
	s_load_dwordx8 s[8:15], s[4:5], 0x30
	s_load_dwordx2 s[16:17], s[4:5], 0x10
	s_waitcnt lgkmcnt(0)
	s_cmpk_lt_i32 s9, 0x100
	s_cbranch_scc1 .LBB234_17
; %bb.3:
	s_ashr_i32 s0, s9, 31
	s_ashr_i32 s1, s12, 31
	s_lshr_b32 s0, s0, 24
	v_lshlrev_b32_e32 v3, 1, v0
	v_and_b32_e32 v4, 7, v0
	s_add_i32 s0, s9, s0
	s_lshr_b32 s1, s1, 27
	s_ashr_i32 s15, s0, 8
	s_add_i32 s0, s12, s1
	v_and_or_b32 v4, v3, 48, v4
	s_ashr_i32 s12, s0, 5
	s_not_b32 s0, s3
	v_add_nc_u32_e32 v6, 8, v1
	s_add_i32 s0, s10, s0
	v_lshlrev_b32_e32 v4, 2, v4
	v_min_i32_e32 v5, s0, v1
	v_add_nc_u32_e32 v8, 16, v1
	v_lshl_add_u32 v18, v1, 5, v0
	v_min_i32_e32 v7, s0, v6
	v_add_nc_u32_e32 v9, 24, v1
	v_mul_lo_u32 v25, v5, s15
	v_mad_u64_u32 v[5:6], null, 0x104, v5, v[4:5]
	v_add_nc_u32_e32 v10, 32, v1
	v_add_nc_u32_e32 v11, 40, v1
	;; [unrolled: 1-line block ×3, first 2 shown]
	v_min_i32_e32 v8, s0, v8
	v_add_nc_u32_e32 v13, 56, v1
	v_and_b32_e32 v18, 0x7f, v18
	v_min_i32_e32 v9, s0, v9
	v_add_nc_u32_e32 v14, 64, v1
	v_min_i32_e32 v10, s0, v10
	v_add_nc_u32_e32 v15, 0x48, v1
	;; [unrolled: 2-line block ×3, first 2 shown]
	v_mul_lo_u32 v27, v7, s15
	v_mad_u64_u32 v[6:7], null, 0x104, v7, v[4:5]
	v_min_i32_e32 v12, s0, v12
	v_add_nc_u32_e32 v17, 0x58, v1
	v_mul_lo_u32 v55, v8, s15
	v_mad_u64_u32 v[7:8], null, 0x104, v8, v[4:5]
	v_min_i32_e32 v13, s0, v13
	v_add_nc_u32_e32 v20, 0x60, v1
	v_min_i32_e32 v24, s0, v18
	v_mul_lo_u32 v59, v9, s15
	v_mad_u64_u32 v[8:9], null, 0x104, v9, v[4:5]
	v_min_i32_e32 v14, s0, v14
	v_mul_lo_u32 v63, v10, s15
	v_mad_u64_u32 v[9:10], null, 0x104, v10, v[4:5]
	;; [unrolled: 3-line block ×5, first 2 shown]
	v_min_i32_e32 v20, s0, v20
	v_add_nc_u32_e32 v21, 0x68, v1
	v_add_nc_u32_e32 v26, 0x70, v1
	v_ashrrev_i32_e32 v31, 31, v24
	v_mul_lo_u32 v79, v14, s15
	v_mad_u64_u32 v[13:14], null, 0x104, v14, v[4:5]
	v_mul_lo_u32 v83, v15, s15
	v_mad_u64_u32 v[14:15], null, 0x104, v15, v[4:5]
	;; [unrolled: 2-line block ×4, first 2 shown]
	v_lshrrev_b32_e32 v19, 2, v0
	v_mul_lo_u32 v95, v20, s15
	v_min_i32_e32 v21, s0, v21
	v_mad_u64_u32 v[17:18], null, 0x104, v20, v[4:5]
	v_min_i32_e32 v20, s0, v26
	v_add_nc_u32_e32 v26, 0x78, v1
	v_lshrrev_b32_e32 v31, 27, v31
	v_and_b32_e32 v29, 6, v19
	v_mul_lo_u32 v99, v21, s15
	v_lshl_add_u32 v32, v1, 3, v19
	v_mad_u64_u32 v[18:19], null, 0x104, v21, v[4:5]
	v_min_i32_e32 v21, s0, v26
	v_add_nc_u32_e32 v26, v24, v31
	s_abs_i32 s10, s14
	v_and_b32_e32 v31, 0x7f, v32
	v_cvt_f32_u32_e32 v32, s10
	v_mul_lo_u32 v103, v20, s15
	v_ashrrev_i32_e32 v26, 5, v26
	v_mad_u64_u32 v[19:20], null, 0x104, v20, v[4:5]
	v_mul_lo_u32 v108, v21, s15
	v_mad_u64_u32 v[20:21], null, 0x104, v21, v[4:5]
	v_lshlrev_b32_e32 v21, 2, v26
	v_rcp_iflag_f32_e32 v26, v32
	v_and_b32_e32 v4, 3, v0
	v_min_i32_e32 v34, s0, v31
	v_xor_b32_e32 v36, 64, v31
	v_lshlrev_b32_e32 v33, 2, v24
	v_lshlrev_b32_e32 v22, 2, v0
	v_add_nc_u32_e32 v35, 0xfe, v4
	v_ashrrev_i32_e32 v32, 31, v34
	v_min_i32_e32 v36, s0, v36
	s_sub_i32 s0, 0, s10
	v_mul_f32_e32 v26, 0x4f7ffffe, v26
	v_add3_u32 v31, v21, v33, 0x8e40
	v_and_b32_e32 v21, 0xff, v35
	v_mul_lo_u32 v116, v24, s15
	v_lshrrev_b32_e32 v24, 29, v32
	v_cvt_u32_f32_e32 v26, v26
	v_cmp_gt_u32_e32 vcc_lo, 2, v4
	v_ashrrev_i32_e32 v32, 31, v36
	v_and_b32_e32 v33, 4, v22
	v_cmp_lt_u32_e64 s1, 1, v4
	v_mul_lo_u32 v35, s0, v26
	v_cndmask_b32_e32 v21, v21, v4, vcc_lo
	v_lshrrev_b32_e32 v32, 29, v32
	v_cmp_ne_u32_e32 vcc_lo, 0, v4
	v_add_nc_u32_e32 v24, v34, v24
	v_lshlrev_b32_e32 v4, 2, v4
	v_mul_lo_u32 v114, v34, s15
	v_add_nc_u32_e32 v37, v36, v32
	v_mul_hi_u32 v35, v26, v35
	v_add_co_ci_u32_e64 v117, null, 0, v21, vcc_lo
	v_cndmask_b32_e64 v32, 0, v33, s1
	v_lshlrev_b32_e32 v33, 1, v21
	s_waitcnt vmcnt(0)
	v_sub_nc_u32_e32 v21, 0, v28
	v_ashrrev_i32_e32 v24, 3, v24
	v_ashrrev_i32_e32 v37, 3, v37
	v_add_nc_u32_e32 v26, v26, v35
	v_lshlrev_b32_e32 v125, 4, v34
	v_max_i32_e32 v21, v28, v21
	v_lshlrev_b32_e32 v24, 2, v24
	v_lshl_add_u32 v34, v1, 7, 0x8a40
	v_lshrrev_b32_e32 v35, 3, v0
	v_add_nc_u32_e32 v42, 32, v0
	v_mul_hi_u32 v26, v21, v26
	v_add3_u32 v124, v24, v4, 0x8200
	v_lshlrev_b32_e32 v24, 2, v37
	v_lshrrev_b32_e32 v23, 5, v0
	v_lshrrev_b32_e32 v38, 3, v42
	v_lshlrev_b32_e32 v39, 4, v1
	v_xor_b32_e32 v46, s14, v28
	v_add3_u32 v4, v24, v4, 0x8200
	v_and_b32_e32 v24, 31, v0
	v_mul_lo_u32 v43, v26, s10
	v_lshlrev_b32_e32 v1, 2, v23
	s_load_dwordx4 s[4:7], s[4:5], 0x0
	s_mul_i32 s8, s2, s8
	v_lshl_add_u32 v37, v24, 2, v34
	v_add_nc_u32_e32 v24, v35, v22
	s_mul_i32 s2, s15, s3
	v_ashrrev_i32_e32 v46, 31, v46
	v_sub_nc_u32_e32 v21, v21, v43
	s_mul_hi_i32 s19, s2, 0xb0
	v_lshl_add_u32 v40, v24, 2, 0x8200
	v_lshl_add_u32 v24, v42, 2, v38
	v_add3_u32 v42, v22, v1, 0x8e40
	v_add_nc_u32_e32 v1, 1, v26
	v_cmp_le_u32_e64 s0, s10, v21
	s_mul_i32 s18, s2, 0xb0
	v_lshl_add_u32 v43, v24, 2, 0x8200
	v_subrev_nc_u32_e32 v24, s10, v21
	v_add_nc_u32_e32 v45, 0x60, v0
	v_cndmask_b32_e64 v1, v26, v1, s0
	v_add_nc_u32_e32 v26, 64, v0
	v_and_b32_e32 v3, 28, v22
	v_cndmask_b32_e64 v21, v21, v24, s0
	v_lshrrev_b32_e32 v48, 3, v45
	v_add_nc_u32_e32 v24, 1, v1
	v_lshrrev_b32_e32 v47, 3, v26
	v_and_b32_e32 v44, 60, v38
	v_cmp_le_u32_e64 s0, s10, v21
	v_and_b32_e32 v2, 0x7c, v22
	v_mul_lo_u32 v118, v36, s15
	v_lshl_add_u32 v21, v26, 2, v47
	v_and_b32_e32 v26, 60, v47
	v_cndmask_b32_e64 v1, v1, v24, s0
	v_mad_u64_u32 v[23:24], null, 0xb0, v23, s[18:19]
	v_lshl_add_u32 v47, v45, 2, v48
	v_and_b32_e32 v48, 60, v48
	v_xor_b32_e32 v1, v1, v46
	v_lshl_add_u32 v45, v21, 2, 0x8200
	s_waitcnt lgkmcnt(0)
	v_add_co_u32 v21, s2, s6, v3
	v_lshlrev_b32_e32 v126, 4, v36
	v_sub_nc_u32_e32 v1, v1, v46
	v_add3_u32 v46, v22, v26, 0x8e40
	v_mad_i64_i32 v[25:26], null, 0xb0, v25, v[23:24]
	v_add_nc_u32_e32 v36, 0x9050, v22
	v_add3_u32 v44, v22, v44, 0x8e40
	v_add3_u32 v48, v22, v48, 0x8e40
	v_cmp_gt_i32_e64 s0, s11, v1
	v_mul_lo_u32 v49, v1, s12
	v_add_co_ci_u32_e64 v22, null, s7, 0, s2
	v_add_co_u32 v1, s2, v25, v3
	v_add_co_ci_u32_e64 v51, null, 0, v26, s2
	v_cmp_gt_u32_e32 vcc_lo, 4, v0
	v_add_co_u32 v1, s2, s4, v1
	v_add_co_ci_u32_e64 v52, null, s5, v51, s2
	v_add_co_u32 v53, s2, v25, v2
	v_add_co_ci_u32_e64 v54, null, 0, v26, s2
	v_mad_i64_i32 v[25:26], null, 0xb0, v27, v[23:24]
	v_add_co_u32 v51, s2, v1, 16
	v_add_co_ci_u32_e64 v52, null, 0, v52, s2
	v_add_co_u32 v1, s2, s4, v53
	v_add_co_ci_u32_e64 v27, null, s5, v54, s2
	v_add_co_u32 v56, s2, v25, v3
	v_add_co_ci_u32_e64 v57, null, 0, v26, s2
	v_add_co_u32 v53, s2, v1, 48
	v_add_co_ci_u32_e64 v54, null, 0, v27, s2
	v_add_co_u32 v1, s2, s4, v56
	v_add_co_ci_u32_e64 v27, null, s5, v57, s2
	v_add_co_u32 v57, s2, v25, v2
	v_add_co_ci_u32_e64 v58, null, 0, v26, s2
	v_mad_i64_i32 v[25:26], null, 0xb0, v55, v[23:24]
	v_add_co_u32 v55, s2, v1, 16
	v_add_co_ci_u32_e64 v56, null, 0, v27, s2
	v_add_co_u32 v1, s2, s4, v57
	v_add_co_ci_u32_e64 v27, null, s5, v58, s2
	v_add_co_u32 v60, s2, v25, v3
	v_add_co_ci_u32_e64 v61, null, 0, v26, s2
	v_add_co_u32 v57, s2, v1, 48
	v_add_co_ci_u32_e64 v58, null, 0, v27, s2
	v_add_co_u32 v1, s2, s4, v60
	v_add_co_ci_u32_e64 v27, null, s5, v61, s2
	v_add_co_u32 v61, s2, v25, v2
	v_add_co_ci_u32_e64 v62, null, 0, v26, s2
	v_mad_i64_i32 v[25:26], null, 0xb0, v59, v[23:24]
	v_add_co_u32 v59, s2, v1, 16
	v_add_co_ci_u32_e64 v60, null, 0, v27, s2
	v_add_co_u32 v1, s2, s4, v61
	v_add_co_ci_u32_e64 v27, null, s5, v62, s2
	v_add_co_u32 v64, s2, v25, v3
	v_add_co_ci_u32_e64 v65, null, 0, v26, s2
	v_add_co_u32 v61, s2, v1, 48
	v_add_co_ci_u32_e64 v62, null, 0, v27, s2
	v_add_co_u32 v1, s2, s4, v64
	v_add_co_ci_u32_e64 v27, null, s5, v65, s2
	v_add_co_u32 v65, s2, v25, v2
	v_add_co_ci_u32_e64 v66, null, 0, v26, s2
	v_mad_i64_i32 v[25:26], null, 0xb0, v63, v[23:24]
	v_add_co_u32 v63, s2, v1, 16
	v_add_co_ci_u32_e64 v64, null, 0, v27, s2
	v_add_co_u32 v1, s2, s4, v65
	v_add_co_ci_u32_e64 v27, null, s5, v66, s2
	v_add_co_u32 v68, s2, v25, v3
	v_add_co_ci_u32_e64 v69, null, 0, v26, s2
	v_add_co_u32 v65, s2, v1, 48
	v_add_co_ci_u32_e64 v66, null, 0, v27, s2
	v_add_co_u32 v1, s2, s4, v68
	v_add_co_ci_u32_e64 v27, null, s5, v69, s2
	v_add_co_u32 v69, s2, v25, v2
	v_add_co_ci_u32_e64 v70, null, 0, v26, s2
	v_mad_i64_i32 v[25:26], null, 0xb0, v67, v[23:24]
	v_add_co_u32 v67, s2, v1, 16
	v_add_co_ci_u32_e64 v68, null, 0, v27, s2
	v_add_co_u32 v1, s2, s4, v69
	v_add_co_ci_u32_e64 v27, null, s5, v70, s2
	v_add_co_u32 v72, s2, v25, v3
	v_add_co_ci_u32_e64 v73, null, 0, v26, s2
	v_add_co_u32 v69, s2, v1, 48
	v_add_co_ci_u32_e64 v70, null, 0, v27, s2
	v_add_co_u32 v1, s2, s4, v72
	v_add_co_ci_u32_e64 v27, null, s5, v73, s2
	v_add_co_u32 v73, s2, v25, v2
	v_add_co_ci_u32_e64 v74, null, 0, v26, s2
	v_mad_i64_i32 v[25:26], null, 0xb0, v71, v[23:24]
	v_add_co_u32 v71, s2, v1, 16
	v_add_co_ci_u32_e64 v72, null, 0, v27, s2
	v_add_co_u32 v1, s2, s4, v73
	v_add_co_ci_u32_e64 v27, null, s5, v74, s2
	v_add_co_u32 v76, s2, v25, v3
	v_add_co_ci_u32_e64 v77, null, 0, v26, s2
	v_add_co_u32 v73, s2, v1, 48
	v_add_co_ci_u32_e64 v74, null, 0, v27, s2
	v_add_co_u32 v1, s2, s4, v76
	v_add_co_ci_u32_e64 v27, null, s5, v77, s2
	v_add_co_u32 v77, s2, v25, v2
	v_add_co_ci_u32_e64 v78, null, 0, v26, s2
	v_mad_i64_i32 v[25:26], null, 0xb0, v75, v[23:24]
	v_add_co_u32 v75, s2, v1, 16
	v_add_co_ci_u32_e64 v76, null, 0, v27, s2
	v_add_co_u32 v1, s2, s4, v77
	v_add_co_ci_u32_e64 v27, null, s5, v78, s2
	v_add_co_u32 v80, s2, v25, v3
	v_add_co_ci_u32_e64 v81, null, 0, v26, s2
	v_add_co_u32 v77, s2, v1, 48
	v_add_co_ci_u32_e64 v78, null, 0, v27, s2
	v_add_co_u32 v1, s2, s4, v80
	v_add_co_ci_u32_e64 v27, null, s5, v81, s2
	v_add_co_u32 v81, s2, v25, v2
	v_add_co_ci_u32_e64 v82, null, 0, v26, s2
	v_mad_i64_i32 v[25:26], null, 0xb0, v79, v[23:24]
	v_add_co_u32 v79, s2, v1, 16
	v_add_co_ci_u32_e64 v80, null, 0, v27, s2
	v_add_co_u32 v1, s2, s4, v81
	v_add_co_ci_u32_e64 v27, null, s5, v82, s2
	v_add_co_u32 v84, s2, v25, v3
	v_add_co_ci_u32_e64 v85, null, 0, v26, s2
	v_add_co_u32 v81, s2, v1, 48
	v_add_co_ci_u32_e64 v82, null, 0, v27, s2
	v_add_co_u32 v1, s2, s4, v84
	v_add_co_ci_u32_e64 v27, null, s5, v85, s2
	v_add_co_u32 v85, s2, v25, v2
	v_add_co_ci_u32_e64 v86, null, 0, v26, s2
	v_mad_i64_i32 v[25:26], null, 0xb0, v83, v[23:24]
	v_add_co_u32 v83, s2, v1, 16
	v_add_co_ci_u32_e64 v84, null, 0, v27, s2
	v_add_co_u32 v1, s2, s4, v85
	v_add_co_ci_u32_e64 v27, null, s5, v86, s2
	v_add_co_u32 v88, s2, v25, v3
	v_add_co_ci_u32_e64 v89, null, 0, v26, s2
	v_add_co_u32 v85, s2, v1, 48
	v_add_co_ci_u32_e64 v86, null, 0, v27, s2
	v_add_co_u32 v1, s2, s4, v88
	v_add_co_ci_u32_e64 v27, null, s5, v89, s2
	v_add_co_u32 v89, s2, v25, v2
	v_add_co_ci_u32_e64 v90, null, 0, v26, s2
	v_mad_i64_i32 v[25:26], null, 0xb0, v87, v[23:24]
	v_add_co_u32 v87, s2, v1, 16
	v_add_co_ci_u32_e64 v88, null, 0, v27, s2
	v_add_co_u32 v1, s2, s4, v89
	v_add_co_ci_u32_e64 v27, null, s5, v90, s2
	v_add_co_u32 v92, s2, v25, v3
	v_add_co_ci_u32_e64 v93, null, 0, v26, s2
	v_add_co_u32 v89, s2, v1, 48
	v_add_co_ci_u32_e64 v90, null, 0, v27, s2
	v_add_co_u32 v1, s2, s4, v92
	v_add_co_ci_u32_e64 v27, null, s5, v93, s2
	v_add_co_u32 v93, s2, v25, v2
	v_add_co_ci_u32_e64 v94, null, 0, v26, s2
	v_mad_i64_i32 v[25:26], null, 0xb0, v91, v[23:24]
	v_add_co_u32 v91, s2, v1, 16
	v_add_co_ci_u32_e64 v92, null, 0, v27, s2
	v_add_co_u32 v1, s2, s4, v93
	v_add_co_ci_u32_e64 v27, null, s5, v94, s2
	v_add_co_u32 v96, s2, v25, v3
	v_add_co_ci_u32_e64 v97, null, 0, v26, s2
	v_add_co_u32 v93, s2, v1, 48
	v_add_co_ci_u32_e64 v94, null, 0, v27, s2
	v_add_co_u32 v1, s2, s4, v96
	v_add_co_ci_u32_e64 v27, null, s5, v97, s2
	v_add_co_u32 v97, s2, v25, v2
	v_add_co_ci_u32_e64 v98, null, 0, v26, s2
	v_mad_i64_i32 v[25:26], null, 0xb0, v95, v[23:24]
	v_add_co_u32 v95, s2, v1, 16
	v_add_co_ci_u32_e64 v96, null, 0, v27, s2
	v_add_co_u32 v1, s2, s4, v97
	v_add_co_ci_u32_e64 v27, null, s5, v98, s2
	v_add_co_u32 v100, s2, v25, v3
	v_add_co_ci_u32_e64 v101, null, 0, v26, s2
	v_add_co_u32 v97, s2, v1, 48
	v_add_co_ci_u32_e64 v98, null, 0, v27, s2
	v_add_co_u32 v1, s2, s4, v100
	v_add_co_ci_u32_e64 v27, null, s5, v101, s2
	v_add_co_u32 v101, s2, v25, v2
	v_add_co_ci_u32_e64 v102, null, 0, v26, s2
	v_mad_i64_i32 v[25:26], null, 0xb0, v99, v[23:24]
	v_add_co_u32 v99, s2, v1, 16
	v_add_co_ci_u32_e64 v100, null, 0, v27, s2
	v_add_co_u32 v1, s2, s4, v101
	v_add_co_ci_u32_e64 v27, null, s5, v102, s2
	v_add_co_u32 v104, s2, v25, v3
	v_add_co_ci_u32_e64 v105, null, 0, v26, s2
	v_add_co_u32 v101, s2, v1, 48
	v_add_co_ci_u32_e64 v102, null, 0, v27, s2
	v_add_co_u32 v1, s2, s4, v104
	v_add_co_ci_u32_e64 v27, null, s5, v105, s2
	v_add_co_u32 v105, s2, v25, v2
	v_add_co_ci_u32_e64 v106, null, 0, v26, s2
	v_mad_i64_i32 v[25:26], null, 0xb0, v103, v[23:24]
	v_add_co_u32 v103, s2, v1, 16
	v_add_co_ci_u32_e64 v104, null, 0, v27, s2
	v_add_co_u32 v1, s2, s4, v105
	v_add_co_ci_u32_e64 v27, null, s5, v106, s2
	v_add_co_u32 v109, s2, v25, v3
	v_add_co_ci_u32_e64 v110, null, 0, v26, s2
	v_add_co_u32 v105, s2, v1, 48
	v_add_co_ci_u32_e64 v106, null, 0, v27, s2
	v_add_co_u32 v1, s2, s4, v109
	v_mad_i64_i32 v[23:24], null, 0xb0, v108, v[23:24]
	v_add_co_ci_u32_e64 v27, null, s5, v110, s2
	v_add_co_u32 v108, s2, v1, 16
	s_ashr_i32 s20, s8, 31
	v_add_co_ci_u32_e64 v109, null, 0, v27, s2
	v_add_co_u32 v1, s2, v25, v2
	v_add_co_ci_u32_e64 v25, null, 0, v26, s2
	v_add_co_u32 v3, s2, v23, v3
	;; [unrolled: 2-line block ×7, first 2 shown]
	v_add_co_ci_u32_e64 v23, null, 0, v24, s2
	v_mad_i64_i32 v[1:2], null, 0xb0, v114, 0
	v_add_co_u32 v3, s2, s4, v3
	v_add_co_ci_u32_e64 v23, null, s5, v23, s2
	v_cndmask_b32_e64 v24, 0, 1, s1
	v_add_co_u32 v114, s1, v3, 48
	v_add_co_ci_u32_e64 v115, null, 0, v23, s1
	v_add_co_u32 v1, s1, s18, v1
	v_lshlrev_b32_e32 v3, 2, v24
	v_add_co_ci_u32_e64 v2, null, s19, v2, s1
	v_lshlrev_b32_e32 v26, 2, v117
	s_and_b32 s10, vcc_lo, s0
	v_or_b32_e32 v23, v1, v3
	s_add_u32 s22, s4, s18
	s_addc_u32 s23, s5, s19
	v_mov_b32_e32 v107, 0
	v_mad_i64_i32 v[24:25], null, 0xb0, v116, s[22:23]
	v_add_co_u32 v23, s1, s4, v23
	v_add_co_ci_u32_e64 v27, null, s5, v2, s1
	v_add_co_u32 v119, s1, v1, v26
	v_add_co_ci_u32_e64 v120, null, 0, v2, s1
	v_mad_i64_i32 v[1:2], null, 0xb0, v118, 0
	v_add_co_u32 v116, s1, v23, 4
	v_add_co_ci_u32_e64 v117, null, 0, v27, s1
	v_add_co_u32 v23, s1, s4, v119
	v_add_co_ci_u32_e64 v27, null, s5, v120, s1
	;; [unrolled: 2-line block ×3, first 2 shown]
	v_add_co_u32 v118, s2, v23, 4
	v_or_b32_e32 v3, v1, v3
	v_add_co_u32 v1, s1, v1, v26
	v_add_co_ci_u32_e64 v23, null, 0, v2, s1
	v_add_co_u32 v3, s1, s4, v3
	v_add_co_ci_u32_e64 v2, null, s5, v2, s1
	v_add_co_u32 v1, s1, s4, v1
	v_add_co_ci_u32_e64 v23, null, s5, v23, s1
	v_add_co_u32 v120, s1, v3, 4
	v_add_co_ci_u32_e64 v121, null, 0, v2, s1
	v_add_co_u32 v122, s1, v1, 4
	v_or_b32_e32 v30, 1, v29
	v_mul_u32_u24_e32 v41, 0x104, v0
	v_lshl_add_u32 v47, v47, 2, 0x8200
	v_ashrrev_i32_e32 v50, 31, v49
	v_add_co_ci_u32_e64 v119, null, 0, v27, s2
	v_add_co_ci_u32_e64 v123, null, 0, v23, s1
	v_add_nc_u32_e32 v124, v124, v125
	v_add_nc_u32_e32 v125, v4, v126
	v_mov_b32_e32 v126, v0
	v_mov_b32_e32 v128, 0
	;; [unrolled: 1-line block ×4, first 2 shown]
	s_movk_i32 s2, 0x80
	s_branch .LBB234_6
.LBB234_4:                              ;   in Loop: Header=BB234_6 Depth=1
	s_or_b32 exec_lo, exec_lo, s4
	s_waitcnt lgkmcnt(0)
	s_barrier
	buffer_gl0_inv
	ds_read2_b32 v[129:130], v41 offset0:32 offset1:33
	ds_read_b128 v[133:136], v34
	ds_read_b128 v[137:140], v34 offset:16
	ds_read2_b32 v[131:132], v41 offset0:34 offset1:35
	ds_read_b128 v[141:144], v34 offset:32
	ds_read_b128 v[145:148], v34 offset:48
	v_mov_b32_e32 v181, 0
	ds_read2_b32 v[149:150], v41 offset0:36 offset1:37
	ds_read2_b32 v[151:152], v41 offset0:38 offset1:39
	;; [unrolled: 1-line block ×3, first 2 shown]
	v_add_nc_u32_e32 v155, 0x2100, v41
	ds_read2_b32 v[26:27], v40 offset0:1 offset1:3
	ds_read_b128 v[1:4], v39 offset:36944
	ds_read2_b32 v[155:156], v155 offset1:1
	ds_read2_b32 v[157:158], v41 offset0:42 offset1:43
	ds_read2_b32 v[159:160], v41 offset0:44 offset1:45
	v_add_nc_u32_e32 v165, 0x2118, v41
	v_add_nc_u32_e32 v167, 0x2120, v41
	v_mov_b32_e32 v182, 0
	v_mov_b32_e32 v183, 0
	;; [unrolled: 1-line block ×4, first 2 shown]
	v_add_nc_u32_e32 v171, 0x41b0, v41
	s_waitcnt lgkmcnt(12)
	v_dot4c_i32_i8 v181, v129, v133
	v_add_nc_u32_e32 v129, 0x2108, v41
	v_add_nc_u32_e32 v173, 0x41b8, v41
	;; [unrolled: 1-line block ×4, first 2 shown]
	v_dot4c_i32_i8 v181, v130, v134
	v_add_nc_u32_e32 v130, 0x2110, v41
	ds_read2_b32 v[161:162], v129 offset1:1
	ds_read2_b32 v[163:164], v130 offset1:1
	;; [unrolled: 1-line block ×4, first 2 shown]
	s_waitcnt lgkmcnt(14)
	v_dot4c_i32_i8 v181, v131, v135
	s_waitcnt lgkmcnt(9)
	v_dot4c_i32_i8 v182, v153, v141
	ds_read_b32 v129, v44 offset:128
	ds_read_b32 v130, v46 offset:256
	;; [unrolled: 1-line block ×3, first 2 shown]
	s_waitcnt lgkmcnt(9)
	v_dot4c_i32_i8 v183, v155, v133
	v_add_nc_u32_e32 v155, 0x2138, v41
	v_dot4c_i32_i8 v181, v132, v136
	v_dot4c_i32_i8 v182, v154, v142
	ds_read2_b32 v[153:154], v41 offset0:46 offset1:47
	ds_read2_b32 v[169:170], v41 offset0:48 offset1:49
	ds_read_b32 v132, v42
	v_dot4c_i32_i8 v183, v156, v134
	v_dot4c_i32_i8 v181, v149, v137
	v_add_nc_u32_e32 v149, 0x2128, v41
	s_waitcnt lgkmcnt(11)
	v_dot4c_i32_i8 v182, v157, v143
	v_add_nc_u32_e32 v157, 0x4180, v41
	v_add_nc_u32_e32 v179, 0x6220, v41
	v_dot4c_i32_i8 v181, v150, v138
	ds_read2_b32 v[149:150], v149 offset1:1
	v_dot4c_i32_i8 v182, v158, v144
	s_waitcnt lgkmcnt(10)
	v_dot4c_i32_i8 v183, v161, v135
	s_waitcnt lgkmcnt(7)
	v_dot4c_i32_i8 v184, v167, v141
	v_dot4c_i32_i8 v181, v151, v139
	v_add_nc_u32_e32 v151, 0x2130, v41
	v_dot4c_i32_i8 v182, v159, v145
	v_dot4c_i32_i8 v183, v162, v136
	;; [unrolled: 1-line block ×4, first 2 shown]
	ds_read2_b32 v[151:152], v151 offset1:1
	ds_read2_b32 v[155:156], v155 offset1:1
	;; [unrolled: 1-line block ×3, first 2 shown]
	v_dot4c_i32_i8 v182, v160, v146
	v_dot4c_i32_i8 v183, v163, v137
	v_add_nc_u32_e32 v167, 0x41a0, v41
	v_mov_b32_e32 v190, 0
	v_mov_b32_e32 v192, 0
	s_waitcnt lgkmcnt(6)
	v_dot4c_i32_i8 v182, v153, v147
	v_dot4c_i32_i8 v183, v164, v138
	v_cvt_f32_ubyte0_e32 v185, v27
	s_waitcnt lgkmcnt(3)
	v_dot4c_i32_i8 v184, v149, v143
	v_add_nc_u32_e32 v149, 0x4188, v41
	v_dot4c_i32_i8 v182, v154, v148
	v_dot4c_i32_i8 v183, v165, v139
	v_add_nc_u32_e32 v165, 0x4198, v41
	v_dot4c_i32_i8 v184, v150, v144
	ds_read2_b32 v[149:150], v149 offset1:1
	ds_read2_b32 v[153:154], v41 offset0:58 offset1:59
	ds_read2_b32 v[159:160], v41 offset0:60 offset1:61
	;; [unrolled: 1-line block ×4, first 2 shown]
	v_dot4c_i32_i8 v183, v166, v140
	v_cvt_f32_ubyte1_e32 v186, v27
	s_waitcnt lgkmcnt(7)
	v_dot4c_i32_i8 v184, v151, v145
	v_add_nc_u32_e32 v151, 0x4190, v41
	s_waitcnt lgkmcnt(5)
	v_dot4c_i32_i8 v188, v157, v133
	v_cvt_f32_f16_sdwa v187, v132 dst_sel:DWORD dst_unused:UNUSED_PAD src0_sel:WORD_1
	v_cvt_f32_f16_sdwa v193, v129 dst_sel:DWORD dst_unused:UNUSED_PAD src0_sel:WORD_1
	v_dot4c_i32_i8 v184, v152, v146
	ds_read2_b32 v[151:152], v151 offset1:1
	ds_read2_b32 v[165:166], v165 offset1:1
	;; [unrolled: 1-line block ×3, first 2 shown]
	v_dot4c_i32_i8 v188, v158, v134
	v_mov_b32_e32 v194, 0
	v_mov_b32_e32 v197, 0
	v_dot4c_i32_i8 v184, v155, v147
	v_add_nc_u32_e32 v155, 0x41a8, v41
	ds_read2_b32 v[157:158], v155 offset1:1
	ds_read2_b32 v[171:172], v171 offset1:1
	;; [unrolled: 1-line block ×4, first 2 shown]
	s_waitcnt lgkmcnt(11)
	v_dot4c_i32_i8 v188, v149, v135
	v_add_nc_u32_e32 v149, 0x6208, v41
	v_add_nc_u32_e32 v155, 0x6210, v41
	v_dot4c_i32_i8 v184, v156, v148
	s_waitcnt lgkmcnt(7)
	v_cvt_f32_ubyte0_e32 v189, v164
	v_dot4c_i32_i8 v188, v150, v136
	ds_read2_b32 v[149:150], v149 offset1:1
	ds_read2_b32 v[155:156], v155 offset1:1
	ds_read2_b32 v[177:178], v177 offset1:1
	ds_read2_b32 v[179:180], v179 offset1:1
	v_cvt_f32_ubyte1_e32 v191, v164
	v_cvt_f32_ubyte2_e32 v196, v27
	s_waitcnt lgkmcnt(8)
	v_dot4c_i32_i8 v190, v167, v141
	v_dot4c_i32_i8 v188, v151, v137
	v_add_nc_u32_e32 v167, 0x6228, v41
	v_cvt_f32_ubyte3_e32 v27, v27
	v_dot4c_i32_i8 v190, v168, v142
	v_dot4c_i32_i8 v188, v152, v138
	ds_read2_b32 v[151:152], v45 offset0:1 offset1:3
	ds_read2_b32 v[167:168], v167 offset1:1
	s_waitcnt lgkmcnt(6)
	v_dot4c_i32_i8 v192, v175, v133
	v_dot4c_i32_i8 v188, v165, v139
	v_mov_b32_e32 v165, 0
	v_add_nc_u32_e32 v133, 0x6230, v41
	v_dot4c_i32_i8 v190, v157, v143
	v_dot4c_i32_i8 v192, v176, v134
	;; [unrolled: 1-line block ×3, first 2 shown]
	s_waitcnt lgkmcnt(2)
	v_dot4c_i32_i8 v165, v179, v141
	ds_read2_b32 v[133:134], v133 offset1:1
	v_add_nc_u32_e32 v141, 0x2140, v41
	v_dot4c_i32_i8 v192, v149, v135
	v_add_nc_u32_e32 v135, 0x6238, v41
	v_dot4c_i32_i8 v165, v180, v142
	v_dot4c_i32_i8 v190, v158, v144
	v_add_nc_u32_e32 v175, 0x2160, v41
	v_dot4c_i32_i8 v192, v150, v136
	ds_read2_b32 v[149:150], v47 offset0:1 offset1:3
	ds_read2_b32 v[135:136], v135 offset1:1
	ds_read2_b32 v[157:158], v141 offset1:1
	s_waitcnt lgkmcnt(4)
	v_dot4c_i32_i8 v165, v167, v143
	v_and_b32_e32 v141, 0xff, v26
	v_dot4c_i32_i8 v190, v171, v145
	v_dot4c_i32_i8 v192, v155, v137
	v_bfe_u32 v142, v151, 8, 8
	v_dot4c_i32_i8 v165, v168, v144
	v_mul_lo_u32 v141, v181, v141
	v_dot4c_i32_i8 v190, v172, v146
	v_dot4c_i32_i8 v192, v156, v138
	v_bfe_u32 v138, v26, 8, 8
	v_cvt_f32_ubyte0_e32 v137, v152
	s_waitcnt lgkmcnt(3)
	v_dot4c_i32_i8 v165, v133, v145
	v_dot4c_i32_i8 v190, v173, v147
	;; [unrolled: 1-line block ×3, first 2 shown]
	v_mul_lo_u32 v133, v182, v138
	v_cvt_f32_i32_e32 v139, v141
	v_dot4c_i32_i8 v165, v134, v146
	v_fma_mix_f32 v134, v1, v185, 0 op_sel:[1,0,0] op_sel_hi:[1,0,0]
	v_dot4c_i32_i8 v192, v178, v140
	v_bfe_u32 v140, v163, 8, 8
	v_fma_mix_f32 v139, v1, v139, 0 op_sel_hi:[1,0,0]
	s_waitcnt lgkmcnt(1)
	v_dot4c_i32_i8 v165, v135, v147
	v_cvt_f32_i32_e32 v133, v133
	v_and_b32_e32 v135, 0xff, v163
	v_fma_mix_f32 v134, v2, v186, v134 op_sel:[1,0,0] op_sel_hi:[1,0,0]
	v_dot4c_i32_i8 v190, v174, v148
	v_mul_lo_u32 v140, v184, v140
	v_fma_mix_f32 v133, v2, v133, v139 op_sel_hi:[1,0,0]
	v_and_b32_e32 v139, 0xff, v151
	v_mul_lo_u32 v135, v183, v135
	v_mul_f32_e32 v134, v134, v187
	v_dot4c_i32_i8 v165, v136, v148
	v_fma_mix_f32 v136, v1, v189, 0 op_sel:[1,0,0] op_sel_hi:[1,0,0]
	v_mul_lo_u32 v139, v188, v139
	v_cvt_f32_i32_e32 v140, v140
	v_fma_mix_f32 v133, v133, v132, -v134 op_sel_hi:[0,1,0]
	v_mul_lo_u32 v134, v190, v142
	v_cvt_f32_i32_e32 v135, v135
	v_fma_mix_f32 v136, v2, v191, v136 op_sel:[1,0,0] op_sel_hi:[1,0,0]
	v_cvt_f32_ubyte1_e32 v138, v152
	v_fma_mix_f32 v137, v1, v137, 0 op_sel:[1,0,0] op_sel_hi:[1,0,0]
	v_cvt_f32_i32_e32 v139, v139
	v_fma_mix_f32 v135, v1, v135, 0 op_sel_hi:[1,0,0]
	v_mul_f32_e32 v136, v136, v193
	v_cvt_f32_i32_e32 v134, v134
	v_fma_mix_f32 v137, v2, v138, v137 op_sel:[1,0,0] op_sel_hi:[1,0,0]
	v_fma_mix_f32 v139, v1, v139, 0 op_sel_hi:[1,0,0]
	v_fma_mix_f32 v135, v2, v140, v135 op_sel_hi:[1,0,0]
	v_and_b32_e32 v138, 0xff, v149
	v_cvt_f32_f16_sdwa v181, v130 dst_sel:DWORD dst_unused:UNUSED_PAD src0_sel:WORD_1
	v_add_f32_e32 v107, v107, v133
	v_fma_mix_f32 v139, v2, v134, v139 op_sel_hi:[1,0,0]
	v_fma_mix_f32 v142, v135, v129, -v136 op_sel_hi:[0,1,0]
	ds_read_b128 v[133:136], v34 offset:64
	v_bfe_u32 v140, v149, 8, 8
	v_mul_lo_u32 v138, v192, v138
	v_mul_f32_e32 v137, v137, v181
	v_add_f32_e32 v184, v128, v142
	v_mov_b32_e32 v189, 0
	v_mul_lo_u32 v140, v165, v140
	v_cvt_f32_ubyte0_e32 v141, v150
	v_fma_mix_f32 v137, v139, v130, -v137 op_sel_hi:[0,1,0]
	v_add_nc_u32_e32 v148, 0x2148, v41
	v_cvt_f32_i32_e32 v128, v138
	v_add_nc_u32_e32 v171, 0x2150, v41
	v_add_nc_u32_e32 v173, 0x2158, v41
	v_add_f32_e32 v186, v127, v137
	v_cvt_f32_i32_e32 v145, v140
	v_fma_mix_f32 v146, v1, v128, 0 op_sel_hi:[1,0,0]
	ds_read_b128 v[137:140], v34 offset:96
	ds_read2_b32 v[127:128], v41 offset0:50 offset1:51
	ds_read2_b32 v[155:156], v41 offset0:52 offset1:53
	;; [unrolled: 1-line block ×4, first 2 shown]
	v_fma_mix_f32 v1, v1, v141, 0 op_sel:[1,0,0] op_sel_hi:[1,0,0]
	v_cvt_f32_ubyte1_e32 v147, v150
	s_waitcnt lgkmcnt(5)
	v_dot4c_i32_i8 v189, v169, v133
	ds_read_b128 v[141:144], v34 offset:80
	v_mov_b32_e32 v190, 0
	v_fma_mix_f32 v177, v2, v145, v146 op_sel_hi:[1,0,0]
	v_fma_mix_f32 v178, v2, v147, v1 op_sel:[1,0,0] op_sel_hi:[1,0,0]
	v_dot4c_i32_i8 v189, v170, v134
	ds_read2_b32 v[169:170], v148 offset1:1
	ds_read2_b32 v[171:172], v171 offset1:1
	;; [unrolled: 1-line block ×4, first 2 shown]
	v_add_nc_u32_e32 v1, 0x2168, v41
	ds_read_b128 v[145:148], v34 offset:112
	v_mov_b32_e32 v191, 0
	v_cvt_f32_f16_sdwa v192, v131 dst_sel:DWORD dst_unused:UNUSED_PAD src0_sel:WORD_1
	v_add_nc_u32_e32 v179, 0x6260, v41
	ds_read2_b32 v[1:2], v1 offset1:1
	v_lshrrev_b32_e32 v182, 24, v26
	s_waitcnt lgkmcnt(10)
	v_dot4c_i32_i8 v189, v127, v135
	v_add_nc_u32_e32 v127, 0x2170, v41
	v_dot4c_i32_i8 v191, v157, v133
	s_waitcnt lgkmcnt(7)
	v_dot4c_i32_i8 v190, v167, v137
	v_add_nc_u32_e32 v157, 0x41d8, v41
	v_dot4c_i32_i8 v189, v128, v136
	ds_read2_b32 v[127:128], v127 offset1:1
	v_dot4c_i32_i8 v191, v158, v134
	v_dot4c_i32_i8 v190, v168, v138
	v_add_nc_u32_e32 v167, 0x41f8, v41
	s_waitcnt lgkmcnt(7)
	v_dot4c_i32_i8 v189, v155, v141
	v_add_nc_u32_e32 v155, 0x41c0, v41
	s_waitcnt lgkmcnt(3)
	v_dot4c_i32_i8 v194, v175, v137
	v_dot4c_i32_i8 v190, v153, v139
	;; [unrolled: 1-line block ×3, first 2 shown]
	v_add_nc_u32_e32 v153, 0x2178, v41
	v_dot4c_i32_i8 v189, v156, v142
	v_dot4c_i32_i8 v194, v176, v138
	;; [unrolled: 1-line block ×4, first 2 shown]
	ds_read2_b32 v[153:154], v153 offset1:1
	ds_read2_b32 v[155:156], v155 offset1:1
	v_dot4c_i32_i8 v189, v165, v143
	s_waitcnt lgkmcnt(3)
	v_dot4c_i32_i8 v194, v1, v139
	v_dot4c_i32_i8 v190, v159, v145
	v_mul_f32_e32 v1, v178, v192
	v_dot4c_i32_i8 v191, v171, v141
	v_add_nc_u32_e32 v159, 0x41e0, v41
	v_dot4c_i32_i8 v194, v2, v140
	v_dot4c_i32_i8 v190, v160, v146
	v_fma_mix_f32 v195, v177, v131, -v1 op_sel_hi:[0,1,0]
	v_add_nc_u32_e32 v1, 0x41c8, v41
	v_dot4c_i32_i8 v191, v172, v142
	s_waitcnt lgkmcnt(2)
	v_dot4c_i32_i8 v194, v127, v145
	v_dot4c_i32_i8 v190, v161, v147
	v_add_nc_u32_e32 v127, 0x41d0, v41
	v_add_nc_u32_e32 v161, 0x41e8, v41
	;; [unrolled: 1-line block ×4, first 2 shown]
	v_dot4c_i32_i8 v189, v166, v144
	v_dot4c_i32_i8 v190, v162, v148
	;; [unrolled: 1-line block ×3, first 2 shown]
	ds_read2_b32 v[1:2], v1 offset1:1
	ds_read2_b32 v[127:128], v127 offset1:1
	;; [unrolled: 1-line block ×8, first 2 shown]
	v_add_nc_u32_e32 v171, 0x6248, v41
	v_dot4c_i32_i8 v191, v173, v143
	v_add_nc_u32_e32 v173, 0x6250, v41
	v_add_nc_u32_e32 v177, 0x6258, v41
	ds_read2_b32 v[171:172], v171 offset1:1
	ds_read2_b32 v[175:176], v173 offset1:1
	;; [unrolled: 1-line block ×4, first 2 shown]
	s_waitcnt lgkmcnt(12)
	v_dot4c_i32_i8 v197, v155, v133
	v_dot4c_i32_i8 v194, v153, v147
	v_add_nc_u32_e32 v153, 0x6268, v41
	v_mov_b32_e32 v155, 0
	v_bfe_u32 v26, v26, 16, 8
	v_dot4c_i32_i8 v197, v156, v134
	v_mov_b32_e32 v156, 0
	v_dot4c_i32_i8 v194, v154, v148
	ds_read2_b32 v[153:154], v153 offset1:1
	s_waitcnt lgkmcnt(9)
	v_dot4c_i32_i8 v155, v159, v137
	v_dot4c_i32_i8 v197, v1, v135
	v_add_nc_u32_e32 v1, 0x6270, v41
	s_waitcnt lgkmcnt(5)
	v_dot4c_i32_i8 v156, v169, v133
	v_mov_b32_e32 v133, 0
	v_dot4c_i32_i8 v155, v160, v138
	v_dot4c_i32_i8 v197, v2, v136
	ds_read2_b32 v[1:2], v1 offset1:1
	v_dot4c_i32_i8 v156, v170, v134
	v_dot4c_i32_i8 v191, v174, v144
	s_waitcnt lgkmcnt(2)
	v_dot4c_i32_i8 v133, v179, v137
	v_dot4c_i32_i8 v197, v127, v141
	v_add_nc_u32_e32 v127, 0x6278, v41
	v_dot4c_i32_i8 v156, v171, v135
	v_dot4c_i32_i8 v155, v161, v139
	;; [unrolled: 1-line block ×4, first 2 shown]
	ds_read2_b32 v[127:128], v127 offset1:1
	v_dot4c_i32_i8 v156, v172, v136
	v_dot4c_i32_i8 v155, v162, v140
	s_waitcnt lgkmcnt(2)
	v_dot4c_i32_i8 v133, v153, v139
	v_mul_lo_u32 v135, v190, v182
	v_bfe_u32 v136, v163, 16, 8
	v_dot4c_i32_i8 v156, v175, v141
	v_dot4c_i32_i8 v155, v165, v145
	;; [unrolled: 1-line block ×3, first 2 shown]
	v_lshrrev_b32_e32 v183, 24, v163
	v_dot4c_i32_i8 v197, v157, v143
	v_dot4c_i32_i8 v156, v176, v142
	;; [unrolled: 1-line block ×3, first 2 shown]
	s_waitcnt lgkmcnt(1)
	v_dot4c_i32_i8 v133, v1, v145
	v_mul_lo_u32 v1, v189, v26
	v_dot4c_i32_i8 v197, v158, v144
	v_dot4c_i32_i8 v156, v177, v143
	;; [unrolled: 1-line block ×4, first 2 shown]
	v_mul_lo_u32 v138, v194, v183
	v_lshrrev_b32_e32 v185, 24, v151
	v_dot4c_i32_i8 v156, v178, v144
	v_cvt_f32_i32_e32 v1, v1
	s_waitcnt lgkmcnt(0)
	v_dot4c_i32_i8 v133, v127, v147
	v_cvt_f32_i32_e32 v127, v135
	v_mul_lo_u32 v135, v191, v136
	v_fma_mix_f32 v136, v3, v196, 0 op_sel:[1,0,0] op_sel_hi:[1,0,0]
	v_fma_mix_f32 v1, v3, v1, 0 op_sel_hi:[1,0,0]
	v_dot4c_i32_i8 v133, v128, v148
	v_bfe_u32 v128, v151, 16, 8
	v_lshrrev_b32_e32 v188, 24, v149
	v_fma_mix_f32 v27, v4, v27, v136 op_sel:[1,0,0] op_sel_hi:[1,0,0]
	v_bfe_u32 v136, v149, 16, 8
	v_fma_mix_f32 v1, v4, v127, v1 op_sel_hi:[1,0,0]
	v_cvt_f32_i32_e32 v127, v135
	v_dot4c_i32_i8 v155, v168, v148
	v_mul_lo_u32 v128, v197, v128
	v_mul_lo_u32 v136, v156, v136
	v_cvt_f32_ubyte2_e32 v173, v164
	v_cvt_f32_ubyte2_e32 v26, v152
	;; [unrolled: 1-line block ×3, first 2 shown]
	v_cvt_f32_i32_e32 v138, v138
	v_fma_mix_f32 v127, v3, v127, 0 op_sel_hi:[1,0,0]
	v_mul_lo_u32 v139, v155, v185
	v_mul_lo_u32 v133, v133, v188
	v_cvt_f32_ubyte3_e32 v134, v164
	v_cvt_f32_ubyte3_e32 v2, v152
	v_fma_mix_f32 v135, v3, v173, 0 op_sel:[1,0,0] op_sel_hi:[1,0,0]
	v_fma_mix_f32 v127, v4, v138, v127 op_sel_hi:[1,0,0]
	v_fma_mix_f32 v26, v3, v26, 0 op_sel:[1,0,0] op_sel_hi:[1,0,0]
	v_cvt_f32_i32_e32 v128, v128
	v_cvt_f32_i32_e32 v136, v136
	v_fma_mix_f32 v137, v3, v137, 0 op_sel:[1,0,0] op_sel_hi:[1,0,0]
	v_cvt_f32_ubyte3_e32 v138, v150
	v_fma_mix_f32 v134, v4, v134, v135 op_sel:[1,0,0] op_sel_hi:[1,0,0]
	v_cvt_f32_i32_e32 v135, v139
	v_fma_mix_f32 v128, v3, v128, 0 op_sel_hi:[1,0,0]
	v_fma_mix_f32 v2, v4, v2, v26 op_sel:[1,0,0] op_sel_hi:[1,0,0]
	v_cvt_f32_i32_e32 v26, v133
	v_fma_mix_f32 v3, v3, v136, 0 op_sel_hi:[1,0,0]
	v_fma_mix_f32 v133, v4, v138, v137 op_sel:[1,0,0] op_sel_hi:[1,0,0]
	v_mul_f32_e32 v27, v27, v187
	v_mul_f32_e32 v134, v134, v193
	v_fma_mix_f32 v128, v4, v135, v128 op_sel_hi:[1,0,0]
	v_mul_f32_e32 v2, v2, v181
	v_fma_mix_f32 v3, v4, v26, v3 op_sel_hi:[1,0,0]
	v_mul_f32_e32 v4, v133, v192
	v_add_f32_e32 v23, v23, v195
	v_fma_mix_f32 v1, v1, v132, -v27 op_sel_hi:[0,1,0]
	v_fma_mix_f32 v26, v127, v129, -v134 op_sel_hi:[0,1,0]
	;; [unrolled: 1-line block ×4, first 2 shown]
	v_add_f32_e32 v107, v107, v1
	v_add_f32_e32 v128, v184, v26
	;; [unrolled: 1-line block ×4, first 2 shown]
	s_barrier
	buffer_gl0_inv
.LBB234_5:                              ;   in Loop: Header=BB234_6 Depth=1
	v_add_co_u32 v51, s1, 0xb0, v51
	v_add_co_ci_u32_e64 v52, null, 0, v52, s1
	v_add_co_u32 v53, s1, 0xb0, v53
	v_add_co_ci_u32_e64 v54, null, 0, v54, s1
	;; [unrolled: 2-line block ×36, first 2 shown]
	v_add_co_u32 v122, s1, 0xb0, v122
	v_add_nc_u32_e32 v38, 8, v38
	v_add_nc_u32_e32 v35, 8, v35
	;; [unrolled: 1-line block ×3, first 2 shown]
	v_add_co_ci_u32_e64 v123, null, 0, v123, s1
	s_add_i32 s15, s15, -1
	s_addk_i32 s2, 0x100
	s_cmp_eq_u32 s15, 0
	s_cbranch_scc1 .LBB234_17
.LBB234_6:                              ; =>This Inner Loop Header: Depth=1
	v_add_co_u32 v1, s1, v53, s8
	v_add_co_ci_u32_e64 v2, null, s20, v54, s1
	v_add_co_u32 v3, s1, v51, s8
	v_add_co_ci_u32_e64 v4, null, s20, v52, s1
	;; [unrolled: 2-line block ×4, first 2 shown]
	global_load_dword v133, v[1:2], off
	global_load_dword v134, v[3:4], off
	global_load_dword v135, v[26:27], off
	global_load_dword v136, v[129:130], off
	v_add_co_u32 v1, s1, v61, s8
	v_add_co_ci_u32_e64 v2, null, s20, v62, s1
	v_add_co_u32 v3, s1, v59, s8
	v_add_co_ci_u32_e64 v4, null, s20, v60, s1
	v_add_co_u32 v26, s1, v65, s8
	v_add_co_ci_u32_e64 v27, null, s20, v66, s1
	v_add_co_u32 v129, s1, v63, s8
	v_add_co_ci_u32_e64 v130, null, s20, v64, s1
	v_add_co_u32 v131, s1, v69, s8
	v_add_co_ci_u32_e64 v132, null, s20, v70, s1
	global_load_dword v137, v[1:2], off
	global_load_dword v138, v[3:4], off
	global_load_dword v139, v[26:27], off
	global_load_dword v140, v[129:130], off
	global_load_dword v141, v[131:132], off
	v_add_co_u32 v1, s1, v67, s8
	v_add_co_ci_u32_e64 v2, null, s20, v68, s1
	v_add_co_u32 v3, s1, v73, s8
	v_add_co_ci_u32_e64 v4, null, s20, v74, s1
	v_add_co_u32 v26, s1, v71, s8
	v_add_co_ci_u32_e64 v27, null, s20, v72, s1
	v_add_co_u32 v129, s1, v77, s8
	v_add_co_ci_u32_e64 v130, null, s20, v78, s1
	v_add_co_u32 v131, s1, v75, s8
	v_add_co_ci_u32_e64 v132, null, s20, v76, s1
	global_load_dword v142, v[1:2], off
	;; [unrolled: 15-line block ×4, first 2 shown]
	global_load_dword v153, v[3:4], off
	global_load_dword v154, v[26:27], off
	;; [unrolled: 1-line block ×3, first 2 shown]
	v_add_co_u32 v1, s1, v101, s8
	v_add_co_ci_u32_e64 v2, null, s20, v102, s1
	v_add_co_u32 v3, s1, v99, s8
	v_add_co_ci_u32_e64 v4, null, s20, v100, s1
	;; [unrolled: 2-line block ×4, first 2 shown]
	global_load_dword v131, v[131:132], off
	global_load_dword v132, v[1:2], off
	;; [unrolled: 1-line block ×5, first 2 shown]
	v_add_co_u32 v1, s1, v110, s8
	v_add_co_ci_u32_e64 v2, null, s20, v111, s1
	v_add_co_u32 v3, s1, v108, s8
	v_add_co_ci_u32_e64 v4, null, s20, v109, s1
	;; [unrolled: 2-line block ×3, first 2 shown]
	global_load_dword v130, v[1:2], off
	global_load_dword v158, v[3:4], off
	v_add_co_u32 v1, s1, v112, s8
	v_add_co_ci_u32_e64 v2, null, s20, v113, s1
	v_add_co_u32 v3, s1, v118, s8
	v_add_co_ci_u32_e64 v4, null, s20, v119, s1
	global_load_dword v159, v[26:27], off
	global_load_dword v160, v[1:2], off
	;; [unrolled: 1-line block ×3, first 2 shown]
	v_add_co_u32 v1, s1, v116, s8
	v_add_co_ci_u32_e64 v2, null, s20, v117, s1
	v_add_co_u32 v3, s1, v122, s8
	v_add_co_ci_u32_e64 v4, null, s20, v123, s1
	v_add_co_u32 v26, s1, v120, s8
	v_add_co_ci_u32_e64 v27, null, s20, v121, s1
	global_load_dword v3, v[3:4], off
	global_load_dword v4, v[1:2], off
	;; [unrolled: 1-line block ×3, first 2 shown]
	v_add_co_u32 v1, s1, v24, s8
	v_add_co_ci_u32_e64 v2, null, s20, v25, s1
	s_add_i32 s1, s2, 0xffffff80
	s_cmp_lt_i32 s1, s9
	global_load_dword v1, v[1:2], off
	s_waitcnt vmcnt(36)
	v_and_b32_e32 v2, 0xf0f0f0f, v133
	v_lshrrev_b32_e32 v27, 4, v133
	s_waitcnt vmcnt(35)
	v_ashrrev_i32_e32 v133, v29, v134
	v_ashrrev_i32_e32 v134, v30, v134
	s_waitcnt vmcnt(34)
	v_and_b32_e32 v162, 0xf0f0f0f, v135
	v_lshrrev_b32_e32 v135, 4, v135
	s_waitcnt vmcnt(33)
	v_ashrrev_i32_e32 v163, v29, v136
	v_ashrrev_i32_e32 v136, v30, v136
	v_lshlrev_b32_e32 v133, 4, v133
	v_and_b32_e32 v27, 0xf0f0f0f, v27
	v_lshlrev_b32_e32 v134, 4, v134
	v_lshlrev_b32_e32 v163, 4, v163
	v_and_b32_e32 v135, 0xf0f0f0f, v135
	v_lshlrev_b32_e32 v136, 4, v136
	v_and_or_b32 v2, 0x10101010, v133, v2
	v_and_or_b32 v27, 0x10101010, v134, v27
	;; [unrolled: 1-line block ×4, first 2 shown]
	s_waitcnt vmcnt(32)
	v_and_b32_e32 v164, 0xf0f0f0f, v137
	v_lshrrev_b32_e32 v137, 4, v137
	s_waitcnt vmcnt(31)
	v_ashrrev_i32_e32 v165, v29, v138
	v_ashrrev_i32_e32 v138, v30, v138
	s_waitcnt vmcnt(30)
	v_and_b32_e32 v166, 0xf0f0f0f, v139
	v_lshrrev_b32_e32 v139, 4, v139
	s_waitcnt vmcnt(29)
	v_ashrrev_i32_e32 v167, v29, v140
	v_ashrrev_i32_e32 v140, v30, v140
	s_waitcnt vmcnt(28)
	v_and_b32_e32 v168, 0xf0f0f0f, v141
	v_lshrrev_b32_e32 v141, 4, v141
	v_lshlrev_b32_e32 v165, 4, v165
	v_and_b32_e32 v137, 0xf0f0f0f, v137
	v_lshlrev_b32_e32 v138, 4, v138
	v_lshlrev_b32_e32 v167, 4, v167
	v_and_b32_e32 v139, 0xf0f0f0f, v139
	v_lshlrev_b32_e32 v140, 4, v140
	v_and_b32_e32 v141, 0xf0f0f0f, v141
	v_and_or_b32 v135, 0x10101010, v165, v164
	v_and_or_b32 v136, 0x10101010, v138, v137
	;; [unrolled: 1-line block ×4, first 2 shown]
	s_waitcnt vmcnt(27)
	v_ashrrev_i32_e32 v169, v29, v142
	v_ashrrev_i32_e32 v142, v30, v142
	s_waitcnt vmcnt(26)
	v_and_b32_e32 v170, 0xf0f0f0f, v143
	v_lshrrev_b32_e32 v143, 4, v143
	s_waitcnt vmcnt(25)
	v_ashrrev_i32_e32 v171, v29, v144
	v_ashrrev_i32_e32 v144, v30, v144
	s_waitcnt vmcnt(24)
	v_and_b32_e32 v172, 0xf0f0f0f, v145
	v_lshrrev_b32_e32 v145, 4, v145
	s_waitcnt vmcnt(23)
	v_ashrrev_i32_e32 v173, v29, v146
	v_ashrrev_i32_e32 v146, v30, v146
	v_lshlrev_b32_e32 v169, 4, v169
	v_lshlrev_b32_e32 v142, 4, v142
	;; [unrolled: 1-line block ×3, first 2 shown]
	v_and_b32_e32 v143, 0xf0f0f0f, v143
	v_lshlrev_b32_e32 v144, 4, v144
	v_lshlrev_b32_e32 v173, 4, v173
	v_and_b32_e32 v145, 0xf0f0f0f, v145
	v_lshlrev_b32_e32 v146, 4, v146
	v_and_or_b32 v139, 0x10101010, v169, v168
	v_and_or_b32 v140, 0x10101010, v142, v141
	;; [unrolled: 1-line block ×3, first 2 shown]
	s_waitcnt vmcnt(22)
	v_and_b32_e32 v174, 0xf0f0f0f, v147
	v_lshrrev_b32_e32 v147, 4, v147
	s_waitcnt vmcnt(21)
	v_ashrrev_i32_e32 v175, v29, v148
	v_ashrrev_i32_e32 v148, v30, v148
	s_waitcnt vmcnt(20)
	v_and_b32_e32 v176, 0xf0f0f0f, v149
	v_lshrrev_b32_e32 v149, 4, v149
	s_waitcnt vmcnt(19)
	v_ashrrev_i32_e32 v177, v29, v150
	v_ashrrev_i32_e32 v150, v30, v150
	s_waitcnt vmcnt(18)
	v_and_b32_e32 v178, 0xf0f0f0f, v151
	v_lshrrev_b32_e32 v151, 4, v151
	v_lshlrev_b32_e32 v175, 4, v175
	v_and_b32_e32 v147, 0xf0f0f0f, v147
	v_lshlrev_b32_e32 v148, 4, v148
	v_lshlrev_b32_e32 v177, 4, v177
	v_and_b32_e32 v149, 0xf0f0f0f, v149
	v_lshlrev_b32_e32 v150, 4, v150
	v_and_b32_e32 v151, 0xf0f0f0f, v151
	v_and_or_b32 v142, 0x10101010, v144, v143
	v_and_or_b32 v143, 0x10101010, v173, v172
	;; [unrolled: 1-line block ×5, first 2 shown]
	s_waitcnt vmcnt(17)
	v_ashrrev_i32_e32 v179, v29, v152
	v_ashrrev_i32_e32 v152, v30, v152
	s_waitcnt vmcnt(16)
	v_and_b32_e32 v180, 0xf0f0f0f, v153
	v_lshrrev_b32_e32 v153, 4, v153
	s_waitcnt vmcnt(15)
	v_ashrrev_i32_e32 v181, v29, v154
	v_ashrrev_i32_e32 v154, v30, v154
	s_waitcnt vmcnt(14)
	v_and_b32_e32 v182, 0xf0f0f0f, v155
	v_lshrrev_b32_e32 v155, 4, v155
	v_lshlrev_b32_e32 v179, 4, v179
	v_lshlrev_b32_e32 v152, 4, v152
	;; [unrolled: 1-line block ×3, first 2 shown]
	v_and_b32_e32 v153, 0xf0f0f0f, v153
	v_lshlrev_b32_e32 v154, 4, v154
	v_and_b32_e32 v155, 0xf0f0f0f, v155
	v_and_or_b32 v147, 0x10101010, v177, v176
	v_and_or_b32 v148, 0x10101010, v150, v149
	s_waitcnt vmcnt(13)
	v_ashrrev_i32_e32 v183, v29, v131
	v_ashrrev_i32_e32 v131, v30, v131
	s_waitcnt vmcnt(12)
	v_and_b32_e32 v184, 0xf0f0f0f, v132
	v_lshrrev_b32_e32 v132, 4, v132
	s_waitcnt vmcnt(11)
	v_ashrrev_i32_e32 v185, v29, v156
	v_ashrrev_i32_e32 v156, v30, v156
	s_waitcnt vmcnt(10)
	v_and_b32_e32 v186, 0xf0f0f0f, v157
	v_lshrrev_b32_e32 v157, 4, v157
	s_waitcnt vmcnt(9)
	v_ashrrev_i32_e32 v187, v29, v129
	v_ashrrev_i32_e32 v129, v30, v129
	v_lshlrev_b32_e32 v183, 4, v183
	v_lshlrev_b32_e32 v131, 4, v131
	;; [unrolled: 1-line block ×3, first 2 shown]
	v_and_b32_e32 v132, 0xf0f0f0f, v132
	v_lshlrev_b32_e32 v156, 4, v156
	v_and_b32_e32 v157, 0xf0f0f0f, v157
	s_waitcnt vmcnt(8)
	v_and_b32_e32 v188, 0xf0f0f0f, v130
	v_lshrrev_b32_e32 v130, 4, v130
	s_waitcnt vmcnt(7)
	v_ashrrev_i32_e32 v189, v29, v158
	v_ashrrev_i32_e32 v158, v30, v158
	v_lshlrev_b32_e32 v187, 4, v187
	v_lshlrev_b32_e32 v129, 4, v129
	v_and_b32_e32 v130, 0xf0f0f0f, v130
	v_lshlrev_b32_e32 v189, 4, v189
	v_lshlrev_b32_e32 v158, 4, v158
	s_waitcnt vmcnt(6)
	v_and_b32_e32 v190, 0xf0f0f0f, v159
	v_lshrrev_b32_e32 v159, 4, v159
	s_waitcnt vmcnt(5)
	v_ashrrev_i32_e32 v191, v29, v160
	v_ashrrev_i32_e32 v160, v30, v160
	s_waitcnt vmcnt(4)
	v_ashrrev_i32_e32 v161, v32, v161
	v_and_or_b32 v149, 0x10101010, v179, v178
	v_and_or_b32 v150, 0x10101010, v152, v151
	;; [unrolled: 1-line block ×8, first 2 shown]
	ds_write2_b32 v5, v2, v27 offset1:8
	ds_write2_b32 v6, v133, v134 offset1:8
	;; [unrolled: 1-line block ×13, first 2 shown]
	s_waitcnt vmcnt(3)
	v_ashrrev_i32_e32 v2, v32, v3
	v_and_b32_e32 v159, 0xf0f0f0f, v159
	v_lshlrev_b32_e32 v191, 4, v191
	v_lshlrev_b32_e32 v160, 4, v160
	v_and_or_b32 v155, 0x10101010, v187, v186
	v_and_or_b32 v129, 0x10101010, v129, v157
	v_and_b32_e32 v131, 0xf0f0f0f, v161
	s_waitcnt vmcnt(2)
	v_ashrrev_i32_e32 v4, v33, v4
	v_and_or_b32 v156, 0x10101010, v189, v188
	v_and_or_b32 v130, 0x10101010, v158, v130
	v_and_b32_e32 v2, 0xf0f0f0f, v2
	s_waitcnt vmcnt(1)
	v_ashrrev_i32_e32 v26, v33, v26
	v_and_or_b32 v3, 0x10101010, v191, v190
	v_and_or_b32 v27, 0x10101010, v160, v159
	ds_write2_b32 v18, v155, v129 offset1:8
	ds_write2_b32 v19, v156, v130 offset1:8
	;; [unrolled: 1-line block ×3, first 2 shown]
	v_and_or_b32 v3, 0x30303030, v4, v131
	v_and_or_b32 v2, 0x30303030, v26, v2
	s_waitcnt vmcnt(0)
	ds_write_b32 v31, v1
	ds_write_b32 v124, v3
	;; [unrolled: 1-line block ×3, first 2 shown]
	s_cbranch_scc0 .LBB234_5
; %bb.7:                                ;   in Loop: Header=BB234_6 Depth=1
	v_cmp_gt_i32_e64 s1, s12, v35
	s_and_b32 s4, s0, s1
	s_and_saveexec_b32 s1, s4
	s_cbranch_execz .LBB234_9
; %bb.8:                                ;   in Loop: Header=BB234_6 Depth=1
	v_add_nc_u32_e32 v1, v49, v35
	v_mad_i64_i32 v[1:2], null, v1, 36, v[21:22]
	global_load_dword v1, v[1:2], off offset:4
	s_waitcnt vmcnt(0)
	ds_write_b32 v37, v1
.LBB234_9:                              ;   in Loop: Header=BB234_6 Depth=1
	s_or_b32 exec_lo, exec_lo, s1
	v_cmp_gt_i32_e64 s1, s12, v126
	s_and_b32 s4, s10, s1
	s_and_saveexec_b32 s1, s4
	s_cbranch_execz .LBB234_11
; %bb.10:                               ;   in Loop: Header=BB234_6 Depth=1
	v_add_nc_u32_e32 v1, v49, v126
	v_mad_i64_i32 v[1:2], null, v1, 36, s[6:7]
	global_load_dword v1, v[1:2], off
	v_add_nc_u32_e32 v2, v36, v39
	s_waitcnt vmcnt(0)
	ds_write_b32 v2, v1
.LBB234_11:                             ;   in Loop: Header=BB234_6 Depth=1
	s_or_b32 exec_lo, exec_lo, s1
	s_waitcnt lgkmcnt(0)
	s_barrier
	buffer_gl0_inv
	ds_read2_b32 v[129:130], v41 offset1:1
	ds_read_b128 v[133:136], v34
	ds_read_b128 v[137:140], v34 offset:16
	ds_read2_b32 v[131:132], v41 offset0:2 offset1:3
	ds_read_b128 v[141:144], v34 offset:32
	ds_read_b128 v[145:148], v34 offset:48
	ds_read2_b32 v[149:150], v41 offset0:4 offset1:5
	ds_read2_b32 v[151:152], v41 offset0:6 offset1:7
	;; [unrolled: 1-line block ×3, first 2 shown]
	v_mov_b32_e32 v181, 0
	v_mov_b32_e32 v182, 0
	v_add_nc_u32_e32 v159, 0x2080, v41
	ds_read2_b32 v[26:27], v40 offset1:2
	ds_read_b128 v[1:4], v39 offset:36944
	ds_read2_b32 v[155:156], v41 offset0:10 offset1:11
	ds_read2_b32 v[157:158], v41 offset0:12 offset1:13
	ds_read2_b32 v[159:160], v159 offset1:1
	v_add_nc_u32_e32 v170, 0x20a0, v41
	v_add_nc_u32_e32 v161, 0x2088, v41
	v_mov_b32_e32 v183, 0
	v_add_nc_u32_e32 v167, 0x2090, v41
	v_add_nc_u32_e32 v169, 0x2098, v41
	v_mov_b32_e32 v184, 0
	v_mov_b32_e32 v188, 0
	v_add_nc_u32_e32 v171, 0x4130, v41
	v_add_nc_u32_e32 v173, 0x4138, v41
	s_waitcnt lgkmcnt(12)
	v_dot4c_i32_i8 v181, v129, v133
	v_add_nc_u32_e32 v175, 0x6180, v41
	v_add_nc_u32_e32 v177, 0x6198, v41
	;; [unrolled: 1-line block ×3, first 2 shown]
	v_mov_b32_e32 v190, 0
	v_dot4c_i32_i8 v181, v130, v134
	s_waitcnt lgkmcnt(5)
	v_dot4c_i32_i8 v182, v153, v141
	ds_read_b32 v129, v44 offset:128
	ds_read_b32 v130, v46 offset:256
	ds_read2_b32 v[161:162], v161 offset1:1
	v_mov_b32_e32 v192, 0
	s_waitcnt lgkmcnt(7)
	v_cvt_f32_ubyte0_e32 v185, v27
	v_dot4c_i32_i8 v181, v131, v135
	ds_read_b32 v131, v48 offset:384
	ds_read2_b32 v[163:164], v41 offset0:14 offset1:15
	ds_read2_b32 v[165:166], v41 offset0:16 offset1:17
	v_dot4c_i32_i8 v182, v154, v142
	ds_read2_b32 v[153:154], v170 offset1:1
	v_dot4c_i32_i8 v181, v132, v136
	ds_read_b32 v132, v42
	ds_read2_b32 v[167:168], v167 offset1:1
	s_waitcnt lgkmcnt(9)
	v_dot4c_i32_i8 v183, v159, v133
	v_dot4c_i32_i8 v182, v155, v143
	;; [unrolled: 1-line block ×3, first 2 shown]
	v_add_nc_u32_e32 v149, 0x20a8, v41
	v_cvt_f32_ubyte1_e32 v186, v27
	v_dot4c_i32_i8 v183, v160, v134
	v_dot4c_i32_i8 v182, v156, v144
	;; [unrolled: 1-line block ×3, first 2 shown]
	ds_read2_b32 v[149:150], v149 offset1:1
	ds_read2_b32 v[155:156], v169 offset1:1
	s_waitcnt lgkmcnt(8)
	v_dot4c_i32_i8 v183, v161, v135
	v_dot4c_i32_i8 v182, v157, v145
	;; [unrolled: 1-line block ×3, first 2 shown]
	v_add_nc_u32_e32 v151, 0x20b0, v41
	v_add_nc_u32_e32 v157, 0x4100, v41
	v_dot4c_i32_i8 v183, v162, v136
	s_waitcnt lgkmcnt(4)
	v_dot4c_i32_i8 v184, v153, v141
	v_dot4c_i32_i8 v181, v152, v140
	ds_read2_b32 v[151:152], v151 offset1:1
	v_add_nc_u32_e32 v153, 0x20b8, v41
	v_dot4c_i32_i8 v182, v158, v146
	v_dot4c_i32_i8 v184, v154, v142
	ds_read2_b32 v[153:154], v153 offset1:1
	ds_read2_b32 v[157:158], v157 offset1:1
	s_waitcnt lgkmcnt(5)
	v_dot4c_i32_i8 v183, v167, v137
	v_dot4c_i32_i8 v182, v163, v147
	v_add_nc_u32_e32 v167, 0x4118, v41
	s_waitcnt lgkmcnt(4)
	v_dot4c_i32_i8 v184, v149, v143
	v_add_nc_u32_e32 v149, 0x4108, v41
	v_dot4c_i32_i8 v183, v168, v138
	v_dot4c_i32_i8 v182, v164, v148
	v_add_nc_u32_e32 v169, 0x4120, v41
	v_dot4c_i32_i8 v184, v150, v144
	ds_read2_b32 v[149:150], v149 offset1:1
	ds_read2_b32 v[159:160], v41 offset0:26 offset1:27
	ds_read2_b32 v[161:162], v41 offset0:28 offset1:29
	;; [unrolled: 1-line block ×3, first 2 shown]
	s_waitcnt lgkmcnt(7)
	v_dot4c_i32_i8 v183, v155, v139
	v_cvt_f32_f16_sdwa v187, v132 dst_sel:DWORD dst_unused:UNUSED_PAD src0_sel:WORD_1
	v_cvt_f32_f16_sdwa v193, v129 dst_sel:DWORD dst_unused:UNUSED_PAD src0_sel:WORD_1
	s_waitcnt lgkmcnt(6)
	v_dot4c_i32_i8 v184, v151, v145
	v_add_nc_u32_e32 v151, 0x4110, v41
	v_dot4c_i32_i8 v183, v156, v140
	ds_read2_b32 v[155:156], v43 offset1:2
	v_mov_b32_e32 v194, 0
	v_dot4c_i32_i8 v184, v152, v146
	s_waitcnt lgkmcnt(5)
	v_dot4c_i32_i8 v188, v157, v133
	ds_read2_b32 v[151:152], v151 offset1:1
	ds_read2_b32 v[167:168], v167 offset1:1
	ds_read2_b32 v[169:170], v169 offset1:1
	v_mov_b32_e32 v197, 0
	v_cvt_f32_ubyte2_e32 v196, v27
	v_dot4c_i32_i8 v184, v153, v147
	v_add_nc_u32_e32 v153, 0x4128, v41
	v_dot4c_i32_i8 v188, v158, v134
	ds_read2_b32 v[157:158], v153 offset1:1
	ds_read2_b32 v[171:172], v171 offset1:1
	ds_read2_b32 v[173:174], v173 offset1:1
	ds_read2_b32 v[175:176], v175 offset1:1
	s_waitcnt lgkmcnt(11)
	v_dot4c_i32_i8 v188, v149, v135
	v_add_nc_u32_e32 v149, 0x6188, v41
	v_add_nc_u32_e32 v153, 0x6190, v41
	v_dot4c_i32_i8 v184, v154, v148
	v_cvt_f32_ubyte3_e32 v27, v27
	v_dot4c_i32_i8 v188, v150, v136
	ds_read2_b32 v[149:150], v149 offset1:1
	ds_read2_b32 v[153:154], v153 offset1:1
	;; [unrolled: 1-line block ×4, first 2 shown]
	s_waitcnt lgkmcnt(11)
	v_cvt_f32_ubyte0_e32 v189, v156
	v_cvt_f32_ubyte1_e32 v191, v156
	s_cmp_ge_i32 s2, s9
	s_waitcnt lgkmcnt(8)
	v_dot4c_i32_i8 v190, v169, v141
	v_dot4c_i32_i8 v188, v151, v137
	v_add_nc_u32_e32 v169, 0x61a8, v41
	v_dot4c_i32_i8 v190, v170, v142
	v_dot4c_i32_i8 v188, v152, v138
	ds_read2_b32 v[151:152], v45 offset1:2
	ds_read2_b32 v[169:170], v169 offset1:1
	s_waitcnt lgkmcnt(6)
	v_dot4c_i32_i8 v192, v175, v133
	v_add_nc_u32_e32 v133, 0x61b0, v41
	v_dot4c_i32_i8 v188, v167, v139
	v_mov_b32_e32 v167, 0
	v_dot4c_i32_i8 v190, v157, v143
	v_dot4c_i32_i8 v192, v176, v134
	ds_read2_b32 v[133:134], v133 offset1:1
	v_dot4c_i32_i8 v188, v168, v140
	s_waitcnt lgkmcnt(3)
	v_dot4c_i32_i8 v167, v179, v141
	v_add_nc_u32_e32 v141, 0x20c0, v41
	v_dot4c_i32_i8 v192, v149, v135
	v_add_nc_u32_e32 v135, 0x61b8, v41
	v_dot4c_i32_i8 v190, v158, v144
	v_dot4c_i32_i8 v167, v180, v142
	v_add_nc_u32_e32 v175, 0x20e0, v41
	v_dot4c_i32_i8 v192, v150, v136
	ds_read2_b32 v[149:150], v47 offset1:2
	ds_read2_b32 v[135:136], v135 offset1:1
	;; [unrolled: 1-line block ×3, first 2 shown]
	v_and_b32_e32 v141, 0xff, v26
	s_waitcnt lgkmcnt(4)
	v_dot4c_i32_i8 v167, v169, v143
	v_dot4c_i32_i8 v190, v171, v145
	;; [unrolled: 1-line block ×3, first 2 shown]
	v_bfe_u32 v142, v151, 8, 8
	v_mul_lo_u32 v141, v181, v141
	v_dot4c_i32_i8 v167, v170, v144
	v_dot4c_i32_i8 v190, v172, v146
	;; [unrolled: 1-line block ×3, first 2 shown]
	v_bfe_u32 v138, v26, 8, 8
	v_cvt_f32_ubyte0_e32 v137, v152
	s_waitcnt lgkmcnt(3)
	v_dot4c_i32_i8 v167, v133, v145
	v_dot4c_i32_i8 v190, v173, v147
	;; [unrolled: 1-line block ×3, first 2 shown]
	v_mul_lo_u32 v133, v182, v138
	v_cvt_f32_i32_e32 v139, v141
	v_dot4c_i32_i8 v167, v134, v146
	v_fma_mix_f32 v134, v1, v185, 0 op_sel:[1,0,0] op_sel_hi:[1,0,0]
	v_dot4c_i32_i8 v192, v178, v140
	v_bfe_u32 v140, v155, 8, 8
	v_fma_mix_f32 v139, v1, v139, 0 op_sel_hi:[1,0,0]
	s_waitcnt lgkmcnt(1)
	v_dot4c_i32_i8 v167, v135, v147
	v_cvt_f32_i32_e32 v133, v133
	v_and_b32_e32 v135, 0xff, v155
	v_fma_mix_f32 v134, v2, v186, v134 op_sel:[1,0,0] op_sel_hi:[1,0,0]
	v_dot4c_i32_i8 v190, v174, v148
	v_mul_lo_u32 v140, v184, v140
	v_fma_mix_f32 v133, v2, v133, v139 op_sel_hi:[1,0,0]
	v_and_b32_e32 v139, 0xff, v151
	v_mul_lo_u32 v135, v183, v135
	v_mul_f32_e32 v134, v134, v187
	v_dot4c_i32_i8 v167, v136, v148
	v_fma_mix_f32 v136, v1, v189, 0 op_sel:[1,0,0] op_sel_hi:[1,0,0]
	v_mul_lo_u32 v139, v188, v139
	v_cvt_f32_i32_e32 v140, v140
	v_fma_mix_f32 v133, v133, v132, -v134 op_sel_hi:[0,1,0]
	v_mul_lo_u32 v134, v190, v142
	v_cvt_f32_i32_e32 v135, v135
	v_fma_mix_f32 v136, v2, v191, v136 op_sel:[1,0,0] op_sel_hi:[1,0,0]
	v_cvt_f32_ubyte1_e32 v138, v152
	v_fma_mix_f32 v137, v1, v137, 0 op_sel:[1,0,0] op_sel_hi:[1,0,0]
	v_cvt_f32_i32_e32 v139, v139
	v_fma_mix_f32 v135, v1, v135, 0 op_sel_hi:[1,0,0]
	v_mul_f32_e32 v136, v136, v193
	v_cvt_f32_i32_e32 v134, v134
	v_fma_mix_f32 v137, v2, v138, v137 op_sel:[1,0,0] op_sel_hi:[1,0,0]
	v_fma_mix_f32 v139, v1, v139, 0 op_sel_hi:[1,0,0]
	v_fma_mix_f32 v135, v2, v140, v135 op_sel_hi:[1,0,0]
	v_and_b32_e32 v138, 0xff, v149
	v_cvt_f32_f16_sdwa v181, v130 dst_sel:DWORD dst_unused:UNUSED_PAD src0_sel:WORD_1
	v_add_f32_e32 v107, v107, v133
	v_fma_mix_f32 v139, v2, v134, v139 op_sel_hi:[1,0,0]
	v_fma_mix_f32 v142, v135, v129, -v136 op_sel_hi:[0,1,0]
	ds_read_b128 v[133:136], v34 offset:64
	v_bfe_u32 v140, v149, 8, 8
	v_mul_lo_u32 v138, v192, v138
	v_mul_f32_e32 v137, v137, v181
	v_add_f32_e32 v184, v128, v142
	v_mov_b32_e32 v189, 0
	v_mul_lo_u32 v140, v167, v140
	v_cvt_f32_ubyte0_e32 v141, v150
	v_fma_mix_f32 v137, v139, v130, -v137 op_sel_hi:[0,1,0]
	v_add_nc_u32_e32 v148, 0x20c8, v41
	v_cvt_f32_i32_e32 v128, v138
	v_add_nc_u32_e32 v171, 0x20d0, v41
	v_add_nc_u32_e32 v173, 0x20d8, v41
	v_add_f32_e32 v186, v127, v137
	v_cvt_f32_i32_e32 v145, v140
	v_fma_mix_f32 v146, v1, v128, 0 op_sel_hi:[1,0,0]
	ds_read_b128 v[137:140], v34 offset:96
	ds_read2_b32 v[127:128], v41 offset0:18 offset1:19
	ds_read2_b32 v[153:154], v41 offset0:20 offset1:21
	;; [unrolled: 1-line block ×4, first 2 shown]
	v_fma_mix_f32 v1, v1, v141, 0 op_sel:[1,0,0] op_sel_hi:[1,0,0]
	v_cvt_f32_ubyte1_e32 v147, v150
	s_waitcnt lgkmcnt(5)
	v_dot4c_i32_i8 v189, v165, v133
	ds_read_b128 v[141:144], v34 offset:80
	v_mov_b32_e32 v190, 0
	v_fma_mix_f32 v177, v2, v145, v146 op_sel_hi:[1,0,0]
	v_fma_mix_f32 v178, v2, v147, v1 op_sel:[1,0,0] op_sel_hi:[1,0,0]
	v_dot4c_i32_i8 v189, v166, v134
	ds_read2_b32 v[165:166], v148 offset1:1
	ds_read2_b32 v[171:172], v171 offset1:1
	;; [unrolled: 1-line block ×4, first 2 shown]
	v_add_nc_u32_e32 v1, 0x20e8, v41
	ds_read_b128 v[145:148], v34 offset:112
	v_mov_b32_e32 v191, 0
	v_cvt_f32_f16_sdwa v192, v131 dst_sel:DWORD dst_unused:UNUSED_PAD src0_sel:WORD_1
	v_add_nc_u32_e32 v179, 0x61e0, v41
	ds_read2_b32 v[1:2], v1 offset1:1
	v_lshrrev_b32_e32 v182, 24, v26
	s_waitcnt lgkmcnt(10)
	v_dot4c_i32_i8 v189, v127, v135
	v_add_nc_u32_e32 v127, 0x20f0, v41
	v_dot4c_i32_i8 v191, v157, v133
	s_waitcnt lgkmcnt(7)
	v_dot4c_i32_i8 v190, v169, v137
	v_add_nc_u32_e32 v157, 0x4140, v41
	v_dot4c_i32_i8 v189, v128, v136
	ds_read2_b32 v[127:128], v127 offset1:1
	v_dot4c_i32_i8 v191, v158, v134
	v_dot4c_i32_i8 v190, v170, v138
	v_add_nc_u32_e32 v169, 0x61c0, v41
	s_waitcnt lgkmcnt(7)
	v_dot4c_i32_i8 v189, v153, v141
	v_add_nc_u32_e32 v153, 0x20f8, v41
	s_waitcnt lgkmcnt(3)
	v_dot4c_i32_i8 v194, v175, v137
	v_dot4c_i32_i8 v190, v159, v139
	;; [unrolled: 1-line block ×4, first 2 shown]
	ds_read2_b32 v[153:154], v153 offset1:1
	ds_read2_b32 v[157:158], v157 offset1:1
	v_dot4c_i32_i8 v194, v176, v138
	v_dot4c_i32_i8 v190, v160, v140
	;; [unrolled: 1-line block ×4, first 2 shown]
	v_add_nc_u32_e32 v159, 0x4158, v41
	s_waitcnt lgkmcnt(3)
	v_dot4c_i32_i8 v194, v1, v139
	v_dot4c_i32_i8 v190, v161, v145
	v_mul_f32_e32 v1, v178, v192
	v_dot4c_i32_i8 v191, v171, v141
	v_add_nc_u32_e32 v161, 0x4160, v41
	v_dot4c_i32_i8 v194, v2, v140
	v_dot4c_i32_i8 v190, v162, v146
	v_fma_mix_f32 v195, v177, v131, -v1 op_sel_hi:[0,1,0]
	v_add_nc_u32_e32 v1, 0x4148, v41
	v_dot4c_i32_i8 v191, v172, v142
	s_waitcnt lgkmcnt(2)
	v_dot4c_i32_i8 v194, v127, v145
	v_dot4c_i32_i8 v190, v163, v147
	v_add_nc_u32_e32 v127, 0x4150, v41
	v_add_nc_u32_e32 v163, 0x4168, v41
	;; [unrolled: 1-line block ×4, first 2 shown]
	v_dot4c_i32_i8 v189, v168, v144
	v_dot4c_i32_i8 v190, v164, v148
	;; [unrolled: 1-line block ×3, first 2 shown]
	ds_read2_b32 v[1:2], v1 offset1:1
	ds_read2_b32 v[127:128], v127 offset1:1
	;; [unrolled: 1-line block ×8, first 2 shown]
	v_add_nc_u32_e32 v171, 0x61c8, v41
	v_dot4c_i32_i8 v191, v173, v143
	v_add_nc_u32_e32 v173, 0x61d0, v41
	v_add_nc_u32_e32 v177, 0x61d8, v41
	ds_read2_b32 v[171:172], v171 offset1:1
	ds_read2_b32 v[175:176], v173 offset1:1
	ds_read2_b32 v[177:178], v177 offset1:1
	ds_read2_b32 v[179:180], v179 offset1:1
	s_waitcnt lgkmcnt(12)
	v_dot4c_i32_i8 v197, v157, v133
	v_dot4c_i32_i8 v194, v153, v147
	v_add_nc_u32_e32 v153, 0x61e8, v41
	v_mov_b32_e32 v157, 0
	v_bfe_u32 v26, v26, 16, 8
	v_dot4c_i32_i8 v197, v158, v134
	v_mov_b32_e32 v158, 0
	v_dot4c_i32_i8 v194, v154, v148
	ds_read2_b32 v[153:154], v153 offset1:1
	s_waitcnt lgkmcnt(9)
	v_dot4c_i32_i8 v157, v161, v137
	v_dot4c_i32_i8 v197, v1, v135
	v_add_nc_u32_e32 v1, 0x61f0, v41
	s_waitcnt lgkmcnt(5)
	v_dot4c_i32_i8 v158, v169, v133
	v_mov_b32_e32 v133, 0
	v_dot4c_i32_i8 v157, v162, v138
	v_dot4c_i32_i8 v197, v2, v136
	ds_read2_b32 v[1:2], v1 offset1:1
	v_dot4c_i32_i8 v158, v170, v134
	v_dot4c_i32_i8 v191, v174, v144
	s_waitcnt lgkmcnt(2)
	v_dot4c_i32_i8 v133, v179, v137
	v_dot4c_i32_i8 v197, v127, v141
	v_add_nc_u32_e32 v127, 0x61f8, v41
	v_dot4c_i32_i8 v158, v171, v135
	v_dot4c_i32_i8 v157, v163, v139
	;; [unrolled: 1-line block ×4, first 2 shown]
	ds_read2_b32 v[127:128], v127 offset1:1
	v_dot4c_i32_i8 v158, v172, v136
	v_dot4c_i32_i8 v157, v164, v140
	s_waitcnt lgkmcnt(2)
	v_dot4c_i32_i8 v133, v153, v139
	v_mul_lo_u32 v135, v190, v182
	v_bfe_u32 v136, v155, 16, 8
	v_dot4c_i32_i8 v158, v175, v141
	v_dot4c_i32_i8 v157, v165, v145
	;; [unrolled: 1-line block ×3, first 2 shown]
	v_lshrrev_b32_e32 v183, 24, v155
	v_dot4c_i32_i8 v197, v159, v143
	v_dot4c_i32_i8 v158, v176, v142
	;; [unrolled: 1-line block ×3, first 2 shown]
	s_waitcnt lgkmcnt(1)
	v_dot4c_i32_i8 v133, v1, v145
	v_mul_lo_u32 v1, v189, v26
	v_dot4c_i32_i8 v197, v160, v144
	v_dot4c_i32_i8 v158, v177, v143
	;; [unrolled: 1-line block ×4, first 2 shown]
	v_mul_lo_u32 v138, v194, v183
	v_lshrrev_b32_e32 v185, 24, v151
	v_dot4c_i32_i8 v158, v178, v144
	v_cvt_f32_i32_e32 v1, v1
	s_waitcnt lgkmcnt(0)
	v_dot4c_i32_i8 v133, v127, v147
	v_cvt_f32_i32_e32 v127, v135
	v_mul_lo_u32 v135, v191, v136
	v_fma_mix_f32 v136, v3, v196, 0 op_sel:[1,0,0] op_sel_hi:[1,0,0]
	v_fma_mix_f32 v1, v3, v1, 0 op_sel_hi:[1,0,0]
	v_dot4c_i32_i8 v133, v128, v148
	v_bfe_u32 v128, v151, 16, 8
	v_lshrrev_b32_e32 v188, 24, v149
	v_fma_mix_f32 v27, v4, v27, v136 op_sel:[1,0,0] op_sel_hi:[1,0,0]
	v_bfe_u32 v136, v149, 16, 8
	v_fma_mix_f32 v1, v4, v127, v1 op_sel_hi:[1,0,0]
	v_cvt_f32_i32_e32 v127, v135
	v_dot4c_i32_i8 v157, v168, v148
	v_mul_lo_u32 v128, v197, v128
	v_mul_lo_u32 v136, v158, v136
	v_cvt_f32_ubyte2_e32 v173, v156
	v_cvt_f32_ubyte2_e32 v26, v152
	;; [unrolled: 1-line block ×3, first 2 shown]
	v_cvt_f32_i32_e32 v138, v138
	v_fma_mix_f32 v127, v3, v127, 0 op_sel_hi:[1,0,0]
	v_mul_lo_u32 v139, v157, v185
	v_mul_lo_u32 v133, v133, v188
	v_cvt_f32_ubyte3_e32 v134, v156
	v_cvt_f32_ubyte3_e32 v2, v152
	v_fma_mix_f32 v135, v3, v173, 0 op_sel:[1,0,0] op_sel_hi:[1,0,0]
	v_fma_mix_f32 v127, v4, v138, v127 op_sel_hi:[1,0,0]
	v_fma_mix_f32 v26, v3, v26, 0 op_sel:[1,0,0] op_sel_hi:[1,0,0]
	v_cvt_f32_i32_e32 v128, v128
	v_cvt_f32_i32_e32 v136, v136
	v_fma_mix_f32 v137, v3, v137, 0 op_sel:[1,0,0] op_sel_hi:[1,0,0]
	v_cvt_f32_ubyte3_e32 v138, v150
	v_fma_mix_f32 v134, v4, v134, v135 op_sel:[1,0,0] op_sel_hi:[1,0,0]
	v_cvt_f32_i32_e32 v135, v139
	v_fma_mix_f32 v128, v3, v128, 0 op_sel_hi:[1,0,0]
	v_fma_mix_f32 v2, v4, v2, v26 op_sel:[1,0,0] op_sel_hi:[1,0,0]
	v_cvt_f32_i32_e32 v26, v133
	v_fma_mix_f32 v3, v3, v136, 0 op_sel_hi:[1,0,0]
	v_fma_mix_f32 v133, v4, v138, v137 op_sel:[1,0,0] op_sel_hi:[1,0,0]
	v_mul_f32_e32 v27, v27, v187
	v_mul_f32_e32 v134, v134, v193
	v_fma_mix_f32 v128, v4, v135, v128 op_sel_hi:[1,0,0]
	v_mul_f32_e32 v2, v2, v181
	v_fma_mix_f32 v3, v4, v26, v3 op_sel_hi:[1,0,0]
	v_mul_f32_e32 v4, v133, v192
	v_add_f32_e32 v23, v23, v195
	v_fma_mix_f32 v1, v1, v132, -v27 op_sel_hi:[0,1,0]
	v_fma_mix_f32 v26, v127, v129, -v134 op_sel_hi:[0,1,0]
	;; [unrolled: 1-line block ×4, first 2 shown]
	v_add_f32_e32 v107, v107, v1
	v_add_f32_e32 v128, v184, v26
	;; [unrolled: 1-line block ×4, first 2 shown]
	s_barrier
	buffer_gl0_inv
	s_cbranch_scc1 .LBB234_5
; %bb.12:                               ;   in Loop: Header=BB234_6 Depth=1
	v_cmp_gt_i32_e64 s1, s12, v38
	s_and_b32 s4, s0, s1
	s_and_saveexec_b32 s1, s4
	s_cbranch_execz .LBB234_14
; %bb.13:                               ;   in Loop: Header=BB234_6 Depth=1
	v_add_nc_u32_e32 v1, v49, v38
	v_mad_i64_i32 v[1:2], null, v1, 36, v[21:22]
	global_load_dword v1, v[1:2], off offset:4
	s_waitcnt vmcnt(0)
	ds_write_b32 v37, v1
.LBB234_14:                             ;   in Loop: Header=BB234_6 Depth=1
	s_or_b32 exec_lo, exec_lo, s1
	s_and_saveexec_b32 s4, vcc_lo
	s_cbranch_execz .LBB234_4
; %bb.15:                               ;   in Loop: Header=BB234_6 Depth=1
	v_add_nc_u32_e32 v1, 4, v126
	v_cmp_gt_i32_e64 s1, s12, v1
	s_and_b32 s1, s0, s1
	s_and_b32 exec_lo, exec_lo, s1
	s_cbranch_execz .LBB234_4
; %bb.16:                               ;   in Loop: Header=BB234_6 Depth=1
	v_ashrrev_i32_e32 v1, 31, v126
	v_add_co_u32 v2, s1, v49, v126
	v_add_co_ci_u32_e64 v3, null, v50, v1, s1
	v_mad_u64_u32 v[1:2], null, v2, 36, s[6:7]
	v_mad_i32_i24 v2, v3, 36, v2
	global_load_dword v1, v[1:2], off offset:144
	v_add_nc_u32_e32 v2, v36, v39
	s_waitcnt vmcnt(0)
	ds_write_b32 v2, v1
	s_branch .LBB234_4
.LBB234_17:
	s_mul_i32 s0, s14, s11
	s_waitcnt vmcnt(0)
	v_cmp_gt_i32_e32 vcc_lo, s0, v28
	s_and_saveexec_b32 s0, vcc_lo
	s_cbranch_execz .LBB234_26
; %bb.18:
	v_add_nc_u32_e32 v1, s3, v0
	v_mul_lo_u32 v0, v28, s13
	s_mov_b32 s0, exec_lo
	v_cmpx_gt_u32_e64 s13, v1
	s_cbranch_execz .LBB234_20
; %bb.19:
	v_add_nc_u32_e32 v2, v0, v1
	v_mov_b32_e32 v3, 0
	v_bfe_u32 v4, v107, 16, 1
	v_cmp_o_f32_e32 vcc_lo, v107, v107
	v_mov_b32_e32 v5, 0x7fc0
	v_lshlrev_b64 v[2:3], 1, v[2:3]
	v_add3_u32 v4, v107, v4, 0x7fff
	v_cndmask_b32_sdwa v4, v5, v4, vcc_lo dst_sel:DWORD dst_unused:UNUSED_PAD src0_sel:DWORD src1_sel:WORD_1
	v_add_co_u32 v2, vcc_lo, s16, v2
	v_add_co_ci_u32_e64 v3, null, s17, v3, vcc_lo
	global_store_short v[2:3], v4, off
.LBB234_20:
	s_or_b32 exec_lo, exec_lo, s0
	v_add_nc_u32_e32 v2, 32, v1
	s_mov_b32 s0, exec_lo
	v_cmpx_gt_u32_e64 s13, v2
	s_cbranch_execz .LBB234_22
; %bb.21:
	v_add_nc_u32_e32 v2, v0, v2
	v_mov_b32_e32 v3, 0
	v_bfe_u32 v4, v128, 16, 1
	v_cmp_o_f32_e32 vcc_lo, v128, v128
	v_mov_b32_e32 v5, 0x7fc0
	v_lshlrev_b64 v[2:3], 1, v[2:3]
	v_add3_u32 v4, v128, v4, 0x7fff
	v_cndmask_b32_sdwa v4, v5, v4, vcc_lo dst_sel:DWORD dst_unused:UNUSED_PAD src0_sel:DWORD src1_sel:WORD_1
	v_add_co_u32 v2, vcc_lo, s16, v2
	v_add_co_ci_u32_e64 v3, null, s17, v3, vcc_lo
	global_store_short v[2:3], v4, off
.LBB234_22:
	s_or_b32 exec_lo, exec_lo, s0
	v_add_nc_u32_e32 v2, 64, v1
	;; [unrolled: 18-line block ×3, first 2 shown]
	v_cmp_gt_u32_e32 vcc_lo, s13, v1
	s_and_b32 exec_lo, exec_lo, vcc_lo
	s_cbranch_execz .LBB234_26
; %bb.25:
	v_add_nc_u32_e32 v0, v0, v1
	v_mov_b32_e32 v1, 0
	v_bfe_u32 v2, v23, 16, 1
	v_cmp_o_f32_e32 vcc_lo, v23, v23
	v_mov_b32_e32 v3, 0x7fc0
	v_lshlrev_b64 v[0:1], 1, v[0:1]
	v_add3_u32 v2, v23, v2, 0x7fff
	v_cndmask_b32_sdwa v2, v3, v2, vcc_lo dst_sel:DWORD dst_unused:UNUSED_PAD src0_sel:DWORD src1_sel:WORD_1
	v_add_co_u32 v0, vcc_lo, s16, v0
	v_add_co_ci_u32_e64 v1, null, s17, v1, vcc_lo
	global_store_short v[0:1], v2, off
.LBB234_26:
	s_endpgm
	.section	.rodata,"a",@progbits
	.p2align	6, 0x0
	.amdhsa_kernel _ZL8moe_q5_KIN3c108BFloat16ELb1EEvPKvS3_PT_PKiS7_S7_iiiiiii
		.amdhsa_group_segment_fixed_size 37072
		.amdhsa_private_segment_fixed_size 0
		.amdhsa_kernarg_size 76
		.amdhsa_user_sgpr_count 6
		.amdhsa_user_sgpr_private_segment_buffer 1
		.amdhsa_user_sgpr_dispatch_ptr 0
		.amdhsa_user_sgpr_queue_ptr 0
		.amdhsa_user_sgpr_kernarg_segment_ptr 1
		.amdhsa_user_sgpr_dispatch_id 0
		.amdhsa_user_sgpr_flat_scratch_init 0
		.amdhsa_user_sgpr_private_segment_size 0
		.amdhsa_wavefront_size32 1
		.amdhsa_uses_dynamic_stack 0
		.amdhsa_system_sgpr_private_segment_wavefront_offset 0
		.amdhsa_system_sgpr_workgroup_id_x 1
		.amdhsa_system_sgpr_workgroup_id_y 1
		.amdhsa_system_sgpr_workgroup_id_z 0
		.amdhsa_system_sgpr_workgroup_info 0
		.amdhsa_system_vgpr_workitem_id 1
		.amdhsa_next_free_vgpr 198
		.amdhsa_next_free_sgpr 24
		.amdhsa_reserve_vcc 1
		.amdhsa_reserve_flat_scratch 0
		.amdhsa_float_round_mode_32 0
		.amdhsa_float_round_mode_16_64 0
		.amdhsa_float_denorm_mode_32 3
		.amdhsa_float_denorm_mode_16_64 3
		.amdhsa_dx10_clamp 1
		.amdhsa_ieee_mode 1
		.amdhsa_fp16_overflow 0
		.amdhsa_workgroup_processor_mode 1
		.amdhsa_memory_ordered 1
		.amdhsa_forward_progress 1
		.amdhsa_shared_vgpr_count 0
		.amdhsa_exception_fp_ieee_invalid_op 0
		.amdhsa_exception_fp_denorm_src 0
		.amdhsa_exception_fp_ieee_div_zero 0
		.amdhsa_exception_fp_ieee_overflow 0
		.amdhsa_exception_fp_ieee_underflow 0
		.amdhsa_exception_fp_ieee_inexact 0
		.amdhsa_exception_int_div_zero 0
	.end_amdhsa_kernel
	.section	.text._ZL8moe_q5_KIN3c108BFloat16ELb1EEvPKvS3_PT_PKiS7_S7_iiiiiii,"axG",@progbits,_ZL8moe_q5_KIN3c108BFloat16ELb1EEvPKvS3_PT_PKiS7_S7_iiiiiii,comdat
.Lfunc_end234:
	.size	_ZL8moe_q5_KIN3c108BFloat16ELb1EEvPKvS3_PT_PKiS7_S7_iiiiiii, .Lfunc_end234-_ZL8moe_q5_KIN3c108BFloat16ELb1EEvPKvS3_PT_PKiS7_S7_iiiiiii
                                        ; -- End function
	.set _ZL8moe_q5_KIN3c108BFloat16ELb1EEvPKvS3_PT_PKiS7_S7_iiiiiii.num_vgpr, 198
	.set _ZL8moe_q5_KIN3c108BFloat16ELb1EEvPKvS3_PT_PKiS7_S7_iiiiiii.num_agpr, 0
	.set _ZL8moe_q5_KIN3c108BFloat16ELb1EEvPKvS3_PT_PKiS7_S7_iiiiiii.numbered_sgpr, 24
	.set _ZL8moe_q5_KIN3c108BFloat16ELb1EEvPKvS3_PT_PKiS7_S7_iiiiiii.num_named_barrier, 0
	.set _ZL8moe_q5_KIN3c108BFloat16ELb1EEvPKvS3_PT_PKiS7_S7_iiiiiii.private_seg_size, 0
	.set _ZL8moe_q5_KIN3c108BFloat16ELb1EEvPKvS3_PT_PKiS7_S7_iiiiiii.uses_vcc, 1
	.set _ZL8moe_q5_KIN3c108BFloat16ELb1EEvPKvS3_PT_PKiS7_S7_iiiiiii.uses_flat_scratch, 0
	.set _ZL8moe_q5_KIN3c108BFloat16ELb1EEvPKvS3_PT_PKiS7_S7_iiiiiii.has_dyn_sized_stack, 0
	.set _ZL8moe_q5_KIN3c108BFloat16ELb1EEvPKvS3_PT_PKiS7_S7_iiiiiii.has_recursion, 0
	.set _ZL8moe_q5_KIN3c108BFloat16ELb1EEvPKvS3_PT_PKiS7_S7_iiiiiii.has_indirect_call, 0
	.section	.AMDGPU.csdata,"",@progbits
; Kernel info:
; codeLenInByte = 12288
; TotalNumSgprs: 26
; NumVgprs: 198
; ScratchSize: 0
; MemoryBound: 0
; FloatMode: 240
; IeeeMode: 1
; LDSByteSize: 37072 bytes/workgroup (compile time only)
; SGPRBlocks: 0
; VGPRBlocks: 24
; NumSGPRsForWavesPerEU: 26
; NumVGPRsForWavesPerEU: 198
; Occupancy: 4
; WaveLimiterHint : 1
; COMPUTE_PGM_RSRC2:SCRATCH_EN: 0
; COMPUTE_PGM_RSRC2:USER_SGPR: 6
; COMPUTE_PGM_RSRC2:TRAP_HANDLER: 0
; COMPUTE_PGM_RSRC2:TGID_X_EN: 1
; COMPUTE_PGM_RSRC2:TGID_Y_EN: 1
; COMPUTE_PGM_RSRC2:TGID_Z_EN: 0
; COMPUTE_PGM_RSRC2:TIDIG_COMP_CNT: 1
	.section	.text._ZL8moe_q6_KIN3c108BFloat16ELb0EEvPKvS3_PT_PKiS7_S7_iiiiiii,"axG",@progbits,_ZL8moe_q6_KIN3c108BFloat16ELb0EEvPKvS3_PT_PKiS7_S7_iiiiiii,comdat
	.globl	_ZL8moe_q6_KIN3c108BFloat16ELb0EEvPKvS3_PT_PKiS7_S7_iiiiiii ; -- Begin function _ZL8moe_q6_KIN3c108BFloat16ELb0EEvPKvS3_PT_PKiS7_S7_iiiiiii
	.p2align	8
	.type	_ZL8moe_q6_KIN3c108BFloat16ELb0EEvPKvS3_PT_PKiS7_S7_iiiiiii,@function
_ZL8moe_q6_KIN3c108BFloat16ELb0EEvPKvS3_PT_PKiS7_S7_iiiiiii: ; @_ZL8moe_q6_KIN3c108BFloat16ELb0EEvPKvS3_PT_PKiS7_S7_iiiiiii
; %bb.0:
	s_load_dwordx4 s[0:3], s[4:5], 0x18
	s_mov_b32 s8, s7
	s_mov_b32 s9, 0
	s_lshl_b64 s[10:11], s[8:9], 2
	s_waitcnt lgkmcnt(0)
	s_add_u32 s2, s2, s10
	s_addc_u32 s3, s3, s11
	s_load_dword s14, s[2:3], 0x0
	s_waitcnt lgkmcnt(0)
	s_cmpk_gt_u32 s14, 0xff
	s_cbranch_scc1 .LBB235_26
; %bb.1:
	s_load_dwordx2 s[2:3], s[4:5], 0x28
	s_waitcnt lgkmcnt(0)
	s_load_dword s3, s[2:3], 0x0
	s_lshl_b32 s2, s8, 3
	s_waitcnt lgkmcnt(0)
	s_cmp_gt_u32 s2, s3
	s_cbranch_scc1 .LBB235_26
; %bb.2:
	v_add_nc_u32_e32 v3, s2, v1
	v_mov_b32_e32 v4, 0
	s_lshl_b32 s16, s6, 7
	v_lshlrev_b64 v[2:3], 2, v[3:4]
	v_mov_b32_e32 v93, v4
	v_mov_b32_e32 v100, v4
	;; [unrolled: 1-line block ×3, first 2 shown]
	v_add_co_u32 v2, vcc_lo, s0, v2
	v_add_co_ci_u32_e64 v3, null, s1, v3, vcc_lo
	global_load_dword v5, v[2:3], off
	s_clause 0x2
	s_load_dwordx2 s[12:13], s[4:5], 0x30
	s_load_dwordx2 s[2:3], s[4:5], 0x10
	s_load_dwordx4 s[8:11], s[4:5], 0x3c
	s_waitcnt lgkmcnt(0)
	s_cmpk_lt_i32 s13, 0x100
	s_cbranch_scc1 .LBB235_17
; %bb.3:
	s_ashr_i32 s0, s13, 31
	s_mul_i32 s12, s14, s12
	s_lshr_b32 s0, s0, 24
	s_abs_i32 s14, s11
	s_add_i32 s0, s13, s0
	v_and_b32_e32 v3, 31, v0
	s_ashr_i32 s17, s0, 8
	v_lshlrev_b32_e32 v10, 3, v1
	s_lshl_b32 s0, s17, 3
	v_lshrrev_b32_e32 v11, 2, v0
	v_cvt_f32_u32_e32 v13, s14
	v_mad_i32_i24 v4, s17, v1, s0
	v_lshl_add_u32 v9, v1, 5, v0
	v_lshlrev_b32_e32 v14, 1, v3
	v_add_nc_u32_e32 v18, v11, v10
	v_add_nc_u16 v10, v11, v10
	v_rcp_iflag_f32_e32 v11, v13
	v_add_nc_u32_e32 v40, s0, v4
	v_add_nc_u16 v15, v3, -16
	v_cmp_gt_u32_e32 vcc_lo, 16, v3
	v_and_b32_e32 v16, 0x7f, v9
	v_add_nc_u32_e32 v17, 0xe0, v14
	v_lshrrev_b32_e32 v9, 3, v9
	v_add_nc_u32_e32 v44, s0, v40
	v_lshlrev_b32_e32 v100, 2, v3
	v_cndmask_b32_e32 v3, v15, v3, vcc_lo
	v_cndmask_b32_e32 v15, v17, v14, vcc_lo
	v_and_b32_e32 v17, 12, v9
	v_mul_f32_e32 v9, 0x4f7ffffe, v11
	v_add_nc_u32_e32 v48, s0, v44
	s_sub_i32 s15, 0, s14
	v_cmp_lt_u16_e32 vcc_lo, 7, v3
	v_lshlrev_b32_e32 v19, 2, v16
	v_cvt_u32_f32_e32 v21, v9
	v_add_nc_u32_e32 v52, s0, v48
	v_mul_i32_i24_e32 v101, s17, v16
	v_and_b32_e32 v12, 3, v0
	v_add3_u32 v16, v19, v17, 0x8e40
	v_mul_lo_u32 v3, s15, v21
	v_add_nc_u32_e32 v56, s0, v52
	s_waitcnt vmcnt(0)
	v_sub_nc_u32_e32 v19, 0, v5
	v_lshrrev_b32_e32 v2, 5, v0
	v_lshlrev_b32_e32 v107, 2, v12
	v_and_b32_e32 v18, 0x7f, v18
	v_add_nc_u32_e32 v60, s0, v56
	v_max_i32_e32 v27, v5, v19
	v_mul_hi_u32 v3, v21, v3
	v_lshrrev_b16 v20, 1, v10
	v_lshl_or_b32 v23, v18, 4, v107
	v_add_nc_u32_e32 v64, s0, v60
	v_lshlrev_b32_e32 v33, 2, v0
	v_add_nc_u32_e32 v28, 32, v0
	v_and_b32_e32 v20, 60, v20
	v_lshlrev_b32_e32 v30, 2, v2
	v_add_nc_u32_e32 v3, v21, v3
	v_add_nc_u32_e32 v68, s0, v64
	;; [unrolled: 1-line block ×3, first 2 shown]
	v_add3_u32 v17, v23, v20, 0x8200
	v_lshrrev_b32_e32 v23, 3, v28
	v_mul_hi_u32 v3, v27, v3
	v_add_nc_u32_e32 v72, s0, v68
	v_lshlrev_b32_e32 v28, 4, v28
	s_ashr_i32 s1, s9, 31
	v_lshlrev_b32_e32 v31, 2, v23
	v_add_nc_u32_e32 v41, 0x60, v0
	v_add_nc_u32_e32 v76, s0, v72
	s_lshr_b32 s1, s1, 27
	v_mul_lo_u32 v29, v3, s14
	v_add3_u32 v28, v28, v31, 0x8200
	v_lshrrev_b32_e32 v31, 3, v32
	v_add_nc_u32_e32 v80, s0, v76
	v_xor_b32_e32 v39, s11, v5
	s_load_dwordx4 s[4:7], s[4:5], 0x0
	s_add_i32 s1, s9, s1
	v_lshlrev_b32_e32 v38, 2, v31
	v_add_nc_u32_e32 v84, s0, v80
	v_sub_nc_u32_e32 v29, v27, v29
	v_add3_u32 v27, v33, v30, 0x8e40
	v_add_nc_u32_e32 v30, 1, v3
	s_ashr_i32 s9, s1, 5
	v_add_nc_u32_e32 v88, s0, v84
	v_subrev_nc_u32_e32 v37, s14, v29
	v_cmp_le_u32_e64 s0, s14, v29
	s_mul_i32 s1, s17, s16
	v_lshlrev_b32_e32 v32, 4, v32
	v_ashrrev_i32_e32 v39, 31, v39
	s_mul_hi_i32 s15, s1, 0xd2
	v_cndmask_b32_e64 v3, v3, v30, s0
	v_cndmask_b32_e64 v29, v29, v37, s0
	v_and_b32_e32 v30, 60, v23
	v_and_b32_e32 v34, 7, v0
	;; [unrolled: 1-line block ×3, first 2 shown]
	v_add_nc_u32_e32 v37, 1, v3
	v_cmp_le_u32_e64 s0, s14, v29
	s_mul_i32 s14, s1, 0xd2
	v_add3_u32 v29, v33, v30, 0x8e40
	v_mad_u64_u32 v[90:91], null, 0xd2, v2, s[14:15]
	v_cndmask_b32_e64 v3, v3, v37, s0
	v_lshrrev_b32_e32 v37, 3, v41
	v_add3_u32 v30, v32, v38, 0x8200
	v_mul_i32_i24_e32 v35, s17, v1
	v_lshlrev_b32_e32 v38, 4, v41
	v_xor_b32_e32 v3, v3, v39
	v_lshlrev_b32_e32 v32, 2, v37
	v_and_b32_e32 v37, 60, v37
	v_add_nc_u32_e32 v19, 0x9050, v33
	v_and_b32_e32 v36, 28, v33
	v_add3_u32 v31, v33, v31, 0x8e40
	v_lshlrev_b32_e32 v2, 1, v0
	v_add3_u32 v33, v33, v37, 0x8e40
	v_lshlrev_b32_e32 v37, 2, v34
	v_sub_nc_u32_e32 v3, v3, v39
	v_add3_u32 v32, v38, v32, 0x8200
	v_mad_u64_u32 v[38:39], null, 0xd2, v35, v[90:91]
	v_and_or_b32 v96, v2, 32, v37
	s_waitcnt lgkmcnt(0)
	v_add_co_u32 v2, s1, s6, v36
	v_cmp_gt_i32_e64 s0, s8, v3
	v_mul_lo_u32 v34, v3, s9
	v_add_co_ci_u32_e64 v3, null, s7, 0, s1
	v_add_co_u32 v36, s1, v38, v96
	v_add_co_ci_u32_e64 v37, null, 0, v39, s1
	v_mad_u64_u32 v[42:43], null, 0xd2, v4, v[90:91]
	v_add_co_u32 v36, s1, s4, v36
	v_add_co_ci_u32_e64 v37, null, s5, v37, s1
	v_mad_u64_u32 v[46:47], null, 0xd2, v40, v[90:91]
	v_add_co_u32 v36, s1, 0x80, v36
	v_add_co_ci_u32_e64 v37, null, 0, v37, s1
	v_add_co_u32 v4, s1, v38, v100
	v_add_co_ci_u32_e64 v39, null, 0, v39, s1
	v_add_co_u32 v41, s1, v42, v96
	v_add_co_ci_u32_e64 v45, null, 0, v43, s1
	v_add_co_u32 v38, s1, s4, v4
	v_add_co_ci_u32_e64 v39, null, s5, v39, s1
	v_add_co_u32 v4, s1, s4, v41
	v_add_co_ci_u32_e64 v41, null, s5, v45, s1
	v_mad_u64_u32 v[50:51], null, 0xd2, v44, v[90:91]
	v_add_co_u32 v40, s1, 0x80, v4
	v_add_co_ci_u32_e64 v41, null, 0, v41, s1
	v_add_co_u32 v4, s1, v42, v100
	v_add_co_ci_u32_e64 v43, null, 0, v43, s1
	v_add_co_u32 v45, s1, v46, v96
	v_add_co_ci_u32_e64 v49, null, 0, v47, s1
	v_add_co_u32 v42, s1, s4, v4
	v_add_co_ci_u32_e64 v43, null, s5, v43, s1
	;; [unrolled: 11-line block ×12, first 2 shown]
	v_add_co_u32 v4, s1, s4, v85
	v_add_co_ci_u32_e64 v85, null, s5, v89, s1
	v_xor_b32_e32 v22, 64, v18
	v_add_co_u32 v84, s1, 0x80, v4
	v_add_co_ci_u32_e64 v85, null, 0, v85, s1
	v_add_co_u32 v4, s1, v86, v100
	v_add_co_ci_u32_e64 v87, null, 0, v87, s1
	;; [unrolled: 2-line block ×3, first 2 shown]
	v_add_co_u32 v86, s1, s4, v4
	v_mul_i32_i24_e32 v103, s17, v18
	v_lshrrev_b32_e32 v18, 1, v22
	v_add_co_ci_u32_e64 v87, null, s5, v87, s1
	v_add_co_u32 v4, s1, s4, v89
	v_add_co_ci_u32_e64 v89, null, s5, v94, s1
	v_mad_u64_u32 v[94:95], null, 0xd2, v88, v[90:91]
	v_lshl_or_b32 v20, v22, 4, v107
	v_and_b32_e32 v18, 60, v18
	v_add_co_u32 v88, s1, 0x80, v4
	s_mul_i32 s20, s17, 0x78
	v_add_co_ci_u32_e64 v89, null, 0, v89, s1
	v_add_co_u32 v4, s1, v92, v100
	v_mul_u32_u24_e32 v8, 0x41, v1
	v_and_b32_e32 v12, 0xfe, v15
	v_add3_u32 v18, v20, v18, 0x8200
	v_lshl_add_u32 v20, v1, 7, 0x8a40
	v_lshlrev_b32_e32 v24, 4, v1
	v_mad_i32_i24 v1, s17, v1, s20
	v_add_co_ci_u32_e64 v92, null, 0, v93, s1
	v_add_co_u32 v93, s1, v94, v96
	v_add_co_ci_u32_e64 v97, null, 0, v95, s1
	v_and_b32_e32 v7, 15, v0
	v_sub_nc_u32_e32 v12, v14, v12
	v_mad_u64_u32 v[98:99], null, 0xd2, v1, v[90:91]
	v_add_co_u32 v93, s1, s4, v93
	v_add_co_ci_u32_e64 v97, null, s5, v97, s1
	v_add_co_u32 v1, s1, s4, v4
	v_lshlrev_b32_e32 v7, 2, v7
	v_lshlrev_b32_e32 v8, 2, v8
	;; [unrolled: 1-line block ×3, first 2 shown]
	v_add_co_ci_u32_e64 v90, null, s5, v92, s1
	v_add_co_u32 v91, s1, 0x80, v93
	v_add_co_ci_u32_e64 v92, null, 0, v97, s1
	v_add_co_u32 v4, s1, v98, v96
	v_add3_u32 v7, v11, v7, v8
	v_cndmask_b32_e64 v8, 0, 2, vcc_lo
	v_cmp_gt_u32_e32 vcc_lo, 4, v0
	v_add_co_ci_u32_e64 v93, null, 0, v99, s1
	v_add_co_u32 v94, s1, v94, v100
	v_add_co_ci_u32_e64 v95, null, 0, v95, s1
	v_add_co_u32 v4, s1, s4, v4
	s_ashr_i32 s18, s12, 31
	s_and_b32 s19, vcc_lo, s0
	v_add_co_ci_u32_e64 v93, null, s5, v93, s1
	v_add_co_u32 v94, s1, s4, v94
	s_add_u32 s20, s4, s14
	s_addc_u32 s21, s5, s15
	v_mul_i32_i24_e32 v105, s17, v22
	v_add_co_ci_u32_e64 v95, null, s5, v95, s1
	v_add_co_u32 v96, s1, 0x80, v4
	v_mad_u64_u32 v[101:102], null, 0xd2, v101, s[20:21]
	v_add_co_ci_u32_e64 v97, null, 0, v93, s1
	v_add_co_u32 v4, s1, v98, v100
	v_mad_u64_u32 v[103:104], null, 0xd2, v103, 0
	v_add_co_ci_u32_e64 v93, null, 0, v99, s1
	v_mad_u64_u32 v[105:106], null, 0xd2, v105, 0
	v_add_co_u32 v98, s1, s4, v4
	v_add_co_ci_u32_e64 v99, null, s5, v93, s1
	v_add_co_u32 v101, s1, 0xd0, v101
	v_add_co_ci_u32_e64 v102, null, 0, v102, s1
	v_add_co_u32 v4, s1, s14, v103
	v_add_nc_u32_e32 v22, v20, v100
	v_add_co_ci_u32_e64 v93, null, s15, v104, s1
	v_add_co_u32 v100, s1, s14, v105
	v_add_co_ci_u32_e64 v103, null, s15, v106, s1
	v_add_co_u32 v4, s1, v4, v107
	;; [unrolled: 2-line block ×3, first 2 shown]
	v_lshrrev_b32_e32 v21, 3, v0
	v_add_co_ci_u32_e64 v103, null, 0, v103, s1
	v_add_co_u32 v4, s1, s4, v4
	v_add_co_ci_u32_e64 v93, null, s5, v93, s1
	v_add_co_u32 v100, s1, s4, v100
	v_add_nc_u32_e32 v9, 0x30c0, v7
	v_lshlrev_b32_e32 v25, 2, v21
	v_lshlrev_b32_e32 v26, 4, v0
	v_add_co_ci_u32_e64 v106, null, s5, v103, s1
	v_add_co_u32 v103, s1, 0xc0, v4
	v_add_co_ci_u32_e64 v104, null, 0, v93, s1
	v_add_co_u32 v105, s1, 0xc0, v100
	v_mov_b32_e32 v6, 0
	v_add_nc_u32_e32 v10, 0x5140, v7
	v_add_nc_u32_e32 v11, 0x5960, v7
	;; [unrolled: 1-line block ×6, first 2 shown]
	v_add3_u32 v25, v26, v25, 0x8200
	v_mul_u32_u24_e32 v26, 0x104, v0
	v_ashrrev_i32_e32 v35, 31, v34
	v_add_co_ci_u32_e64 v106, null, 0, v106, s1
	v_add_nc_u32_e32 v107, 0x800, v7
	v_add_nc_u32_e32 v108, 0x1000, v7
	;; [unrolled: 1-line block ×8, first 2 shown]
	v_mov_b32_e32 v115, v0
	v_mov_b32_e32 v100, 0
	;; [unrolled: 1-line block ×4, first 2 shown]
	s_movk_i32 s4, 0x80
	s_branch .LBB235_6
.LBB235_4:                              ;   in Loop: Header=BB235_6 Depth=1
	s_or_b32 exec_lo, exec_lo, s5
	s_waitcnt lgkmcnt(0)
	s_barrier
	buffer_gl0_inv
	ds_read2_b32 v[116:117], v26 offset0:44 offset1:45
	ds_read_b128 v[127:130], v20 offset:48
	ds_read_b128 v[131:134], v20 offset:32
	ds_read2_b32 v[118:119], v26 offset0:36 offset1:37
	ds_read2_b32 v[120:121], v26 offset0:40 offset1:41
	ds_read_b128 v[135:138], v20 offset:16
	ds_read_b128 v[139:142], v20
	ds_read2_b32 v[122:123], v26 offset0:46 offset1:47
	ds_read2_b32 v[143:144], v26 offset0:42 offset1:43
	ds_read2_b32 v[145:146], v26 offset0:38 offset1:39
	ds_read2_b32 v[147:148], v26 offset0:34 offset1:35
	ds_read2_b32 v[149:150], v26 offset0:32 offset1:33
	v_mov_b32_e32 v126, 0
	v_add_nc_u32_e32 v124, 0x2130, v26
	v_mov_b32_e32 v125, 0
	v_mov_b32_e32 v177, 0
	v_add_nc_u32_e32 v153, 0x2110, v26
	v_mov_b32_e32 v178, 0
	ds_read2_b32 v[151:152], v124 offset1:1
	v_add_nc_u32_e32 v124, 0x4198, v26
	v_add_nc_u32_e32 v165, 0x41b8, v26
	s_waitcnt lgkmcnt(11)
	v_dot4c_i32_i8 v126, v116, v127
	v_add_nc_u32_e32 v116, 0x2108, v26
	v_mov_b32_e32 v179, 0
	s_waitcnt lgkmcnt(8)
	v_dot4c_i32_i8 v125, v120, v131
	s_waitcnt lgkmcnt(7)
	v_dot4c_i32_i8 v177, v118, v135
	v_dot4c_i32_i8 v126, v117, v128
	v_add_nc_u32_e32 v117, 0x2100, v26
	v_add_nc_u32_e32 v118, 0x2138, v26
	v_dot4c_i32_i8 v125, v121, v132
	v_dot4c_i32_i8 v177, v119, v136
	s_waitcnt lgkmcnt(5)
	v_dot4c_i32_i8 v126, v122, v129
	ds_read2_b32 v[121:122], v153 offset1:1
	ds_read2_b32 v[153:154], v116 offset1:1
	;; [unrolled: 1-line block ×4, first 2 shown]
	v_mov_b32_e32 v116, 0
	s_waitcnt lgkmcnt(5)
	v_dot4c_i32_i8 v178, v149, v139
	v_add_nc_u32_e32 v119, 0x2128, v26
	v_dot4c_i32_i8 v126, v123, v130
	v_dot4c_i32_i8 v125, v143, v133
	s_waitcnt lgkmcnt(4)
	v_dot4c_i32_i8 v116, v151, v127
	v_dot4c_i32_i8 v178, v150, v140
	v_add_nc_u32_e32 v123, 0x2118, v26
	v_add_nc_u32_e32 v120, 0x2120, v26
	v_dot4c_i32_i8 v177, v145, v137
	v_dot4c_i32_i8 v116, v152, v128
	v_dot4c_i32_i8 v178, v147, v141
	ds_read2_b32 v[149:150], v119 offset1:1
	ds_read2_b32 v[119:120], v120 offset1:1
	ds_read2_b32 v[157:158], v124 offset1:1
	v_dot4c_i32_i8 v125, v144, v134
	ds_read2_b32 v[143:144], v123 offset1:1
	v_add_nc_u32_e32 v123, 0x41a8, v26
	v_add_nc_u32_e32 v124, 0x41a0, v26
	v_dot4c_i32_i8 v177, v146, v138
	v_dot4c_i32_i8 v178, v148, v142
	s_waitcnt lgkmcnt(4)
	v_dot4c_i32_i8 v116, v117, v129
	v_add_nc_u32_e32 v117, 0x41b0, v26
	ds_read2_b32 v[145:146], v117 offset1:1
	ds_read2_b32 v[147:148], v123 offset1:1
	;; [unrolled: 1-line block ×3, first 2 shown]
	v_dot4c_i32_i8 v116, v118, v130
	v_mov_b32_e32 v118, 0
	v_add_nc_u32_e32 v117, 0x4190, v26
	v_add_nc_u32_e32 v123, 0x4188, v26
	;; [unrolled: 1-line block ×3, first 2 shown]
	ds_read2_b32 v[159:160], v117 offset1:1
	ds_read2_b32 v[161:162], v123 offset1:1
	;; [unrolled: 1-line block ×4, first 2 shown]
	s_waitcnt lgkmcnt(9)
	v_dot4c_i32_i8 v118, v119, v131
	v_mov_b32_e32 v124, 0
	v_mov_b32_e32 v119, 0
	v_add_nc_u32_e32 v117, 0x6218, v26
	v_mov_b32_e32 v123, 0
	v_dot4c_i32_i8 v118, v120, v132
	v_dot4c_i32_i8 v124, v121, v135
	v_mov_b32_e32 v120, 0
	ds_read2_b32 v[167:168], v117 offset1:1
	ds_read_b32 v117, v33 offset:384
	v_mov_b32_e32 v121, 0
	s_waitcnt lgkmcnt(6)
	v_dot4c_i32_i8 v119, v151, v131
	v_dot4c_i32_i8 v124, v122, v136
	;; [unrolled: 1-line block ×3, first 2 shown]
	v_add_nc_u32_e32 v145, 0x6220, v26
	v_dot4c_i32_i8 v123, v155, v139
	v_dot4c_i32_i8 v119, v152, v132
	;; [unrolled: 1-line block ×3, first 2 shown]
	v_add_nc_u32_e32 v143, 0x6230, v26
	v_dot4c_i32_i8 v120, v146, v128
	s_waitcnt lgkmcnt(5)
	v_dot4c_i32_i8 v121, v159, v135
	v_dot4c_i32_i8 v119, v147, v133
	v_add_nc_u32_e32 v147, 0x6210, v26
	v_dot4c_i32_i8 v124, v144, v138
	v_mov_b32_e32 v122, 0
	v_dot4c_i32_i8 v118, v149, v133
	v_dot4c_i32_i8 v119, v148, v134
	ds_read2_b32 v[143:144], v143 offset1:1
	ds_read2_b32 v[145:146], v145 offset1:1
	;; [unrolled: 1-line block ×3, first 2 shown]
	v_dot4c_i32_i8 v123, v156, v140
	v_dot4c_i32_i8 v121, v160, v136
	s_waitcnt lgkmcnt(6)
	v_dot4c_i32_i8 v122, v163, v139
	v_add_nc_u32_e32 v149, 0x6208, v26
	v_mov_b32_e32 v180, 0
	v_mov_b32_e32 v181, 0
	v_dot4c_i32_i8 v118, v150, v134
	v_add_nc_u32_e32 v150, 0x6200, v26
	v_add_nc_u32_e32 v151, 0x6238, v26
	v_dot4c_i32_i8 v123, v153, v141
	s_waitcnt lgkmcnt(5)
	v_dot4c_i32_i8 v120, v165, v129
	v_dot4c_i32_i8 v121, v157, v137
	;; [unrolled: 1-line block ×3, first 2 shown]
	ds_read2_b32 v[155:156], v149 offset1:1
	ds_read2_b32 v[159:160], v150 offset1:1
	;; [unrolled: 1-line block ×3, first 2 shown]
	v_add_nc_u32_e32 v149, 0x6228, v26
	v_add_nc_u32_e32 v150, 0x6258, v26
	v_dot4c_i32_i8 v123, v154, v142
	s_waitcnt lgkmcnt(5)
	v_dot4c_i32_i8 v179, v143, v127
	s_waitcnt lgkmcnt(4)
	;; [unrolled: 2-line block ×3, first 2 shown]
	v_dot4c_i32_i8 v181, v147, v135
	v_dot4c_i32_i8 v120, v166, v130
	ds_read2_b32 v[165:166], v149 offset1:1
	ds_read2_b32 v[169:170], v150 offset1:1
	v_dot4c_i32_i8 v121, v158, v138
	v_dot4c_i32_i8 v179, v144, v128
	;; [unrolled: 1-line block ×4, first 2 shown]
	ds_read_b128 v[143:146], v20 offset:80
	ds_read_b128 v[147:150], v20 offset:64
	ds_read2_b32 v[131:132], v26 offset0:52 offset1:53
	ds_read_b128 v[151:154], v20 offset:112
	ds_read2_b32 v[135:136], v26 offset0:62 offset1:63
	ds_read2_b32 v[157:158], v26 offset0:60 offset1:61
	;; [unrolled: 1-line block ×5, first 2 shown]
	v_mov_b32_e32 v182, 0
	v_mov_b32_e32 v183, 0
	v_dot4c_i32_i8 v122, v161, v141
	v_dot4c_i32_i8 v181, v167, v137
	v_mov_b32_e32 v167, 0
	s_waitcnt lgkmcnt(12)
	v_dot4c_i32_i8 v182, v159, v139
	v_add_nc_u32_e32 v139, 0x6240, v26
	s_waitcnt lgkmcnt(11)
	v_dot4c_i32_i8 v179, v163, v129
	v_dot4c_i32_i8 v181, v168, v138
	v_mov_b32_e32 v168, 0
	v_dot4c_i32_i8 v182, v160, v140
	v_dot4c_i32_i8 v122, v162, v142
	;; [unrolled: 1-line block ×3, first 2 shown]
	s_waitcnt lgkmcnt(6)
	v_dot4c_i32_i8 v167, v131, v143
	v_add_nc_u32_e32 v131, 0x6250, v26
	v_dot4c_i32_i8 v180, v165, v133
	s_waitcnt lgkmcnt(3)
	v_dot4c_i32_i8 v168, v157, v151
	v_add_nc_u32_e32 v133, 0x6270, v26
	v_dot4c_i32_i8 v167, v132, v144
	ds_read2_b32 v[131:132], v131 offset1:1
	ds_read2_b32 v[139:140], v139 offset1:1
	v_dot4c_i32_i8 v168, v158, v152
	v_dot4c_i32_i8 v180, v166, v134
	;; [unrolled: 1-line block ×3, first 2 shown]
	s_waitcnt lgkmcnt(2)
	v_dot4c_i32_i8 v183, v175, v147
	v_add_nc_u32_e32 v157, 0x6278, v26
	v_dot4c_i32_i8 v168, v135, v153
	ds_read2_b32 v[134:135], v133 offset1:1
	v_add_nc_u32_e32 v133, 0x6248, v26
	ds_read_b128 v[127:130], v20 offset:96
	ds_read2_b32 v[137:138], v26 offset0:58 offset1:59
	v_dot4c_i32_i8 v182, v156, v142
	v_dot4c_i32_i8 v167, v171, v145
	;; [unrolled: 1-line block ×3, first 2 shown]
	ds_read_b32 v171, v31 offset:256
	ds_read2_b32 v[141:142], v32 offset0:2 offset1:3
	ds_read2_b32 v[155:156], v133 offset1:1
	ds_read2_b32 v[157:158], v157 offset1:1
	v_mov_b32_e32 v165, 0
	v_add_nc_u32_e32 v159, 0x6260, v26
	v_dot4c_i32_i8 v167, v172, v146
	v_dot4c_i32_i8 v183, v173, v149
	v_mov_b32_e32 v173, 0
	s_waitcnt lgkmcnt(8)
	v_dot4c_i32_i8 v165, v131, v143
	v_mov_b32_e32 v172, 0
	ds_read2_b32 v[159:160], v159 offset1:1
	v_add_nc_u32_e32 v131, 0x6268, v26
	s_waitcnt lgkmcnt(8)
	v_dot4c_i32_i8 v173, v139, v147
	v_dot4c_i32_i8 v165, v132, v144
	v_add_nc_u32_e32 v133, 0x2158, v26
	s_waitcnt lgkmcnt(7)
	v_dot4c_i32_i8 v172, v134, v151
	ds_read2_b32 v[161:162], v131 offset1:1
	ds_read2_b32 v[163:164], v133 offset1:1
	v_dot4c_i32_i8 v173, v140, v148
	v_dot4c_i32_i8 v165, v169, v145
	;; [unrolled: 1-line block ×3, first 2 shown]
	s_waitcnt lgkmcnt(5)
	v_bfe_i32 v135, v141, 8, 8
	v_bfe_i32 v139, v142, 8, 8
	s_waitcnt lgkmcnt(4)
	v_dot4c_i32_i8 v173, v155, v149
	v_dot4c_i32_i8 v165, v170, v146
	ds_read_b128 v[131:134], v24 offset:36944
	v_mul_lo_u32 v135, v181, v135
	v_mov_b32_e32 v169, 0
	v_dot4c_i32_i8 v173, v156, v150
	ds_read2_b32 v[155:156], v25 offset0:2 offset1:3
	v_bfe_i32 v140, v141, 0, 8
	v_mul_lo_u32 v139, v165, v139
	s_waitcnt lgkmcnt(5)
	v_dot4c_i32_i8 v172, v157, v153
	s_waitcnt lgkmcnt(4)
	v_dot4c_i32_i8 v169, v159, v127
	v_bfe_i32 v157, v142, 0, 8
	v_mad_u64_u32 v[165:166], null, v182, v140, v[135:136]
	v_ashrrev_i32_e32 v135, 24, v141
	v_dot4c_i32_i8 v169, v160, v128
	ds_read2_b32 v[159:160], v26 offset0:56 offset1:57
	v_mad_u64_u32 v[139:140], null, v173, v157, v[139:140]
	v_mul_lo_u32 v135, v179, v135
	v_dot4c_i32_i8 v172, v158, v154
	v_cvt_f32_i32_e32 v140, v165
	v_ashrrev_i32_e32 v157, 24, v142
	v_bfe_i32 v141, v141, 16, 8
	s_waitcnt lgkmcnt(4)
	v_dot4c_i32_i8 v169, v161, v129
	v_cvt_f32_i32_e32 v158, v139
	s_waitcnt lgkmcnt(2)
	v_fma_f32 v170, v131, v140, 0
	v_mul_lo_u32 v139, v172, v157
	v_mad_u64_u32 v[140:141], null, v180, v141, v[135:136]
	s_waitcnt lgkmcnt(1)
	v_bfe_i32 v135, v155, 8, 8
	v_dot4c_i32_i8 v169, v162, v130
	v_bfe_i32 v141, v142, 16, 8
	v_mov_b32_e32 v161, 0
	v_bfe_i32 v157, v156, 8, 8
	v_mul_lo_u32 v135, v177, v135
	v_fma_f32 v172, v133, v158, 0
	v_mad_u64_u32 v[141:142], null, v169, v141, v[139:140]
	v_cvt_f32_i32_e32 v142, v140
	v_bfe_i32 v140, v155, 0, 8
	s_waitcnt lgkmcnt(0)
	v_dot4c_i32_i8 v161, v159, v127
	v_mul_lo_u32 v139, v167, v157
	v_dot4c_i32_i8 v168, v136, v154
	v_dot4c_i32_i8 v183, v174, v150
	v_mad_u64_u32 v[157:158], null, v178, v140, v[135:136]
	v_dot4c_i32_i8 v161, v160, v128
	v_cvt_f32_i32_e32 v135, v141
	v_ashrrev_i32_e32 v136, 24, v156
	v_bfe_i32 v159, v156, 0, 8
	v_bfe_i32 v156, v156, 16, 8
	v_dot4c_i32_i8 v161, v137, v129
	v_fmac_f32_e32 v172, v134, v135
	v_cvt_f32_i32_e32 v135, v157
	v_add_nc_u32_e32 v137, 0x2150, v26
	v_mad_u64_u32 v[139:140], null, v183, v159, v[139:140]
	v_dot4c_i32_i8 v161, v138, v130
	v_fma_f32 v173, v131, v135, 0
	v_mul_lo_u32 v135, v168, v136
	ds_read2_b32 v[136:137], v137 offset1:1
	v_ashrrev_i32_e32 v138, 24, v155
	v_bfe_i32 v157, v155, 16, 8
	v_fmac_f32_e32 v170, v132, v142
	v_cvt_f32_i32_e32 v142, v139
	v_add_nc_u32_e32 v139, 0x2148, v26
	v_mul_lo_u32 v126, v126, v138
	v_add_nc_u32_e32 v140, 0x2140, v26
	ds_read2_b32 v[138:139], v139 offset1:1
	ds_read2_b32 v[140:141], v140 offset1:1
	v_mov_b32_e32 v162, 0
	v_mov_b32_e32 v165, 0
	v_mad_u64_u32 v[125:126], null, v125, v157, v[126:127]
	v_add_nc_u32_e32 v126, 0x2178, v26
	v_fma_f32 v142, v133, v142, 0
	v_mov_b32_e32 v176, 0
	v_mov_b32_e32 v177, 0
	s_waitcnt lgkmcnt(2)
	v_mad_u64_u32 v[155:156], null, v161, v156, v[135:136]
	ds_read_b32 v174, v27
	ds_read_b32 v175, v29 offset:128
	ds_read2_b32 v[156:157], v30 offset0:2 offset1:3
	ds_read2_b32 v[158:159], v28 offset0:2 offset1:3
	ds_read2_b32 v[160:161], v126 offset1:1
	v_add_nc_u32_e32 v135, 0x2170, v26
	v_dot4c_i32_i8 v162, v136, v143
	v_add_nc_u32_e32 v126, 0x2160, v26
	v_add_nc_u32_e32 v166, 0x41c8, v26
	;; [unrolled: 1-line block ×3, first 2 shown]
	ds_read2_b32 v[135:136], v135 offset1:1
	v_dot4c_i32_i8 v162, v137, v144
	v_cvt_f32_i32_e32 v137, v155
	v_cvt_f32_i32_e32 v155, v125
	ds_read2_b32 v[125:126], v126 offset1:1
	s_waitcnt lgkmcnt(7)
	v_dot4c_i32_i8 v165, v140, v147
	v_dot4c_i32_i8 v162, v163, v145
	v_fmac_f32_e32 v142, v134, v137
	v_add_nc_u32_e32 v137, 0x2168, v26
	v_add_nc_u32_e32 v140, 0x41d8, v26
	v_dot4c_i32_i8 v165, v141, v148
	v_dot4c_i32_i8 v162, v164, v146
	v_fmac_f32_e32 v173, v132, v155
	s_waitcnt lgkmcnt(3)
	v_bfe_i32 v163, v158, 8, 8
	v_bfe_i32 v164, v159, 8, 8
	v_dot4c_i32_i8 v165, v138, v149
	ds_read2_b32 v[137:138], v137 offset1:1
	ds_read2_b32 v[140:141], v140 offset1:1
	v_add_nc_u32_e32 v155, 0x41e0, v26
	v_mul_lo_u32 v124, v124, v163
	v_mov_b32_e32 v178, 0
	s_waitcnt lgkmcnt(3)
	v_dot4c_i32_i8 v176, v135, v151
	v_mul_lo_u32 v135, v162, v164
	v_bfe_i32 v162, v158, 0, 8
	v_dot4c_i32_i8 v165, v139, v150
	v_bfe_i32 v139, v159, 0, 8
	s_waitcnt lgkmcnt(2)
	v_dot4c_i32_i8 v177, v125, v127
	v_dot4c_i32_i8 v176, v136, v152
	v_mad_u64_u32 v[123:124], null, v123, v162, v[124:125]
	v_add_nc_u32_e32 v124, 0x41d0, v26
	v_add_nc_u32_e32 v125, 0x41f0, v26
	v_mad_u64_u32 v[135:136], null, v165, v139, v[135:136]
	v_dot4c_i32_i8 v177, v126, v128
	v_dot4c_i32_i8 v176, v160, v153
	v_cvt_f32_i32_e32 v139, v123
	ds_read2_b32 v[123:124], v124 offset1:1
	ds_read2_b32 v[125:126], v125 offset1:1
	v_add_nc_u32_e32 v160, 0x41c0, v26
	s_waitcnt lgkmcnt(3)
	v_dot4c_i32_i8 v177, v137, v129
	v_cvt_f32_i32_e32 v137, v135
	v_add_nc_u32_e32 v135, 0x41e8, v26
	ds_read2_b32 v[135:136], v135 offset1:1
	ds_read2_b32 v[162:163], v155 offset1:1
	;; [unrolled: 1-line block ×5, first 2 shown]
	v_dot4c_i32_i8 v177, v138, v130
	v_fma_f32 v138, v131, v139, 0
	v_mov_b32_e32 v139, 0
	v_bfe_i32 v155, v158, 16, 8
	v_ashrrev_i32_e32 v158, 24, v158
	v_dot4c_i32_i8 v176, v161, v154
	v_mov_b32_e32 v161, 0
	v_bfe_i32 v160, v159, 16, 8
	v_ashrrev_i32_e32 v159, 24, v159
	v_mul_lo_u32 v116, v116, v158
	s_waitcnt lgkmcnt(5)
	v_dot4c_i32_i8 v139, v125, v151
	v_mov_b32_e32 v151, 0
	v_fma_f32 v137, v133, v137, 0
	v_fmac_f32_e32 v6, v174, v173
	v_fmac_f32_e32 v4, v117, v170
	v_dot4c_i32_i8 v139, v126, v152
	v_dot4c_i32_i8 v151, v123, v143
	s_waitcnt lgkmcnt(2)
	v_dot4c_i32_i8 v178, v164, v147
	v_dot4c_i32_i8 v161, v162, v127
	v_ashrrev_i32_e32 v127, 24, v157
	s_waitcnt lgkmcnt(0)
	v_dot4c_i32_i8 v139, v168, v153
	v_dot4c_i32_i8 v151, v124, v144
	v_mad_u64_u32 v[124:125], null, v118, v155, v[116:117]
	v_bfe_i32 v116, v156, 8, 8
	v_dot4c_i32_i8 v178, v165, v148
	v_dot4c_i32_i8 v151, v140, v145
	v_bfe_i32 v118, v157, 8, 8
	v_bfe_i32 v125, v156, 0, 8
	v_mul_lo_u32 v116, v121, v116
	v_ashrrev_i32_e32 v121, 24, v156
	v_dot4c_i32_i8 v151, v141, v146
	v_dot4c_i32_i8 v178, v166, v149
	;; [unrolled: 1-line block ×4, first 2 shown]
	v_mul_lo_u32 v120, v120, v121
	v_mul_lo_u32 v118, v151, v118
	v_mad_u64_u32 v[121:122], null, v122, v125, v[116:117]
	v_dot4c_i32_i8 v178, v167, v150
	v_bfe_i32 v126, v157, 0, 8
	v_dot4c_i32_i8 v161, v135, v129
	v_bfe_i32 v122, v156, 16, 8
	v_mul_lo_u32 v123, v176, v159
	v_mul_lo_u32 v116, v139, v127
	v_mad_u64_u32 v[125:126], null, v178, v126, v[118:119]
	v_dot4c_i32_i8 v161, v136, v130
	v_bfe_i32 v126, v157, 16, 8
	v_mad_u64_u32 v[118:119], null, v119, v122, v[120:121]
	v_cvt_f32_i32_e32 v122, v121
	v_mad_u64_u32 v[119:120], null, v177, v160, v[123:124]
	v_mad_u64_u32 v[120:121], null, v161, v126, v[116:117]
	v_cvt_f32_i32_e32 v116, v124
	v_cvt_f32_i32_e32 v121, v125
	v_fma_f32 v122, v131, v122, 0
	v_cvt_f32_i32_e32 v118, v118
	v_cvt_f32_i32_e32 v119, v119
	v_fmac_f32_e32 v138, v132, v116
	v_fma_f32 v116, v133, v121, 0
	v_cvt_f32_i32_e32 v120, v120
	v_fmac_f32_e32 v122, v132, v118
	v_fmac_f32_e32 v137, v134, v119
	;; [unrolled: 1-line block ×8, first 2 shown]
	s_barrier
	v_fmac_f32_e32 v93, v171, v116
	buffer_gl0_inv
.LBB235_5:                              ;   in Loop: Header=BB235_6 Depth=1
	v_add_co_u32 v36, s1, 0xd2, v36
	v_add_co_ci_u32_e64 v37, null, 0, v37, s1
	v_add_co_u32 v38, s1, 0xd2, v38
	v_add_co_ci_u32_e64 v39, null, 0, v39, s1
	;; [unrolled: 2-line block ×34, first 2 shown]
	v_add_co_u32 v105, s1, 0xd2, v105
	v_add_nc_u32_e32 v23, 8, v23
	v_add_nc_u32_e32 v21, 8, v21
	;; [unrolled: 1-line block ×3, first 2 shown]
	v_add_co_ci_u32_e64 v106, null, 0, v106, s1
	s_add_i32 s17, s17, -1
	s_addk_i32 s4, 0x100
	s_cmp_eq_u32 s17, 0
	s_cbranch_scc1 .LBB235_17
.LBB235_6:                              ; =>This Inner Loop Header: Depth=1
	v_add_co_u32 v116, s1, v38, s12
	v_add_co_ci_u32_e64 v117, null, s18, v39, s1
	global_load_dword v118, v[116:117], off
	v_add_co_u32 v116, s1, v36, s12
	v_add_co_ci_u32_e64 v117, null, s18, v37, s1
	v_add_co_u32 v119, s1, v42, s12
	v_add_co_ci_u32_e64 v120, null, s18, v43, s1
	;; [unrolled: 2-line block ×5, first 2 shown]
	global_load_dword v129, v[116:117], off
	global_load_dword v127, v[119:120], off
	;; [unrolled: 1-line block ×5, first 2 shown]
	v_add_co_u32 v116, s1, v50, s12
	v_add_co_ci_u32_e64 v117, null, s18, v51, s1
	v_add_co_u32 v119, s1, v48, s12
	v_add_co_ci_u32_e64 v120, null, s18, v49, s1
	;; [unrolled: 2-line block ×5, first 2 shown]
	global_load_dword v142, v[116:117], off
	global_load_dword v143, v[119:120], off
	global_load_dword v140, v[121:122], off
	global_load_dword v141, v[123:124], off
	global_load_dword v144, v[131:132], off
	v_add_co_u32 v116, s1, v56, s12
	v_add_co_ci_u32_e64 v117, null, s18, v57, s1
	v_add_co_u32 v119, s1, v62, s12
	v_add_co_ci_u32_e64 v120, null, s18, v63, s1
	;; [unrolled: 2-line block ×3, first 2 shown]
	global_load_dword v163, v[116:117], off
	global_load_dword v164, v[119:120], off
	;; [unrolled: 1-line block ×3, first 2 shown]
	v_add_co_u32 v116, s1, v64, s12
	v_add_co_ci_u32_e64 v117, null, s18, v65, s1
	v_add_co_u32 v119, s1, v66, s12
	v_add_co_ci_u32_e64 v120, null, s18, v67, s1
	global_load_dword v117, v[116:117], off
	global_load_dword v116, v[119:120], off
	v_add_co_u32 v119, s1, v68, s12
	v_add_co_ci_u32_e64 v120, null, s18, v69, s1
	v_add_co_u32 v121, s1, v70, s12
	v_add_co_ci_u32_e64 v122, null, s18, v71, s1
	global_load_dword v139, v[119:120], off
	v_add_co_u32 v123, s1, v74, s12
	global_load_dword v138, v[121:122], off
	v_add_co_ci_u32_e64 v124, null, s18, v75, s1
	v_add_co_u32 v131, s1, v72, s12
	v_add_co_ci_u32_e64 v132, null, s18, v73, s1
	v_add_co_u32 v133, s1, v78, s12
	;; [unrolled: 2-line block ×5, first 2 shown]
	global_load_dword v137, v[131:132], off
	v_add_co_ci_u32_e64 v150, null, s18, v81, s1
	v_add_co_u32 v119, s1, v86, s12
	v_add_co_ci_u32_e64 v120, null, s18, v87, s1
	v_add_co_u32 v121, s1, v84, s12
	;; [unrolled: 2-line block ×8, first 2 shown]
	v_add_co_ci_u32_e64 v162, null, s18, v97, s1
	global_load_dword v136, v[123:124], off
	global_load_dword v134, v[133:134], off
	;; [unrolled: 1-line block ×13, first 2 shown]
	s_waitcnt vmcnt(31)
	v_and_b32_e32 v145, 0xf0f0f0f, v118
	v_lshrrev_b32_e32 v118, 4, v118
	v_and_b32_e32 v118, 0xf0f0f0f, v118
	s_waitcnt vmcnt(30)
	v_ashrrev_i32_e32 v129, v8, v129
	s_waitcnt vmcnt(29)
	v_and_b32_e32 v146, 0xf0f0f0f, v127
	v_lshrrev_b32_e32 v127, 4, v127
	s_waitcnt vmcnt(28)
	v_ashrrev_i32_e32 v128, v8, v128
	s_waitcnt vmcnt(27)
	v_and_b32_e32 v147, 0xf0f0f0f, v126
	v_lshrrev_b32_e32 v126, 4, v126
	s_waitcnt vmcnt(26)
	v_ashrrev_i32_e32 v130, v8, v130
	v_lshlrev_b32_e32 v155, 4, v129
	v_and_b32_e32 v127, 0xf0f0f0f, v127
	v_lshlrev_b32_e32 v156, 4, v128
	v_and_b32_e32 v126, 0xf0f0f0f, v126
	v_lshlrev_b32_e32 v157, 4, v130
	v_and_or_b32 v145, 0x30303030, v155, v145
	v_and_or_b32 v118, 0x30303030, v129, v118
	;; [unrolled: 1-line block ×6, first 2 shown]
	v_and_b32_e32 v155, 0x3f00, v127
	s_waitcnt vmcnt(25)
	v_and_b32_e32 v148, 0xf0f0f0f, v142
	v_lshrrev_b32_e32 v142, 4, v142
	s_waitcnt vmcnt(24)
	v_ashrrev_i32_e32 v143, v8, v143
	s_waitcnt vmcnt(23)
	v_and_b32_e32 v149, 0xf0f0f0f, v140
	v_lshrrev_b32_e32 v140, 4, v140
	s_waitcnt vmcnt(22)
	v_ashrrev_i32_e32 v141, v8, v141
	s_waitcnt vmcnt(21)
	v_and_b32_e32 v150, 0xf0f0f0f, v144
	v_lshrrev_b32_e32 v144, 4, v144
	v_and_b32_e32 v142, 0xf0f0f0f, v142
	v_lshlrev_b32_e32 v158, 4, v143
	v_and_b32_e32 v140, 0xf0f0f0f, v140
	v_lshlrev_b32_e32 v159, 4, v141
	v_and_b32_e32 v144, 0xf0f0f0f, v144
	v_and_or_b32 v142, 0x30303030, v143, v142
	v_and_or_b32 v130, 0x30303030, v158, v148
	;; [unrolled: 1-line block ×3, first 2 shown]
	s_waitcnt vmcnt(20)
	v_ashrrev_i32_e32 v151, v8, v163
	s_waitcnt vmcnt(19)
	v_lshrrev_b32_e32 v153, 4, v164
	s_waitcnt vmcnt(18)
	v_ashrrev_i32_e32 v154, v8, v165
	v_and_b32_e32 v152, 0xf0f0f0f, v164
	v_and_or_b32 v143, 0x30303030, v159, v149
	v_lshlrev_b32_e32 v160, 4, v151
	v_and_b32_e32 v153, 0xf0f0f0f, v153
	v_lshlrev_b32_e32 v161, 4, v154
	v_and_or_b32 v144, 0x30303030, v151, v144
	v_lshrrev_b32_e32 v148, 16, v145
	v_and_or_b32 v141, 0x30303030, v160, v150
	v_and_b32_e32 v149, 0x3f00, v145
	v_lshlrev_b16 v145, 8, v145
	v_lshrrev_b32_e32 v150, 16, v118
	v_and_or_b32 v146, 0x30303030, v161, v152
	v_and_or_b32 v147, 0x30303030, v154, v153
	v_and_b32_e32 v151, 0x3f00, v118
	v_lshlrev_b16 v118, 8, v118
	v_lshrrev_b32_e32 v152, 16, v129
	v_lshrrev_b32_e32 v154, 16, v127
	v_and_b32_e32 v153, 0x3f00, v129
	v_lshlrev_b16 v129, 8, v129
	v_lshrrev_b32_e32 v156, 16, v128
	v_lshrrev_b32_e32 v158, 16, v126
	v_lshlrev_b16 v127, 8, v127
	v_lshrrev_b32_e32 v160, 16, v130
	v_lshrrev_b32_e32 v162, 16, v142
	v_and_b32_e32 v157, 0x3f00, v128
	v_lshlrev_b16 v128, 8, v128
	v_lshrrev_b32_e32 v164, 16, v143
	v_lshrrev_b32_e32 v166, 16, v140
	v_and_b32_e32 v159, 0x3f00, v126
	v_lshlrev_b16 v126, 8, v126
	v_lshrrev_b32_e32 v168, 16, v141
	v_lshrrev_b32_e32 v170, 16, v144
	v_add_nc_u16 v145, 0xe000, v145
	v_and_b32_e32 v174, 0x3f00, v148
	v_lshlrev_b16 v148, 8, v148
	v_and_b32_e32 v175, 0x3f00, v150
	v_lshlrev_b16 v150, 8, v150
	v_add_nc_u16 v118, 0xe000, v118
	v_and_b32_e32 v176, 0x3f00, v152
	v_lshlrev_b16 v152, 8, v152
	v_and_b32_e32 v177, 0x3f00, v154
	v_lshlrev_b16 v154, 8, v154
	v_add_nc_u16 v129, 0xe000, v129
	v_and_b32_e32 v178, 0x3f00, v156
	v_lshlrev_b16 v156, 8, v156
	v_and_b32_e32 v179, 0x3f00, v158
	v_lshlrev_b16 v158, 8, v158
	v_add_nc_u16 v127, 0xe000, v127
	v_and_b32_e32 v180, 0x3f00, v160
	v_lshlrev_b16 v160, 8, v160
	v_and_b32_e32 v181, 0x3f00, v162
	v_lshlrev_b16 v162, 8, v162
	v_add_nc_u16 v128, 0xe000, v128
	v_and_b32_e32 v182, 0x3f00, v164
	v_lshlrev_b16 v164, 8, v164
	v_and_b32_e32 v183, 0x3f00, v166
	v_lshlrev_b16 v166, 8, v166
	v_add_nc_u16 v126, 0xe000, v126
	v_and_b32_e32 v184, 0x3f00, v168
	v_lshlrev_b16 v168, 8, v168
	v_and_b32_e32 v185, 0x3f00, v170
	v_lshlrev_b16 v170, 8, v170
	v_or_b32_sdwa v145, v149, v145 dst_sel:DWORD dst_unused:UNUSED_PAD src0_sel:DWORD src1_sel:BYTE_1
	v_add_nc_u16 v148, 0xe000, v148
	v_add_nc_u16 v149, 0xe000, v150
	v_or_b32_sdwa v118, v151, v118 dst_sel:DWORD dst_unused:UNUSED_PAD src0_sel:DWORD src1_sel:BYTE_1
	v_add_nc_u16 v150, 0xe000, v152
	v_add_nc_u16 v151, 0xe000, v154
	;; [unrolled: 3-line block ×3, first 2 shown]
	v_and_b32_e32 v161, 0x3f00, v130
	v_lshlrev_b16 v130, 8, v130
	v_and_b32_e32 v163, 0x3f00, v142
	v_lshlrev_b16 v142, 8, v142
	v_or_b32_sdwa v127, v155, v127 dst_sel:DWORD dst_unused:UNUSED_PAD src0_sel:DWORD src1_sel:BYTE_1
	v_add_nc_u16 v154, 0xe000, v160
	v_add_nc_u16 v155, 0xe000, v162
	v_and_b32_e32 v165, 0x3f00, v143
	v_lshlrev_b16 v143, 8, v143
	v_and_b32_e32 v167, 0x3f00, v140
	v_lshlrev_b16 v140, 8, v140
	v_or_b32_sdwa v128, v157, v128 dst_sel:DWORD dst_unused:UNUSED_PAD src0_sel:DWORD src1_sel:BYTE_1
	v_add_nc_u16 v156, 0xe000, v164
	v_add_nc_u16 v157, 0xe000, v166
	;; [unrolled: 7-line block ×3, first 2 shown]
	v_or_b32_sdwa v148, v174, v148 dst_sel:DWORD dst_unused:UNUSED_PAD src0_sel:DWORD src1_sel:BYTE_1
	v_or_b32_sdwa v149, v175, v149 dst_sel:DWORD dst_unused:UNUSED_PAD src0_sel:DWORD src1_sel:BYTE_1
	;; [unrolled: 1-line block ×6, first 2 shown]
	v_add_nc_u16 v130, 0xe000, v130
	v_add_nc_u16 v142, 0xe000, v142
	v_or_b32_sdwa v154, v180, v154 dst_sel:DWORD dst_unused:UNUSED_PAD src0_sel:DWORD src1_sel:BYTE_1
	v_or_b32_sdwa v155, v181, v155 dst_sel:DWORD dst_unused:UNUSED_PAD src0_sel:DWORD src1_sel:BYTE_1
	v_add_nc_u16 v143, 0xe000, v143
	v_add_nc_u16 v140, 0xe000, v140
	v_or_b32_sdwa v156, v182, v156 dst_sel:DWORD dst_unused:UNUSED_PAD src0_sel:DWORD src1_sel:BYTE_1
	v_or_b32_sdwa v157, v183, v157 dst_sel:DWORD dst_unused:UNUSED_PAD src0_sel:DWORD src1_sel:BYTE_1
	;; [unrolled: 4-line block ×3, first 2 shown]
	v_add_nc_u16 v148, 0xe000, v148
	v_add_nc_u16 v149, 0xe000, v149
	;; [unrolled: 1-line block ×6, first 2 shown]
	v_or_b32_sdwa v130, v161, v130 dst_sel:DWORD dst_unused:UNUSED_PAD src0_sel:DWORD src1_sel:BYTE_1
	v_or_b32_sdwa v142, v163, v142 dst_sel:DWORD dst_unused:UNUSED_PAD src0_sel:DWORD src1_sel:BYTE_1
	v_add_nc_u16 v154, 0xe000, v154
	v_add_nc_u16 v155, 0xe000, v155
	v_or_b32_sdwa v143, v165, v143 dst_sel:DWORD dst_unused:UNUSED_PAD src0_sel:DWORD src1_sel:BYTE_1
	v_or_b32_sdwa v140, v167, v140 dst_sel:DWORD dst_unused:UNUSED_PAD src0_sel:DWORD src1_sel:BYTE_1
	v_add_nc_u16 v156, 0xe000, v156
	v_add_nc_u16 v157, 0xe000, v157
	;; [unrolled: 4-line block ×3, first 2 shown]
	v_add_nc_u16 v158, 0xe000, v158
	v_add_nc_u16 v159, 0xe000, v159
	v_lshlrev_b32_e32 v148, 16, v148
	v_lshlrev_b32_e32 v149, 16, v149
	v_add_nc_u16 v129, 0xe000, v129
	v_add_nc_u16 v127, 0xe000, v127
	v_lshlrev_b32_e32 v150, 16, v150
	v_lshlrev_b32_e32 v151, 16, v151
	;; [unrolled: 4-line block ×6, first 2 shown]
	v_or_b32_sdwa v145, v145, v148 dst_sel:DWORD dst_unused:UNUSED_PAD src0_sel:WORD_0 src1_sel:DWORD
	v_or_b32_sdwa v118, v118, v149 dst_sel:DWORD dst_unused:UNUSED_PAD src0_sel:WORD_0 src1_sel:DWORD
	;; [unrolled: 1-line block ×12, first 2 shown]
	ds_write2_b32 v7, v145, v118 offset1:16
	ds_write2_b32 v107, v129, v127 offset0:8 offset1:24
	ds_write2_b32 v108, v128, v126 offset0:16 offset1:32
	ds_write2_b32 v109, v130, v142 offset0:24 offset1:40
	ds_write2_b32 v110, v143, v140 offset0:32 offset1:48
	ds_write2_b32 v111, v141, v144 offset0:40 offset1:56
	v_add_co_u32 v126, s1, v101, s12
	v_lshlrev_b16 v118, 8, v147
	v_add_co_ci_u32_e64 v127, null, s18, v102, s1
	s_waitcnt vmcnt(17)
	v_ashrrev_i32_e32 v143, v8, v117
	v_add_co_u32 v117, s1, v103, s12
	v_add_nc_u16 v141, 0xe000, v118
	global_load_ushort v144, v[126:127], off
	v_add_co_ci_u32_e64 v118, null, s18, v104, s1
	v_add_co_u32 v126, s1, v105, s12
	v_add_co_ci_u32_e64 v127, null, s18, v106, s1
	global_load_dword v117, v[117:118], off
	global_load_dword v118, v[126:127], off
	v_lshrrev_b32_e32 v172, 16, v146
	v_and_b32_e32 v173, 0x3f00, v146
	v_lshlrev_b16 v146, 8, v146
	v_lshrrev_b32_e32 v130, 16, v147
	s_waitcnt vmcnt(19)
	v_and_b32_e32 v145, 0xf0f0f0f, v116
	v_and_b32_e32 v186, 0x3f00, v172
	v_lshlrev_b16 v172, 8, v172
	v_add_nc_u16 v146, 0xe000, v146
	v_lshlrev_b16 v142, 8, v130
	v_and_b32_e32 v130, 0x3f00, v130
	v_lshrrev_b32_e32 v116, 4, v116
	v_add_nc_u16 v160, 0xe000, v172
	v_or_b32_sdwa v128, v173, v146 dst_sel:DWORD dst_unused:UNUSED_PAD src0_sel:DWORD src1_sel:BYTE_1
	v_lshlrev_b32_e32 v146, 4, v143
	v_add_nc_u16 v126, 0xe000, v142
	v_and_b32_e32 v140, 0x3f00, v147
	v_or_b32_sdwa v160, v186, v160 dst_sel:DWORD dst_unused:UNUSED_PAD src0_sel:DWORD src1_sel:BYTE_1
	v_and_b32_e32 v116, 0xf0f0f0f, v116
	v_and_or_b32 v127, 0x30303030, v146, v145
	v_or_b32_sdwa v126, v130, v126 dst_sel:DWORD dst_unused:UNUSED_PAD src0_sel:DWORD src1_sel:BYTE_1
	v_add_nc_u16 v128, 0xe000, v128
	v_add_nc_u16 v129, 0xe000, v160
	v_or_b32_sdwa v140, v140, v141 dst_sel:DWORD dst_unused:UNUSED_PAD src0_sel:DWORD src1_sel:BYTE_1
	v_lshrrev_b32_e32 v130, 16, v127
	v_lshlrev_b16 v141, 8, v127
	v_and_or_b32 v116, 0x30303030, v143, v116
	v_lshlrev_b32_e32 v129, 16, v129
	v_add_nc_u16 v126, 0xe000, v126
	v_lshlrev_b16 v142, 8, v130
	v_and_b32_e32 v130, 0x3f00, v130
	v_and_b32_e32 v127, 0x3f00, v127
	v_add_nc_u16 v141, 0xe000, v141
	v_or_b32_sdwa v128, v128, v129 dst_sel:DWORD dst_unused:UNUSED_PAD src0_sel:WORD_0 src1_sel:DWORD
	v_add_nc_u16 v142, 0xe000, v142
	v_add_nc_u16 v140, 0xe000, v140
	v_lshlrev_b32_e32 v126, 16, v126
	v_or_b32_sdwa v127, v127, v141 dst_sel:DWORD dst_unused:UNUSED_PAD src0_sel:DWORD src1_sel:BYTE_1
	s_waitcnt vmcnt(18)
	v_ashrrev_i32_e32 v139, v8, v139
	v_or_b32_sdwa v129, v130, v142 dst_sel:DWORD dst_unused:UNUSED_PAD src0_sel:DWORD src1_sel:BYTE_1
	v_lshrrev_b32_e32 v130, 16, v116
	v_or_b32_sdwa v126, v140, v126 dst_sel:DWORD dst_unused:UNUSED_PAD src0_sel:WORD_0 src1_sel:DWORD
	v_lshlrev_b16 v140, 8, v116
	v_add_nc_u16 v127, 0xe000, v127
	v_add_nc_u16 v129, 0xe000, v129
	v_lshlrev_b16 v141, 8, v130
	v_and_b32_e32 v130, 0x3f00, v130
	v_and_b32_e32 v116, 0x3f00, v116
	v_add_nc_u16 v140, 0xe000, v140
	s_waitcnt vmcnt(17)
	v_and_b32_e32 v142, 0xf0f0f0f, v138
	v_add_nc_u16 v141, 0xe000, v141
	v_lshlrev_b32_e32 v143, 4, v139
	v_lshlrev_b32_e32 v129, 16, v129
	ds_write2_b32 v9, v128, v126 offset1:16
	v_or_b32_sdwa v116, v116, v140 dst_sel:DWORD dst_unused:UNUSED_PAD src0_sel:DWORD src1_sel:BYTE_1
	v_or_b32_sdwa v126, v130, v141 dst_sel:DWORD dst_unused:UNUSED_PAD src0_sel:DWORD src1_sel:BYTE_1
	v_and_or_b32 v128, 0x30303030, v143, v142
	v_or_b32_sdwa v127, v127, v129 dst_sel:DWORD dst_unused:UNUSED_PAD src0_sel:WORD_0 src1_sel:DWORD
	v_lshrrev_b32_e32 v129, 4, v138
	v_add_nc_u16 v116, 0xe000, v116
	v_add_nc_u16 v126, 0xe000, v126
	v_lshrrev_b32_e32 v130, 16, v128
	v_lshlrev_b16 v138, 8, v128
	v_and_b32_e32 v129, 0xf0f0f0f, v129
	v_and_b32_e32 v128, 0x3f00, v128
	v_lshlrev_b32_e32 v126, 16, v126
	v_lshlrev_b16 v140, 8, v130
	v_add_nc_u16 v138, 0xe000, v138
	v_and_or_b32 v129, 0x30303030, v139, v129
	s_waitcnt vmcnt(13)
	v_ashrrev_i32_e32 v135, v8, v135
	v_or_b32_sdwa v116, v116, v126 dst_sel:DWORD dst_unused:UNUSED_PAD src0_sel:WORD_0 src1_sel:DWORD
	v_and_b32_e32 v126, 0x3f00, v130
	v_add_nc_u16 v130, 0xe000, v140
	v_or_b32_sdwa v128, v128, v138 dst_sel:DWORD dst_unused:UNUSED_PAD src0_sel:DWORD src1_sel:BYTE_1
	v_lshrrev_b32_e32 v138, 16, v129
	ds_write2_b32 v112, v127, v116 offset0:8 offset1:24
	v_ashrrev_i32_e32 v116, v8, v137
	v_or_b32_sdwa v126, v126, v130 dst_sel:DWORD dst_unused:UNUSED_PAD src0_sel:DWORD src1_sel:BYTE_1
	v_add_nc_u16 v127, 0xe000, v128
	v_lshlrev_b16 v128, 8, v138
	v_and_b32_e32 v130, 0xf0f0f0f, v136
	v_lshlrev_b32_e32 v137, 4, v116
	v_lshlrev_b16 v139, 8, v129
	v_and_b32_e32 v138, 0x3f00, v138
	v_add_nc_u16 v128, 0xe000, v128
	v_and_b32_e32 v129, 0x3f00, v129
	v_and_or_b32 v130, 0x30303030, v137, v130
	v_add_nc_u16 v137, 0xe000, v139
	v_lshrrev_b32_e32 v136, 4, v136
	v_or_b32_sdwa v128, v138, v128 dst_sel:DWORD dst_unused:UNUSED_PAD src0_sel:DWORD src1_sel:BYTE_1
	v_add_nc_u16 v126, 0xe000, v126
	v_lshrrev_b32_e32 v138, 16, v130
	v_or_b32_sdwa v129, v129, v137 dst_sel:DWORD dst_unused:UNUSED_PAD src0_sel:DWORD src1_sel:BYTE_1
	v_lshlrev_b16 v137, 8, v130
	v_and_b32_e32 v136, 0xf0f0f0f, v136
	v_add_nc_u16 v128, 0xe000, v128
	v_lshlrev_b16 v139, 8, v138
	v_and_b32_e32 v130, 0x3f00, v130
	v_add_nc_u16 v137, 0xe000, v137
	v_and_or_b32 v116, 0x30303030, v116, v136
	v_lshlrev_b32_e32 v126, 16, v126
	v_and_b32_e32 v138, 0x3f00, v138
	v_add_nc_u16 v139, 0xe000, v139
	v_add_nc_u16 v129, 0xe000, v129
	v_lshlrev_b32_e32 v128, 16, v128
	v_or_b32_sdwa v130, v130, v137 dst_sel:DWORD dst_unused:UNUSED_PAD src0_sel:DWORD src1_sel:BYTE_1
	v_lshrrev_b32_e32 v137, 16, v116
	v_or_b32_sdwa v136, v138, v139 dst_sel:DWORD dst_unused:UNUSED_PAD src0_sel:DWORD src1_sel:BYTE_1
	v_or_b32_sdwa v126, v127, v126 dst_sel:DWORD dst_unused:UNUSED_PAD src0_sel:WORD_0 src1_sel:DWORD
	v_or_b32_sdwa v127, v129, v128 dst_sel:DWORD dst_unused:UNUSED_PAD src0_sel:WORD_0 src1_sel:DWORD
	v_add_nc_u16 v128, 0xe000, v130
	v_lshlrev_b16 v130, 8, v137
	v_add_nc_u16 v129, 0xe000, v136
	v_lshlrev_b16 v136, 8, v116
	v_and_b32_e32 v137, 0x3f00, v137
	v_and_b32_e32 v116, 0x3f00, v116
	v_add_nc_u16 v130, 0xe000, v130
	v_and_b32_e32 v138, 0xf0f0f0f, v134
	v_add_nc_u16 v136, 0xe000, v136
	v_lshlrev_b32_e32 v139, 4, v135
	v_lshlrev_b32_e32 v129, 16, v129
	v_or_b32_sdwa v130, v137, v130 dst_sel:DWORD dst_unused:UNUSED_PAD src0_sel:DWORD src1_sel:BYTE_1
	v_lshrrev_b32_e32 v134, 4, v134
	v_or_b32_sdwa v116, v116, v136 dst_sel:DWORD dst_unused:UNUSED_PAD src0_sel:DWORD src1_sel:BYTE_1
	v_and_or_b32 v136, 0x30303030, v139, v138
	v_or_b32_sdwa v128, v128, v129 dst_sel:DWORD dst_unused:UNUSED_PAD src0_sel:WORD_0 src1_sel:DWORD
	v_add_nc_u16 v129, 0xe000, v130
	v_and_b32_e32 v130, 0xf0f0f0f, v134
	v_add_nc_u16 v116, 0xe000, v116
	v_lshrrev_b32_e32 v134, 16, v136
	v_lshlrev_b16 v137, 8, v136
	v_lshlrev_b32_e32 v129, 16, v129
	v_and_or_b32 v130, 0x30303030, v135, v130
	v_and_b32_e32 v136, 0x3f00, v136
	v_lshlrev_b16 v135, 8, v134
	v_add_nc_u16 v137, 0xe000, v137
	v_or_b32_sdwa v116, v116, v129 dst_sel:DWORD dst_unused:UNUSED_PAD src0_sel:WORD_0 src1_sel:DWORD
	v_and_b32_e32 v129, 0x3f00, v134
	v_lshrrev_b32_e32 v134, 16, v130
	v_add_nc_u16 v135, 0xe000, v135
	ds_write2_b32 v113, v126, v127 offset0:16 offset1:32
	ds_write2_b32 v114, v128, v116 offset0:24 offset1:40
	v_lshlrev_b16 v128, 8, v130
	s_waitcnt vmcnt(11)
	v_ashrrev_i32_e32 v133, v8, v133
	v_lshlrev_b16 v116, 8, v134
	v_or_b32_sdwa v126, v129, v135 dst_sel:DWORD dst_unused:UNUSED_PAD src0_sel:DWORD src1_sel:BYTE_1
	v_and_b32_e32 v129, 0x3f00, v134
	v_or_b32_sdwa v136, v136, v137 dst_sel:DWORD dst_unused:UNUSED_PAD src0_sel:DWORD src1_sel:BYTE_1
	v_and_b32_e32 v130, 0x3f00, v130
	v_add_nc_u16 v116, 0xe000, v116
	v_add_nc_u16 v126, 0xe000, v126
	v_add_nc_u16 v128, 0xe000, v128
	v_lshlrev_b32_e32 v134, 4, v133
	v_add_nc_u16 v127, 0xe000, v136
	v_or_b32_sdwa v116, v129, v116 dst_sel:DWORD dst_unused:UNUSED_PAD src0_sel:DWORD src1_sel:BYTE_1
	v_and_b32_e32 v129, 0xf0f0f0f, v132
	v_lshrrev_b32_e32 v132, 4, v132
	v_or_b32_sdwa v128, v130, v128 dst_sel:DWORD dst_unused:UNUSED_PAD src0_sel:DWORD src1_sel:BYTE_1
	v_lshlrev_b32_e32 v126, 16, v126
	v_add_nc_u16 v116, 0xe000, v116
	v_and_or_b32 v129, 0x30303030, v134, v129
	v_and_b32_e32 v130, 0xf0f0f0f, v132
	v_add_nc_u16 v128, 0xe000, v128
	v_or_b32_sdwa v126, v127, v126 dst_sel:DWORD dst_unused:UNUSED_PAD src0_sel:WORD_0 src1_sel:DWORD
	v_lshlrev_b32_e32 v116, 16, v116
	v_lshlrev_b16 v132, 8, v129
	v_and_or_b32 v127, 0x30303030, v133, v130
	v_lshrrev_b32_e32 v130, 16, v129
	s_waitcnt vmcnt(7)
	v_ashrrev_i32_e32 v124, v8, v124
	v_or_b32_sdwa v116, v128, v116 dst_sel:DWORD dst_unused:UNUSED_PAD src0_sel:WORD_0 src1_sel:DWORD
	v_and_b32_e32 v128, 0x3f00, v129
	v_lshrrev_b32_e32 v129, 16, v127
	v_lshlrev_b16 v133, 8, v130
	v_add_nc_u16 v132, 0xe000, v132
	ds_write2_b32 v10, v126, v116 offset1:16
	v_and_b32_e32 v116, 0x3f00, v130
	v_lshlrev_b16 v126, 8, v129
	v_add_nc_u16 v130, 0xe000, v133
	v_or_b32_sdwa v128, v128, v132 dst_sel:DWORD dst_unused:UNUSED_PAD src0_sel:DWORD src1_sel:BYTE_1
	v_lshlrev_b16 v132, 8, v127
	v_and_b32_e32 v129, 0x3f00, v129
	v_add_nc_u16 v126, 0xe000, v126
	v_or_b32_sdwa v116, v116, v130 dst_sel:DWORD dst_unused:UNUSED_PAD src0_sel:DWORD src1_sel:BYTE_1
	v_ashrrev_i32_e32 v130, v8, v131
	v_and_b32_e32 v127, 0x3f00, v127
	v_add_nc_u16 v131, 0xe000, v132
	v_or_b32_sdwa v126, v129, v126 dst_sel:DWORD dst_unused:UNUSED_PAD src0_sel:DWORD src1_sel:BYTE_1
	v_and_b32_e32 v129, 0xf0f0f0f, v125
	v_lshlrev_b32_e32 v132, 4, v130
	v_add_nc_u16 v116, 0xe000, v116
	v_or_b32_sdwa v127, v127, v131 dst_sel:DWORD dst_unused:UNUSED_PAD src0_sel:DWORD src1_sel:BYTE_1
	v_add_nc_u16 v126, 0xe000, v126
	v_lshrrev_b32_e32 v125, 4, v125
	v_and_or_b32 v129, 0x30303030, v132, v129
	v_add_nc_u16 v128, 0xe000, v128
	v_lshlrev_b32_e32 v116, 16, v116
	v_add_nc_u16 v127, 0xe000, v127
	v_lshlrev_b32_e32 v126, 16, v126
	v_lshrrev_b32_e32 v131, 16, v129
	v_and_b32_e32 v125, 0xf0f0f0f, v125
	v_or_b32_sdwa v116, v128, v116 dst_sel:DWORD dst_unused:UNUSED_PAD src0_sel:WORD_0 src1_sel:DWORD
	v_lshlrev_b16 v128, 8, v129
	v_or_b32_sdwa v126, v127, v126 dst_sel:DWORD dst_unused:UNUSED_PAD src0_sel:WORD_0 src1_sel:DWORD
	v_lshlrev_b16 v127, 8, v131
	v_and_or_b32 v125, 0x30303030, v130, v125
	v_and_b32_e32 v129, 0x3f00, v129
	v_add_nc_u16 v128, 0xe000, v128
	v_and_b32_e32 v130, 0x3f00, v131
	v_add_nc_u16 v127, 0xe000, v127
	ds_write2_b32 v11, v116, v126 offset1:16
	v_lshrrev_b32_e32 v116, 16, v125
	v_or_b32_sdwa v126, v129, v128 dst_sel:DWORD dst_unused:UNUSED_PAD src0_sel:DWORD src1_sel:BYTE_1
	v_lshlrev_b16 v128, 8, v125
	v_or_b32_sdwa v127, v130, v127 dst_sel:DWORD dst_unused:UNUSED_PAD src0_sel:DWORD src1_sel:BYTE_1
	v_and_b32_e32 v130, 0xf0f0f0f, v123
	v_lshlrev_b16 v129, 8, v116
	v_lshlrev_b32_e32 v131, 4, v124
	v_and_b32_e32 v125, 0x3f00, v125
	v_add_nc_u16 v128, 0xe000, v128
	v_and_b32_e32 v116, 0x3f00, v116
	v_add_nc_u16 v129, 0xe000, v129
	v_and_or_b32 v130, 0x30303030, v131, v130
	v_lshrrev_b32_e32 v123, 4, v123
	v_or_b32_sdwa v125, v125, v128 dst_sel:DWORD dst_unused:UNUSED_PAD src0_sel:DWORD src1_sel:BYTE_1
	v_add_nc_u16 v127, 0xe000, v127
	v_or_b32_sdwa v116, v116, v129 dst_sel:DWORD dst_unused:UNUSED_PAD src0_sel:DWORD src1_sel:BYTE_1
	v_lshrrev_b32_e32 v128, 16, v130
	v_and_b32_e32 v123, 0xf0f0f0f, v123
	v_add_nc_u16 v125, 0xe000, v125
	v_lshlrev_b16 v131, 8, v130
	v_add_nc_u16 v116, 0xe000, v116
	v_lshlrev_b16 v129, 8, v128
	v_and_b32_e32 v128, 0x3f00, v128
	v_and_or_b32 v123, 0x30303030, v124, v123
	v_add_nc_u16 v126, 0xe000, v126
	v_lshlrev_b32_e32 v116, 16, v116
	v_add_nc_u16 v129, 0xe000, v129
	v_lshlrev_b32_e32 v127, 16, v127
	v_and_b32_e32 v130, 0x3f00, v130
	v_add_nc_u16 v131, 0xe000, v131
	v_or_b32_sdwa v116, v125, v116 dst_sel:DWORD dst_unused:UNUSED_PAD src0_sel:WORD_0 src1_sel:DWORD
	v_or_b32_sdwa v124, v128, v129 dst_sel:DWORD dst_unused:UNUSED_PAD src0_sel:DWORD src1_sel:BYTE_1
	s_waitcnt vmcnt(5)
	v_ashrrev_i32_e32 v122, v8, v122
	v_lshrrev_b32_e32 v125, 16, v123
	v_or_b32_sdwa v126, v126, v127 dst_sel:DWORD dst_unused:UNUSED_PAD src0_sel:WORD_0 src1_sel:DWORD
	v_or_b32_sdwa v127, v130, v131 dst_sel:DWORD dst_unused:UNUSED_PAD src0_sel:DWORD src1_sel:BYTE_1
	v_add_nc_u16 v124, 0xe000, v124
	v_and_b32_e32 v128, 0xf0f0f0f, v121
	v_lshlrev_b32_e32 v129, 4, v122
	v_lshlrev_b16 v130, 8, v125
	v_add_nc_u16 v127, 0xe000, v127
	v_lshlrev_b32_e32 v124, 16, v124
	v_lshlrev_b16 v131, 8, v123
	v_and_b32_e32 v125, 0x3f00, v125
	v_and_or_b32 v128, 0x30303030, v129, v128
	v_add_nc_u16 v129, 0xe000, v130
	v_or_b32_sdwa v124, v127, v124 dst_sel:DWORD dst_unused:UNUSED_PAD src0_sel:WORD_0 src1_sel:DWORD
	v_and_b32_e32 v123, 0x3f00, v123
	v_add_nc_u16 v127, 0xe000, v131
	v_lshlrev_b16 v130, 8, v128
	v_or_b32_sdwa v125, v125, v129 dst_sel:DWORD dst_unused:UNUSED_PAD src0_sel:DWORD src1_sel:BYTE_1
	v_lshrrev_b32_e32 v129, 16, v128
	v_lshrrev_b32_e32 v121, 4, v121
	v_and_b32_e32 v128, 0x3f00, v128
	v_add_nc_u16 v130, 0xe000, v130
	v_or_b32_sdwa v123, v123, v127 dst_sel:DWORD dst_unused:UNUSED_PAD src0_sel:DWORD src1_sel:BYTE_1
	v_lshlrev_b16 v127, 8, v129
	v_and_b32_e32 v121, 0xf0f0f0f, v121
	v_add_nc_u16 v125, 0xe000, v125
	v_or_b32_sdwa v128, v128, v130 dst_sel:DWORD dst_unused:UNUSED_PAD src0_sel:DWORD src1_sel:BYTE_1
	v_and_b32_e32 v129, 0x3f00, v129
	v_add_nc_u16 v127, 0xe000, v127
	v_and_or_b32 v121, 0x30303030, v122, v121
	s_waitcnt vmcnt(3)
	v_ashrrev_i32_e32 v120, v8, v120
	v_lshrrev_b32_e32 v130, 4, v119
	v_add_nc_u16 v122, 0xe000, v123
	v_lshlrev_b32_e32 v123, 16, v125
	v_add_nc_u16 v125, 0xe000, v128
	v_or_b32_sdwa v127, v129, v127 dst_sel:DWORD dst_unused:UNUSED_PAD src0_sel:DWORD src1_sel:BYTE_1
	v_lshrrev_b32_e32 v128, 16, v121
	v_lshlrev_b16 v129, 8, v121
	v_and_b32_e32 v119, 0xf0f0f0f, v119
	v_lshlrev_b32_e32 v131, 4, v120
	v_and_b32_e32 v130, 0xf0f0f0f, v130
	v_and_b32_e32 v121, 0x3f00, v121
	v_add_nc_u16 v129, 0xe000, v129
	v_lshlrev_b16 v132, 8, v128
	v_and_or_b32 v119, 0x30303030, v131, v119
	v_and_or_b32 v120, 0x30303030, v120, v130
	v_and_b32_e32 v128, 0x3f00, v128
	v_or_b32_sdwa v121, v121, v129 dst_sel:DWORD dst_unused:UNUSED_PAD src0_sel:DWORD src1_sel:BYTE_1
	v_add_nc_u16 v129, 0xe000, v132
	v_lshrrev_b32_e32 v130, 16, v119
	v_lshrrev_b32_e32 v131, 16, v120
	v_and_b32_e32 v132, 0x3f00, v119
	v_lshlrev_b16 v119, 8, v119
	v_or_b32_sdwa v128, v128, v129 dst_sel:DWORD dst_unused:UNUSED_PAD src0_sel:DWORD src1_sel:BYTE_1
	v_lshlrev_b16 v129, 8, v130
	v_lshlrev_b16 v133, 8, v131
	v_and_b32_e32 v130, 0x3f00, v130
	v_lshlrev_b16 v134, 8, v120
	v_and_b32_e32 v131, 0x3f00, v131
	v_add_nc_u16 v129, 0xe000, v129
	v_add_nc_u16 v133, 0xe000, v133
	;; [unrolled: 1-line block ×3, first 2 shown]
	v_and_b32_e32 v120, 0x3f00, v120
	v_add_nc_u16 v127, 0xe000, v127
	v_or_b32_sdwa v129, v130, v129 dst_sel:DWORD dst_unused:UNUSED_PAD src0_sel:DWORD src1_sel:BYTE_1
	v_add_nc_u16 v130, 0xe000, v134
	v_or_b32_sdwa v131, v131, v133 dst_sel:DWORD dst_unused:UNUSED_PAD src0_sel:DWORD src1_sel:BYTE_1
	;; [unrolled: 2-line block ×4, first 2 shown]
	v_add_nc_u16 v130, 0xe000, v131
	v_lshlrev_b32_e32 v127, 16, v127
	v_add_nc_u16 v121, 0xe000, v121
	v_lshlrev_b32_e32 v128, 16, v128
	;; [unrolled: 2-line block ×4, first 2 shown]
	v_or_b32_sdwa v122, v122, v123 dst_sel:DWORD dst_unused:UNUSED_PAD src0_sel:WORD_0 src1_sel:DWORD
	ds_write2_b32 v12, v126, v116 offset1:16
	s_waitcnt vmcnt(2)
	v_cvt_f32_f16_e32 v116, v144
	v_or_b32_sdwa v123, v125, v127 dst_sel:DWORD dst_unused:UNUSED_PAD src0_sel:WORD_0 src1_sel:DWORD
	v_or_b32_sdwa v121, v121, v128 dst_sel:DWORD dst_unused:UNUSED_PAD src0_sel:WORD_0 src1_sel:DWORD
	s_add_i32 s1, s4, 0xffffff80
	v_or_b32_sdwa v119, v119, v129 dst_sel:DWORD dst_unused:UNUSED_PAD src0_sel:WORD_0 src1_sel:DWORD
	v_or_b32_sdwa v120, v120, v130 dst_sel:DWORD dst_unused:UNUSED_PAD src0_sel:WORD_0 src1_sel:DWORD
	s_cmp_lt_i32 s1, s13
	ds_write2_b32 v13, v124, v122 offset1:16
	ds_write2_b32 v14, v123, v121 offset1:16
	;; [unrolled: 1-line block ×3, first 2 shown]
	ds_write_b32 v16, v116
	s_waitcnt vmcnt(1)
	ds_write_b32 v17, v117
	s_waitcnt vmcnt(0)
	ds_write_b32 v18, v118
	s_cbranch_scc0 .LBB235_5
; %bb.7:                                ;   in Loop: Header=BB235_6 Depth=1
	v_cmp_gt_i32_e64 s1, s9, v21
	s_and_b32 s5, s0, s1
	s_and_saveexec_b32 s1, s5
	s_cbranch_execz .LBB235_9
; %bb.8:                                ;   in Loop: Header=BB235_6 Depth=1
	v_add_nc_u32_e32 v116, v34, v21
	v_mad_i64_i32 v[116:117], null, v116, 36, v[2:3]
	global_load_dword v116, v[116:117], off offset:4
	s_waitcnt vmcnt(0)
	ds_write_b32 v22, v116
.LBB235_9:                              ;   in Loop: Header=BB235_6 Depth=1
	s_or_b32 exec_lo, exec_lo, s1
	v_cmp_gt_i32_e64 s1, s9, v115
	s_and_b32 s5, s19, s1
	s_and_saveexec_b32 s1, s5
	s_cbranch_execz .LBB235_11
; %bb.10:                               ;   in Loop: Header=BB235_6 Depth=1
	v_add_nc_u32_e32 v116, v34, v115
	v_mad_i64_i32 v[116:117], null, v116, 36, s[6:7]
	global_load_dword v116, v[116:117], off
	v_add_nc_u32_e32 v117, v19, v24
	s_waitcnt vmcnt(0)
	v_cvt_f32_f16_e32 v116, v116
	ds_write_b32 v117, v116
.LBB235_11:                             ;   in Loop: Header=BB235_6 Depth=1
	s_or_b32 exec_lo, exec_lo, s1
	s_waitcnt lgkmcnt(0)
	s_barrier
	buffer_gl0_inv
	ds_read2_b32 v[116:117], v26 offset0:12 offset1:13
	ds_read_b128 v[127:130], v20 offset:48
	ds_read_b128 v[131:134], v20 offset:32
	ds_read2_b32 v[118:119], v26 offset0:4 offset1:5
	ds_read2_b32 v[120:121], v26 offset0:8 offset1:9
	ds_read_b128 v[135:138], v20 offset:16
	ds_read_b128 v[139:142], v20
	ds_read2_b32 v[122:123], v26 offset0:14 offset1:15
	ds_read2_b32 v[143:144], v26 offset0:10 offset1:11
	;; [unrolled: 1-line block ×4, first 2 shown]
	ds_read2_b32 v[149:150], v26 offset1:1
	v_mov_b32_e32 v126, 0
	v_add_nc_u32_e32 v124, 0x20b0, v26
	v_mov_b32_e32 v125, 0
	v_mov_b32_e32 v177, 0
	v_add_nc_u32_e32 v153, 0x2090, v26
	v_mov_b32_e32 v178, 0
	ds_read2_b32 v[151:152], v124 offset1:1
	v_add_nc_u32_e32 v124, 0x4118, v26
	v_add_nc_u32_e32 v165, 0x4138, v26
	s_waitcnt lgkmcnt(11)
	v_dot4c_i32_i8 v126, v116, v127
	v_add_nc_u32_e32 v116, 0x2088, v26
	v_mov_b32_e32 v179, 0
	s_waitcnt lgkmcnt(8)
	v_dot4c_i32_i8 v125, v120, v131
	s_waitcnt lgkmcnt(7)
	v_dot4c_i32_i8 v177, v118, v135
	v_dot4c_i32_i8 v126, v117, v128
	v_add_nc_u32_e32 v117, 0x2080, v26
	v_add_nc_u32_e32 v118, 0x20b8, v26
	v_dot4c_i32_i8 v125, v121, v132
	v_dot4c_i32_i8 v177, v119, v136
	s_waitcnt lgkmcnt(5)
	v_dot4c_i32_i8 v126, v122, v129
	ds_read2_b32 v[121:122], v153 offset1:1
	ds_read2_b32 v[153:154], v116 offset1:1
	;; [unrolled: 1-line block ×4, first 2 shown]
	v_mov_b32_e32 v116, 0
	s_waitcnt lgkmcnt(5)
	v_dot4c_i32_i8 v178, v149, v139
	v_add_nc_u32_e32 v119, 0x20a8, v26
	v_dot4c_i32_i8 v126, v123, v130
	v_dot4c_i32_i8 v125, v143, v133
	s_waitcnt lgkmcnt(4)
	v_dot4c_i32_i8 v116, v151, v127
	v_dot4c_i32_i8 v178, v150, v140
	v_add_nc_u32_e32 v123, 0x2098, v26
	v_add_nc_u32_e32 v120, 0x20a0, v26
	v_dot4c_i32_i8 v177, v145, v137
	v_dot4c_i32_i8 v116, v152, v128
	;; [unrolled: 1-line block ×3, first 2 shown]
	ds_read2_b32 v[149:150], v119 offset1:1
	ds_read2_b32 v[119:120], v120 offset1:1
	;; [unrolled: 1-line block ×3, first 2 shown]
	v_dot4c_i32_i8 v125, v144, v134
	ds_read2_b32 v[143:144], v123 offset1:1
	v_add_nc_u32_e32 v123, 0x4128, v26
	v_add_nc_u32_e32 v124, 0x4120, v26
	v_dot4c_i32_i8 v177, v146, v138
	v_dot4c_i32_i8 v178, v148, v142
	s_waitcnt lgkmcnt(4)
	v_dot4c_i32_i8 v116, v117, v129
	v_add_nc_u32_e32 v117, 0x4130, v26
	ds_read2_b32 v[145:146], v117 offset1:1
	ds_read2_b32 v[147:148], v123 offset1:1
	;; [unrolled: 1-line block ×3, first 2 shown]
	v_dot4c_i32_i8 v116, v118, v130
	v_mov_b32_e32 v118, 0
	v_add_nc_u32_e32 v117, 0x4110, v26
	v_add_nc_u32_e32 v123, 0x4108, v26
	;; [unrolled: 1-line block ×3, first 2 shown]
	ds_read2_b32 v[159:160], v117 offset1:1
	ds_read2_b32 v[161:162], v123 offset1:1
	;; [unrolled: 1-line block ×4, first 2 shown]
	s_waitcnt lgkmcnt(9)
	v_dot4c_i32_i8 v118, v119, v131
	v_mov_b32_e32 v124, 0
	v_mov_b32_e32 v119, 0
	v_add_nc_u32_e32 v117, 0x6198, v26
	v_mov_b32_e32 v123, 0
	v_dot4c_i32_i8 v118, v120, v132
	v_dot4c_i32_i8 v124, v121, v135
	v_mov_b32_e32 v120, 0
	ds_read2_b32 v[167:168], v117 offset1:1
	ds_read_b32 v117, v33 offset:384
	v_mov_b32_e32 v121, 0
	s_waitcnt lgkmcnt(6)
	v_dot4c_i32_i8 v119, v151, v131
	v_dot4c_i32_i8 v124, v122, v136
	;; [unrolled: 1-line block ×3, first 2 shown]
	v_add_nc_u32_e32 v145, 0x61a0, v26
	v_dot4c_i32_i8 v123, v155, v139
	v_dot4c_i32_i8 v119, v152, v132
	;; [unrolled: 1-line block ×3, first 2 shown]
	v_add_nc_u32_e32 v143, 0x61b0, v26
	v_dot4c_i32_i8 v120, v146, v128
	s_waitcnt lgkmcnt(5)
	v_dot4c_i32_i8 v121, v159, v135
	v_dot4c_i32_i8 v119, v147, v133
	v_add_nc_u32_e32 v147, 0x6190, v26
	v_dot4c_i32_i8 v124, v144, v138
	v_mov_b32_e32 v122, 0
	v_dot4c_i32_i8 v118, v149, v133
	v_dot4c_i32_i8 v119, v148, v134
	ds_read2_b32 v[143:144], v143 offset1:1
	ds_read2_b32 v[145:146], v145 offset1:1
	;; [unrolled: 1-line block ×3, first 2 shown]
	v_dot4c_i32_i8 v123, v156, v140
	v_dot4c_i32_i8 v121, v160, v136
	s_waitcnt lgkmcnt(6)
	v_dot4c_i32_i8 v122, v163, v139
	v_add_nc_u32_e32 v149, 0x6188, v26
	v_mov_b32_e32 v180, 0
	v_mov_b32_e32 v181, 0
	v_dot4c_i32_i8 v118, v150, v134
	v_add_nc_u32_e32 v150, 0x6180, v26
	v_add_nc_u32_e32 v151, 0x61b8, v26
	v_dot4c_i32_i8 v123, v153, v141
	s_waitcnt lgkmcnt(5)
	v_dot4c_i32_i8 v120, v165, v129
	v_dot4c_i32_i8 v121, v157, v137
	;; [unrolled: 1-line block ×3, first 2 shown]
	ds_read2_b32 v[155:156], v149 offset1:1
	ds_read2_b32 v[159:160], v150 offset1:1
	;; [unrolled: 1-line block ×3, first 2 shown]
	v_add_nc_u32_e32 v149, 0x61a8, v26
	v_add_nc_u32_e32 v150, 0x61d8, v26
	v_dot4c_i32_i8 v123, v154, v142
	s_waitcnt lgkmcnt(5)
	v_dot4c_i32_i8 v179, v143, v127
	s_waitcnt lgkmcnt(4)
	v_dot4c_i32_i8 v180, v145, v131
	s_waitcnt lgkmcnt(3)
	v_dot4c_i32_i8 v181, v147, v135
	v_dot4c_i32_i8 v120, v166, v130
	ds_read2_b32 v[165:166], v149 offset1:1
	ds_read2_b32 v[169:170], v150 offset1:1
	v_dot4c_i32_i8 v121, v158, v138
	v_dot4c_i32_i8 v179, v144, v128
	;; [unrolled: 1-line block ×4, first 2 shown]
	ds_read_b128 v[143:146], v20 offset:80
	ds_read_b128 v[147:150], v20 offset:64
	ds_read2_b32 v[131:132], v26 offset0:20 offset1:21
	ds_read_b128 v[151:154], v20 offset:112
	ds_read2_b32 v[135:136], v26 offset0:30 offset1:31
	ds_read2_b32 v[157:158], v26 offset0:28 offset1:29
	;; [unrolled: 1-line block ×5, first 2 shown]
	v_mov_b32_e32 v182, 0
	v_mov_b32_e32 v183, 0
	v_dot4c_i32_i8 v122, v161, v141
	v_dot4c_i32_i8 v181, v167, v137
	v_mov_b32_e32 v167, 0
	s_waitcnt lgkmcnt(12)
	v_dot4c_i32_i8 v182, v159, v139
	v_add_nc_u32_e32 v139, 0x61c0, v26
	s_waitcnt lgkmcnt(11)
	v_dot4c_i32_i8 v179, v163, v129
	v_dot4c_i32_i8 v181, v168, v138
	v_mov_b32_e32 v168, 0
	v_dot4c_i32_i8 v182, v160, v140
	v_dot4c_i32_i8 v122, v162, v142
	;; [unrolled: 1-line block ×3, first 2 shown]
	s_waitcnt lgkmcnt(6)
	v_dot4c_i32_i8 v167, v131, v143
	v_add_nc_u32_e32 v131, 0x61d0, v26
	v_dot4c_i32_i8 v180, v165, v133
	s_waitcnt lgkmcnt(3)
	v_dot4c_i32_i8 v168, v157, v151
	v_add_nc_u32_e32 v133, 0x61f0, v26
	v_dot4c_i32_i8 v167, v132, v144
	ds_read2_b32 v[131:132], v131 offset1:1
	ds_read2_b32 v[139:140], v139 offset1:1
	v_dot4c_i32_i8 v168, v158, v152
	v_dot4c_i32_i8 v180, v166, v134
	;; [unrolled: 1-line block ×3, first 2 shown]
	s_waitcnt lgkmcnt(2)
	v_dot4c_i32_i8 v183, v175, v147
	v_add_nc_u32_e32 v157, 0x61f8, v26
	v_dot4c_i32_i8 v168, v135, v153
	ds_read2_b32 v[134:135], v133 offset1:1
	v_add_nc_u32_e32 v133, 0x61c8, v26
	ds_read_b128 v[127:130], v20 offset:96
	ds_read2_b32 v[137:138], v26 offset0:26 offset1:27
	v_dot4c_i32_i8 v182, v156, v142
	v_dot4c_i32_i8 v167, v171, v145
	;; [unrolled: 1-line block ×3, first 2 shown]
	ds_read_b32 v171, v31 offset:256
	ds_read2_b32 v[141:142], v32 offset1:1
	ds_read2_b32 v[155:156], v133 offset1:1
	;; [unrolled: 1-line block ×3, first 2 shown]
	v_mov_b32_e32 v165, 0
	v_add_nc_u32_e32 v159, 0x61e0, v26
	v_dot4c_i32_i8 v167, v172, v146
	v_dot4c_i32_i8 v183, v173, v149
	v_mov_b32_e32 v173, 0
	s_waitcnt lgkmcnt(8)
	v_dot4c_i32_i8 v165, v131, v143
	v_mov_b32_e32 v172, 0
	ds_read2_b32 v[159:160], v159 offset1:1
	v_add_nc_u32_e32 v131, 0x61e8, v26
	s_waitcnt lgkmcnt(8)
	v_dot4c_i32_i8 v173, v139, v147
	v_dot4c_i32_i8 v165, v132, v144
	v_add_nc_u32_e32 v133, 0x20d8, v26
	s_waitcnt lgkmcnt(7)
	v_dot4c_i32_i8 v172, v134, v151
	ds_read2_b32 v[161:162], v131 offset1:1
	ds_read2_b32 v[163:164], v133 offset1:1
	v_dot4c_i32_i8 v173, v140, v148
	v_dot4c_i32_i8 v165, v169, v145
	;; [unrolled: 1-line block ×3, first 2 shown]
	s_waitcnt lgkmcnt(5)
	v_bfe_i32 v135, v141, 8, 8
	v_bfe_i32 v139, v142, 8, 8
	s_waitcnt lgkmcnt(4)
	v_dot4c_i32_i8 v173, v155, v149
	v_dot4c_i32_i8 v165, v170, v146
	ds_read_b128 v[131:134], v24 offset:36944
	v_mul_lo_u32 v135, v181, v135
	v_mov_b32_e32 v169, 0
	v_dot4c_i32_i8 v173, v156, v150
	ds_read2_b32 v[155:156], v25 offset1:1
	v_bfe_i32 v140, v141, 0, 8
	v_mul_lo_u32 v139, v165, v139
	s_waitcnt lgkmcnt(5)
	v_dot4c_i32_i8 v172, v157, v153
	s_waitcnt lgkmcnt(4)
	v_dot4c_i32_i8 v169, v159, v127
	v_bfe_i32 v157, v142, 0, 8
	v_mad_u64_u32 v[165:166], null, v182, v140, v[135:136]
	v_ashrrev_i32_e32 v135, 24, v141
	v_dot4c_i32_i8 v169, v160, v128
	ds_read2_b32 v[159:160], v26 offset0:24 offset1:25
	v_mad_u64_u32 v[139:140], null, v173, v157, v[139:140]
	v_mul_lo_u32 v135, v179, v135
	v_dot4c_i32_i8 v172, v158, v154
	v_cvt_f32_i32_e32 v140, v165
	v_ashrrev_i32_e32 v157, 24, v142
	v_bfe_i32 v141, v141, 16, 8
	s_waitcnt lgkmcnt(4)
	v_dot4c_i32_i8 v169, v161, v129
	v_cvt_f32_i32_e32 v158, v139
	s_waitcnt lgkmcnt(2)
	v_fma_f32 v170, v131, v140, 0
	v_mul_lo_u32 v139, v172, v157
	v_mad_u64_u32 v[140:141], null, v180, v141, v[135:136]
	s_waitcnt lgkmcnt(1)
	v_bfe_i32 v135, v155, 8, 8
	v_dot4c_i32_i8 v169, v162, v130
	v_bfe_i32 v141, v142, 16, 8
	v_mov_b32_e32 v161, 0
	v_bfe_i32 v157, v156, 8, 8
	v_mul_lo_u32 v135, v177, v135
	v_fma_f32 v172, v133, v158, 0
	v_mad_u64_u32 v[141:142], null, v169, v141, v[139:140]
	v_cvt_f32_i32_e32 v142, v140
	v_bfe_i32 v140, v155, 0, 8
	s_waitcnt lgkmcnt(0)
	v_dot4c_i32_i8 v161, v159, v127
	v_mul_lo_u32 v139, v167, v157
	v_dot4c_i32_i8 v168, v136, v154
	v_dot4c_i32_i8 v183, v174, v150
	v_mad_u64_u32 v[157:158], null, v178, v140, v[135:136]
	v_dot4c_i32_i8 v161, v160, v128
	v_cvt_f32_i32_e32 v135, v141
	v_ashrrev_i32_e32 v136, 24, v156
	v_bfe_i32 v159, v156, 0, 8
	v_bfe_i32 v156, v156, 16, 8
	v_dot4c_i32_i8 v161, v137, v129
	v_fmac_f32_e32 v172, v134, v135
	v_cvt_f32_i32_e32 v135, v157
	v_add_nc_u32_e32 v137, 0x20d0, v26
	v_mad_u64_u32 v[139:140], null, v183, v159, v[139:140]
	v_dot4c_i32_i8 v161, v138, v130
	v_fma_f32 v173, v131, v135, 0
	v_mul_lo_u32 v135, v168, v136
	ds_read2_b32 v[136:137], v137 offset1:1
	v_ashrrev_i32_e32 v138, 24, v155
	v_bfe_i32 v157, v155, 16, 8
	v_fmac_f32_e32 v170, v132, v142
	v_cvt_f32_i32_e32 v142, v139
	v_add_nc_u32_e32 v139, 0x20c8, v26
	v_mul_lo_u32 v126, v126, v138
	v_add_nc_u32_e32 v140, 0x20c0, v26
	ds_read2_b32 v[138:139], v139 offset1:1
	ds_read2_b32 v[140:141], v140 offset1:1
	v_mov_b32_e32 v162, 0
	v_mov_b32_e32 v165, 0
	v_mad_u64_u32 v[125:126], null, v125, v157, v[126:127]
	v_add_nc_u32_e32 v126, 0x20f8, v26
	v_fma_f32 v142, v133, v142, 0
	v_mov_b32_e32 v176, 0
	v_mov_b32_e32 v177, 0
	s_waitcnt lgkmcnt(2)
	v_mad_u64_u32 v[155:156], null, v161, v156, v[135:136]
	ds_read_b32 v174, v27
	ds_read_b32 v175, v29 offset:128
	ds_read2_b32 v[156:157], v30 offset1:1
	ds_read2_b32 v[158:159], v28 offset1:1
	;; [unrolled: 1-line block ×3, first 2 shown]
	v_add_nc_u32_e32 v135, 0x20f0, v26
	v_dot4c_i32_i8 v162, v136, v143
	v_add_nc_u32_e32 v126, 0x20e0, v26
	v_add_nc_u32_e32 v166, 0x4148, v26
	;; [unrolled: 1-line block ×3, first 2 shown]
	ds_read2_b32 v[135:136], v135 offset1:1
	v_dot4c_i32_i8 v162, v137, v144
	v_cvt_f32_i32_e32 v137, v155
	v_cvt_f32_i32_e32 v155, v125
	ds_read2_b32 v[125:126], v126 offset1:1
	s_waitcnt lgkmcnt(7)
	v_dot4c_i32_i8 v165, v140, v147
	v_dot4c_i32_i8 v162, v163, v145
	v_fmac_f32_e32 v142, v134, v137
	v_add_nc_u32_e32 v137, 0x20e8, v26
	v_add_nc_u32_e32 v140, 0x4158, v26
	v_dot4c_i32_i8 v165, v141, v148
	v_dot4c_i32_i8 v162, v164, v146
	v_fmac_f32_e32 v173, v132, v155
	s_waitcnt lgkmcnt(3)
	v_bfe_i32 v163, v158, 8, 8
	v_bfe_i32 v164, v159, 8, 8
	v_dot4c_i32_i8 v165, v138, v149
	ds_read2_b32 v[137:138], v137 offset1:1
	ds_read2_b32 v[140:141], v140 offset1:1
	v_add_nc_u32_e32 v155, 0x4160, v26
	v_mul_lo_u32 v124, v124, v163
	v_mov_b32_e32 v178, 0
	s_waitcnt lgkmcnt(3)
	v_dot4c_i32_i8 v176, v135, v151
	v_mul_lo_u32 v135, v162, v164
	v_bfe_i32 v162, v158, 0, 8
	v_dot4c_i32_i8 v165, v139, v150
	v_bfe_i32 v139, v159, 0, 8
	s_waitcnt lgkmcnt(2)
	v_dot4c_i32_i8 v177, v125, v127
	v_dot4c_i32_i8 v176, v136, v152
	v_mad_u64_u32 v[123:124], null, v123, v162, v[124:125]
	v_add_nc_u32_e32 v124, 0x4150, v26
	v_add_nc_u32_e32 v125, 0x4170, v26
	v_mad_u64_u32 v[135:136], null, v165, v139, v[135:136]
	v_dot4c_i32_i8 v177, v126, v128
	v_dot4c_i32_i8 v176, v160, v153
	v_cvt_f32_i32_e32 v139, v123
	ds_read2_b32 v[123:124], v124 offset1:1
	ds_read2_b32 v[125:126], v125 offset1:1
	v_add_nc_u32_e32 v160, 0x4140, v26
	s_waitcnt lgkmcnt(3)
	v_dot4c_i32_i8 v177, v137, v129
	v_cvt_f32_i32_e32 v137, v135
	v_add_nc_u32_e32 v135, 0x4168, v26
	ds_read2_b32 v[135:136], v135 offset1:1
	ds_read2_b32 v[162:163], v155 offset1:1
	;; [unrolled: 1-line block ×5, first 2 shown]
	v_dot4c_i32_i8 v177, v138, v130
	v_fma_f32 v138, v131, v139, 0
	v_mov_b32_e32 v139, 0
	v_bfe_i32 v155, v158, 16, 8
	v_ashrrev_i32_e32 v158, 24, v158
	v_dot4c_i32_i8 v176, v161, v154
	v_mov_b32_e32 v161, 0
	v_bfe_i32 v160, v159, 16, 8
	v_ashrrev_i32_e32 v159, 24, v159
	v_mul_lo_u32 v116, v116, v158
	s_waitcnt lgkmcnt(5)
	v_dot4c_i32_i8 v139, v125, v151
	v_mov_b32_e32 v151, 0
	v_fma_f32 v137, v133, v137, 0
	v_fmac_f32_e32 v6, v174, v173
	v_fmac_f32_e32 v4, v117, v170
	v_dot4c_i32_i8 v139, v126, v152
	v_dot4c_i32_i8 v151, v123, v143
	s_waitcnt lgkmcnt(2)
	v_dot4c_i32_i8 v178, v164, v147
	v_dot4c_i32_i8 v161, v162, v127
	v_ashrrev_i32_e32 v127, 24, v157
	s_waitcnt lgkmcnt(0)
	v_dot4c_i32_i8 v139, v168, v153
	v_dot4c_i32_i8 v151, v124, v144
	v_mad_u64_u32 v[124:125], null, v118, v155, v[116:117]
	v_bfe_i32 v116, v156, 8, 8
	v_dot4c_i32_i8 v178, v165, v148
	v_dot4c_i32_i8 v151, v140, v145
	v_bfe_i32 v118, v157, 8, 8
	v_bfe_i32 v125, v156, 0, 8
	v_mul_lo_u32 v116, v121, v116
	v_ashrrev_i32_e32 v121, 24, v156
	v_dot4c_i32_i8 v151, v141, v146
	v_dot4c_i32_i8 v178, v166, v149
	;; [unrolled: 1-line block ×4, first 2 shown]
	v_mul_lo_u32 v120, v120, v121
	v_mul_lo_u32 v118, v151, v118
	v_mad_u64_u32 v[121:122], null, v122, v125, v[116:117]
	v_dot4c_i32_i8 v178, v167, v150
	v_bfe_i32 v126, v157, 0, 8
	v_dot4c_i32_i8 v161, v135, v129
	v_bfe_i32 v122, v156, 16, 8
	v_mul_lo_u32 v123, v176, v159
	v_mul_lo_u32 v116, v139, v127
	v_mad_u64_u32 v[125:126], null, v178, v126, v[118:119]
	v_dot4c_i32_i8 v161, v136, v130
	v_bfe_i32 v126, v157, 16, 8
	v_mad_u64_u32 v[118:119], null, v119, v122, v[120:121]
	v_cvt_f32_i32_e32 v122, v121
	v_mad_u64_u32 v[119:120], null, v177, v160, v[123:124]
	v_mad_u64_u32 v[120:121], null, v161, v126, v[116:117]
	v_cvt_f32_i32_e32 v116, v124
	v_cvt_f32_i32_e32 v121, v125
	v_fma_f32 v122, v131, v122, 0
	v_cvt_f32_i32_e32 v118, v118
	v_cvt_f32_i32_e32 v119, v119
	v_fmac_f32_e32 v138, v132, v116
	v_fma_f32 v116, v133, v121, 0
	v_cvt_f32_i32_e32 v120, v120
	v_fmac_f32_e32 v122, v132, v118
	v_fmac_f32_e32 v137, v134, v119
	;; [unrolled: 1-line block ×8, first 2 shown]
	s_cmp_ge_i32 s4, s13
	v_fmac_f32_e32 v93, v171, v116
	s_barrier
	buffer_gl0_inv
	s_cbranch_scc1 .LBB235_5
; %bb.12:                               ;   in Loop: Header=BB235_6 Depth=1
	v_cmp_gt_i32_e64 s1, s9, v23
	s_and_b32 s5, s0, s1
	s_and_saveexec_b32 s1, s5
	s_cbranch_execz .LBB235_14
; %bb.13:                               ;   in Loop: Header=BB235_6 Depth=1
	v_add_nc_u32_e32 v116, v34, v23
	v_mad_i64_i32 v[116:117], null, v116, 36, v[2:3]
	global_load_dword v116, v[116:117], off offset:4
	s_waitcnt vmcnt(0)
	ds_write_b32 v22, v116
.LBB235_14:                             ;   in Loop: Header=BB235_6 Depth=1
	s_or_b32 exec_lo, exec_lo, s1
	s_and_saveexec_b32 s5, vcc_lo
	s_cbranch_execz .LBB235_4
; %bb.15:                               ;   in Loop: Header=BB235_6 Depth=1
	v_add_nc_u32_e32 v116, 4, v115
	v_cmp_gt_i32_e64 s1, s9, v116
	s_and_b32 s1, s0, s1
	s_and_b32 exec_lo, exec_lo, s1
	s_cbranch_execz .LBB235_4
; %bb.16:                               ;   in Loop: Header=BB235_6 Depth=1
	v_ashrrev_i32_e32 v116, 31, v115
	v_add_co_u32 v117, s1, v34, v115
	v_add_co_ci_u32_e64 v118, null, v35, v116, s1
	v_mad_u64_u32 v[116:117], null, v117, 36, s[6:7]
	v_mad_i32_i24 v117, v118, 36, v117
	global_load_dword v116, v[116:117], off offset:144
	v_add_nc_u32_e32 v117, v19, v24
	s_waitcnt vmcnt(0)
	v_cvt_f32_f16_e32 v116, v116
	ds_write_b32 v117, v116
	s_branch .LBB235_4
.LBB235_17:
	s_mul_i32 s0, s11, s8
	s_waitcnt vmcnt(0)
	v_cmp_gt_i32_e32 vcc_lo, s0, v5
	s_and_saveexec_b32 s0, vcc_lo
	s_cbranch_execz .LBB235_26
; %bb.18:
	v_add_nc_u32_e32 v1, s16, v0
	v_mul_lo_u32 v0, v5, s10
	s_mov_b32 s0, exec_lo
	v_cmpx_gt_u32_e64 s10, v1
	s_cbranch_execz .LBB235_20
; %bb.19:
	v_add_nc_u32_e32 v2, v0, v1
	v_mov_b32_e32 v3, 0
	v_bfe_u32 v5, v6, 16, 1
	v_cmp_o_f32_e32 vcc_lo, v6, v6
	v_mov_b32_e32 v7, 0x7fc0
	v_lshlrev_b64 v[2:3], 1, v[2:3]
	v_add3_u32 v5, v6, v5, 0x7fff
	v_cndmask_b32_sdwa v5, v7, v5, vcc_lo dst_sel:DWORD dst_unused:UNUSED_PAD src0_sel:DWORD src1_sel:WORD_1
	v_add_co_u32 v2, vcc_lo, s2, v2
	v_add_co_ci_u32_e64 v3, null, s3, v3, vcc_lo
	global_store_short v[2:3], v5, off
.LBB235_20:
	s_or_b32 exec_lo, exec_lo, s0
	v_add_nc_u32_e32 v2, 32, v1
	s_mov_b32 s0, exec_lo
	v_cmpx_gt_u32_e64 s10, v2
	s_cbranch_execz .LBB235_22
; %bb.21:
	v_add_nc_u32_e32 v2, v0, v2
	v_mov_b32_e32 v3, 0
	v_bfe_u32 v5, v100, 16, 1
	v_cmp_o_f32_e32 vcc_lo, v100, v100
	v_mov_b32_e32 v6, 0x7fc0
	v_lshlrev_b64 v[2:3], 1, v[2:3]
	v_add3_u32 v5, v100, v5, 0x7fff
	v_cndmask_b32_sdwa v5, v6, v5, vcc_lo dst_sel:DWORD dst_unused:UNUSED_PAD src0_sel:DWORD src1_sel:WORD_1
	v_add_co_u32 v2, vcc_lo, s2, v2
	v_add_co_ci_u32_e64 v3, null, s3, v3, vcc_lo
	global_store_short v[2:3], v5, off
.LBB235_22:
	s_or_b32 exec_lo, exec_lo, s0
	v_add_nc_u32_e32 v2, 64, v1
	;; [unrolled: 18-line block ×3, first 2 shown]
	v_cmp_gt_u32_e32 vcc_lo, s10, v1
	s_and_b32 exec_lo, exec_lo, vcc_lo
	s_cbranch_execz .LBB235_26
; %bb.25:
	v_add_nc_u32_e32 v0, v0, v1
	v_mov_b32_e32 v1, 0
	v_bfe_u32 v2, v4, 16, 1
	v_cmp_o_f32_e32 vcc_lo, v4, v4
	v_mov_b32_e32 v3, 0x7fc0
	v_lshlrev_b64 v[0:1], 1, v[0:1]
	v_add3_u32 v2, v4, v2, 0x7fff
	v_cndmask_b32_sdwa v2, v3, v2, vcc_lo dst_sel:DWORD dst_unused:UNUSED_PAD src0_sel:DWORD src1_sel:WORD_1
	v_add_co_u32 v0, vcc_lo, s2, v0
	v_add_co_ci_u32_e64 v1, null, s3, v1, vcc_lo
	global_store_short v[0:1], v2, off
.LBB235_26:
	s_endpgm
	.section	.rodata,"a",@progbits
	.p2align	6, 0x0
	.amdhsa_kernel _ZL8moe_q6_KIN3c108BFloat16ELb0EEvPKvS3_PT_PKiS7_S7_iiiiiii
		.amdhsa_group_segment_fixed_size 37072
		.amdhsa_private_segment_fixed_size 0
		.amdhsa_kernarg_size 76
		.amdhsa_user_sgpr_count 6
		.amdhsa_user_sgpr_private_segment_buffer 1
		.amdhsa_user_sgpr_dispatch_ptr 0
		.amdhsa_user_sgpr_queue_ptr 0
		.amdhsa_user_sgpr_kernarg_segment_ptr 1
		.amdhsa_user_sgpr_dispatch_id 0
		.amdhsa_user_sgpr_flat_scratch_init 0
		.amdhsa_user_sgpr_private_segment_size 0
		.amdhsa_wavefront_size32 1
		.amdhsa_uses_dynamic_stack 0
		.amdhsa_system_sgpr_private_segment_wavefront_offset 0
		.amdhsa_system_sgpr_workgroup_id_x 1
		.amdhsa_system_sgpr_workgroup_id_y 1
		.amdhsa_system_sgpr_workgroup_id_z 0
		.amdhsa_system_sgpr_workgroup_info 0
		.amdhsa_system_vgpr_workitem_id 1
		.amdhsa_next_free_vgpr 187
		.amdhsa_next_free_sgpr 22
		.amdhsa_reserve_vcc 1
		.amdhsa_reserve_flat_scratch 0
		.amdhsa_float_round_mode_32 0
		.amdhsa_float_round_mode_16_64 0
		.amdhsa_float_denorm_mode_32 3
		.amdhsa_float_denorm_mode_16_64 3
		.amdhsa_dx10_clamp 1
		.amdhsa_ieee_mode 1
		.amdhsa_fp16_overflow 0
		.amdhsa_workgroup_processor_mode 1
		.amdhsa_memory_ordered 1
		.amdhsa_forward_progress 1
		.amdhsa_shared_vgpr_count 0
		.amdhsa_exception_fp_ieee_invalid_op 0
		.amdhsa_exception_fp_denorm_src 0
		.amdhsa_exception_fp_ieee_div_zero 0
		.amdhsa_exception_fp_ieee_overflow 0
		.amdhsa_exception_fp_ieee_underflow 0
		.amdhsa_exception_fp_ieee_inexact 0
		.amdhsa_exception_int_div_zero 0
	.end_amdhsa_kernel
	.section	.text._ZL8moe_q6_KIN3c108BFloat16ELb0EEvPKvS3_PT_PKiS7_S7_iiiiiii,"axG",@progbits,_ZL8moe_q6_KIN3c108BFloat16ELb0EEvPKvS3_PT_PKiS7_S7_iiiiiii,comdat
.Lfunc_end235:
	.size	_ZL8moe_q6_KIN3c108BFloat16ELb0EEvPKvS3_PT_PKiS7_S7_iiiiiii, .Lfunc_end235-_ZL8moe_q6_KIN3c108BFloat16ELb0EEvPKvS3_PT_PKiS7_S7_iiiiiii
                                        ; -- End function
	.set _ZL8moe_q6_KIN3c108BFloat16ELb0EEvPKvS3_PT_PKiS7_S7_iiiiiii.num_vgpr, 187
	.set _ZL8moe_q6_KIN3c108BFloat16ELb0EEvPKvS3_PT_PKiS7_S7_iiiiiii.num_agpr, 0
	.set _ZL8moe_q6_KIN3c108BFloat16ELb0EEvPKvS3_PT_PKiS7_S7_iiiiiii.numbered_sgpr, 22
	.set _ZL8moe_q6_KIN3c108BFloat16ELb0EEvPKvS3_PT_PKiS7_S7_iiiiiii.num_named_barrier, 0
	.set _ZL8moe_q6_KIN3c108BFloat16ELb0EEvPKvS3_PT_PKiS7_S7_iiiiiii.private_seg_size, 0
	.set _ZL8moe_q6_KIN3c108BFloat16ELb0EEvPKvS3_PT_PKiS7_S7_iiiiiii.uses_vcc, 1
	.set _ZL8moe_q6_KIN3c108BFloat16ELb0EEvPKvS3_PT_PKiS7_S7_iiiiiii.uses_flat_scratch, 0
	.set _ZL8moe_q6_KIN3c108BFloat16ELb0EEvPKvS3_PT_PKiS7_S7_iiiiiii.has_dyn_sized_stack, 0
	.set _ZL8moe_q6_KIN3c108BFloat16ELb0EEvPKvS3_PT_PKiS7_S7_iiiiiii.has_recursion, 0
	.set _ZL8moe_q6_KIN3c108BFloat16ELb0EEvPKvS3_PT_PKiS7_S7_iiiiiii.has_indirect_call, 0
	.section	.AMDGPU.csdata,"",@progbits
; Kernel info:
; codeLenInByte = 14976
; TotalNumSgprs: 24
; NumVgprs: 187
; ScratchSize: 0
; MemoryBound: 0
; FloatMode: 240
; IeeeMode: 1
; LDSByteSize: 37072 bytes/workgroup (compile time only)
; SGPRBlocks: 0
; VGPRBlocks: 23
; NumSGPRsForWavesPerEU: 24
; NumVGPRsForWavesPerEU: 187
; Occupancy: 5
; WaveLimiterHint : 1
; COMPUTE_PGM_RSRC2:SCRATCH_EN: 0
; COMPUTE_PGM_RSRC2:USER_SGPR: 6
; COMPUTE_PGM_RSRC2:TRAP_HANDLER: 0
; COMPUTE_PGM_RSRC2:TGID_X_EN: 1
; COMPUTE_PGM_RSRC2:TGID_Y_EN: 1
; COMPUTE_PGM_RSRC2:TGID_Z_EN: 0
; COMPUTE_PGM_RSRC2:TIDIG_COMP_CNT: 1
	.section	.text._ZL8moe_q6_KIN3c108BFloat16ELb1EEvPKvS3_PT_PKiS7_S7_iiiiiii,"axG",@progbits,_ZL8moe_q6_KIN3c108BFloat16ELb1EEvPKvS3_PT_PKiS7_S7_iiiiiii,comdat
	.globl	_ZL8moe_q6_KIN3c108BFloat16ELb1EEvPKvS3_PT_PKiS7_S7_iiiiiii ; -- Begin function _ZL8moe_q6_KIN3c108BFloat16ELb1EEvPKvS3_PT_PKiS7_S7_iiiiiii
	.p2align	8
	.type	_ZL8moe_q6_KIN3c108BFloat16ELb1EEvPKvS3_PT_PKiS7_S7_iiiiiii,@function
_ZL8moe_q6_KIN3c108BFloat16ELb1EEvPKvS3_PT_PKiS7_S7_iiiiiii: ; @_ZL8moe_q6_KIN3c108BFloat16ELb1EEvPKvS3_PT_PKiS7_S7_iiiiiii
; %bb.0:
	s_load_dwordx4 s[0:3], s[4:5], 0x18
	s_mov_b32 s8, s7
	s_mov_b32 s9, 0
	s_lshl_b64 s[10:11], s[8:9], 2
	s_waitcnt lgkmcnt(0)
	s_add_u32 s2, s2, s10
	s_addc_u32 s3, s3, s11
	s_load_dword s16, s[2:3], 0x0
	s_waitcnt lgkmcnt(0)
	s_cmpk_gt_u32 s16, 0xff
	s_cbranch_scc1 .LBB236_26
; %bb.1:
	s_load_dwordx2 s[2:3], s[4:5], 0x28
	s_waitcnt lgkmcnt(0)
	s_load_dword s3, s[2:3], 0x0
	s_lshl_b32 s2, s8, 3
	s_waitcnt lgkmcnt(0)
	s_cmp_gt_u32 s2, s3
	s_cbranch_scc1 .LBB236_26
; %bb.2:
	v_add_nc_u32_e32 v19, s2, v1
	v_mov_b32_e32 v20, 0
	v_lshlrev_b64 v[2:3], 2, v[19:20]
	v_mov_b32_e32 v95, v20
	v_mov_b32_e32 v106, v20
	;; [unrolled: 1-line block ×3, first 2 shown]
	v_add_co_u32 v2, vcc_lo, s0, v2
	v_add_co_ci_u32_e64 v3, null, s1, v3, vcc_lo
	global_load_dword v21, v[2:3], off
	s_clause 0x1
	s_load_dwordx8 s[8:15], s[4:5], 0x30
	s_load_dwordx2 s[2:3], s[4:5], 0x10
	s_waitcnt lgkmcnt(0)
	s_lshl_b32 s15, s6, 7
	s_cmpk_lt_i32 s9, 0x100
	s_cbranch_scc1 .LBB236_17
; %bb.3:
	v_and_b32_e32 v2, 31, v0
	s_ashr_i32 s0, s9, 31
	s_ashr_i32 s1, s12, 31
	s_lshr_b32 s0, s0, 24
	s_lshr_b32 s1, s1, 27
	v_lshlrev_b32_e32 v3, 1, v2
	v_cmp_gt_u32_e32 vcc_lo, 16, v2
	v_add_nc_u16 v4, v2, -16
	s_add_i32 s0, s9, s0
	v_lshlrev_b32_e32 v20, 2, v2
	v_add_nc_u32_e32 v5, 0xe0, v3
	s_add_i32 s1, s12, s1
	v_cndmask_b32_e32 v4, v4, v2, vcc_lo
	s_ashr_i32 s12, s0, 8
	s_not_b32 s0, s15
	v_cndmask_b32_e32 v5, v5, v3, vcc_lo
	v_add_nc_u32_e32 v6, 8, v1
	s_add_i32 s0, s10, s0
	v_lshrrev_b32_e32 v19, 5, v0
	v_cmp_lt_u16_e32 vcc_lo, 7, v4
	v_and_b32_e32 v5, 0xfe, v5
	v_add_nc_u32_e32 v4, 16, v1
	v_min_i32_e32 v6, s0, v6
	v_add_nc_u32_e32 v7, 24, v1
	v_lshl_add_u32 v17, v1, 5, v0
	v_sub_nc_u32_e32 v2, v3, v5
	v_and_b32_e32 v3, 15, v0
	v_min_i32_e32 v5, s0, v1
	v_mul_lo_u32 v40, v6, s12
	v_add_nc_u32_e32 v8, 40, v1
	v_add_nc_u32_e32 v9, 48, v1
	v_add_lshl_u32 v18, v2, v3, 2
	v_mul_lo_u32 v39, v5, s12
	v_add_nc_u32_e32 v10, 56, v1
	v_add_nc_u32_e32 v11, 64, v1
	;; [unrolled: 1-line block ×3, first 2 shown]
	v_mad_u64_u32 v[2:3], null, 0x104, v5, v[18:19]
	v_min_i32_e32 v5, s0, v4
	v_mad_u64_u32 v[3:4], null, 0x104, v6, v[18:19]
	v_min_i32_e32 v6, s0, v7
	v_add_nc_u32_e32 v7, 32, v1
	v_and_b32_e32 v17, 0x7f, v17
	v_lshrrev_b32_e32 v25, 2, v0
	v_min_i32_e32 v8, s0, v8
	v_add_nc_u32_e32 v13, 0x50, v1
	v_min_i32_e32 v7, s0, v7
	v_min_i32_e32 v9, s0, v9
	v_add_nc_u32_e32 v14, 0x58, v1
	v_mul_lo_u32 v45, v5, s12
	v_mad_u64_u32 v[4:5], null, 0x104, v5, v[18:19]
	v_min_i32_e32 v10, s0, v10
	v_add_nc_u32_e32 v15, 0x60, v1
	v_mul_lo_u32 v49, v6, s12
	v_mad_u64_u32 v[5:6], null, 0x104, v6, v[18:19]
	;; [unrolled: 4-line block ×3, first 2 shown]
	v_min_i32_e32 v12, s0, v12
	v_add_nc_u32_e32 v24, 0x70, v1
	v_min_i32_e32 v26, s0, v17
	v_lshl_add_u32 v17, v1, 3, v25
	v_mul_lo_u32 v57, v8, s12
	v_mad_u64_u32 v[7:8], null, 0x104, v8, v[18:19]
	v_min_i32_e32 v13, s0, v13
	v_mul_lo_u32 v61, v9, s12
	v_mad_u64_u32 v[8:9], null, 0x104, v9, v[18:19]
	v_min_i32_e32 v14, s0, v14
	;; [unrolled: 3-line block ×5, first 2 shown]
	v_ashrrev_i32_e32 v25, 31, v26
	v_and_b32_e32 v27, 0x7f, v17
	v_mul_lo_u32 v77, v13, s12
	v_mad_u64_u32 v[12:13], null, 0x104, v13, v[18:19]
	v_mul_lo_u32 v81, v14, s12
	v_mad_u64_u32 v[13:14], null, 0x104, v14, v[18:19]
	s_abs_i32 s10, s14
	v_mul_lo_u32 v85, v15, s12
	v_mad_u64_u32 v[14:15], null, 0x104, v15, v[18:19]
	v_mul_lo_u32 v89, v16, s12
	v_mad_u64_u32 v[15:16], null, 0x104, v16, v[18:19]
	v_cvt_f32_u32_e32 v28, s10
	v_mul_lo_u32 v93, v24, s12
	v_mad_u64_u32 v[16:17], null, 0x104, v24, v[18:19]
	v_lshrrev_b32_e32 v24, 27, v25
	v_min_i32_e32 v25, s0, v27
	v_xor_b32_e32 v27, 64, v27
	v_add_nc_u32_e32 v17, 0x78, v1
	v_rcp_iflag_f32_e32 v28, v28
	v_lshlrev_b32_e32 v41, 2, v0
	v_ashrrev_i32_e32 v29, 31, v25
	v_min_i32_e32 v27, s0, v27
	v_min_i32_e32 v17, s0, v17
	s_sub_i32 s0, 0, s10
	v_lshlrev_b32_e32 v32, 4, v0
	v_lshrrev_b32_e32 v29, 29, v29
	v_ashrrev_i32_e32 v30, 31, v27
	v_mul_lo_u32 v99, v17, s12
	v_mad_u64_u32 v[17:18], null, 0x104, v17, v[18:19]
	v_mul_f32_e32 v28, 0x4f7ffffe, v28
	v_add_nc_u32_e32 v18, v25, v29
	v_lshrrev_b32_e32 v29, 29, v30
	v_and_b32_e32 v30, 3, v0
	v_lshlrev_b32_e32 v33, 2, v19
	v_cvt_u32_f32_e32 v28, v28
	v_ashrrev_i32_e32 v18, 3, v18
	v_add_nc_u32_e32 v29, v27, v29
	v_lshlrev_b32_e32 v113, 2, v30
	v_add_nc_u32_e32 v36, 64, v0
	v_mul_lo_u32 v30, s0, v28
	v_lshlrev_b32_e32 v18, 2, v18
	v_ashrrev_i32_e32 v29, 3, v29
	s_load_dwordx4 s[4:7], s[4:5], 0x0
	v_lshrrev_b32_e32 v44, 3, v36
	v_lshlrev_b32_e32 v36, 4, v36
	v_add3_u32 v114, v18, v113, 0x8200
	v_lshlrev_b32_e32 v18, 2, v29
	v_mul_hi_u32 v29, v28, v30
	v_add_nc_u32_e32 v30, 32, v0
	s_ashr_i32 s18, s1, 5
	s_mul_i32 s1, s12, s15
	v_add3_u32 v116, v18, v113, 0x8200
	s_waitcnt vmcnt(0)
	v_sub_nc_u32_e32 v18, 0, v21
	v_lshlrev_b32_e32 v43, 4, v30
	s_mul_i32 s8, s16, s8
	v_add_nc_u32_e32 v29, v28, v29
	v_lshrrev_b32_e32 v28, 3, v0
	v_max_i32_e32 v18, v21, v18
	s_mul_hi_i32 s17, s1, 0xd2
	s_mul_i32 s16, s1, 0xd2
	v_and_b32_e32 v38, 7, v0
	v_lshlrev_b32_e32 v31, 2, v28
	v_mul_hi_u32 v35, v18, v29
	v_lshrrev_b32_e32 v29, 3, v30
	v_mad_u64_u32 v[95:96], null, 0xd2, v19, s[16:17]
	v_add3_u32 v30, v32, v31, 0x8200
	v_add3_u32 v32, v41, v33, 0x8e40
	v_lshlrev_b32_e32 v34, 2, v29
	v_lshlrev_b32_e32 v19, 2, v38
	v_mul_lo_u32 v37, v35, s10
	v_and_b32_e32 v42, 28, v41
	v_mul_lo_u32 v109, v25, s12
	v_add3_u32 v33, v43, v34, 0x8200
	v_add_nc_u32_e32 v43, 1, v35
	v_and_b32_e32 v34, 60, v29
	v_lshlrev_b32_e32 v115, 4, v25
	v_add_nc_u32_e32 v25, 0x9050, v41
	v_sub_nc_u32_e32 v18, v18, v37
	v_lshlrev_b32_e32 v37, 2, v44
	v_and_b32_e32 v44, 60, v44
	v_add3_u32 v34, v41, v34, 0x8e40
	v_mad_i64_i32 v[51:52], null, 0xd2, v45, v[95:96]
	v_subrev_nc_u32_e32 v46, s10, v18
	v_cmp_le_u32_e64 s0, s10, v18
	v_mad_i64_i32 v[55:56], null, 0xd2, v49, v[95:96]
	v_mad_i64_i32 v[59:60], null, 0xd2, v53, v[95:96]
	v_cndmask_b32_e64 v43, v35, v43, s0
	v_cndmask_b32_e64 v18, v18, v46, s0
	v_add3_u32 v35, v36, v37, 0x8200
	v_xor_b32_e32 v36, s14, v21
	v_add_nc_u32_e32 v37, 0x60, v0
	v_add_nc_u32_e32 v46, 1, v43
	v_cmp_le_u32_e64 s0, s10, v18
	v_mad_i64_i32 v[63:64], null, 0xd2, v57, v[95:96]
	v_ashrrev_i32_e32 v48, 31, v36
	v_lshrrev_b32_e32 v47, 3, v37
	v_cndmask_b32_e64 v18, v43, v46, s0
	v_add3_u32 v36, v41, v44, 0x8e40
	v_lshlrev_b32_e32 v37, 4, v37
	v_mad_i64_i32 v[67:68], null, 0xd2, v61, v[95:96]
	v_xor_b32_e32 v18, v18, v48
	v_lshlrev_b32_e32 v43, 2, v47
	v_and_b32_e32 v44, 60, v47
	v_mad_i64_i32 v[71:72], null, 0xd2, v65, v[95:96]
	v_sub_nc_u32_e32 v46, v18, v48
	v_lshlrev_b32_e32 v18, 1, v0
	v_add3_u32 v37, v37, v43, 0x8200
	v_add3_u32 v38, v41, v44, 0x8e40
	v_mad_i64_i32 v[43:44], null, 0xd2, v39, v[95:96]
	v_and_or_b32 v102, v18, 32, v19
	s_waitcnt lgkmcnt(0)
	v_add_co_u32 v18, s1, s6, v42
	v_add_co_ci_u32_e64 v19, null, s7, 0, s1
	v_mad_i64_i32 v[47:48], null, 0xd2, v40, v[95:96]
	v_add_co_u32 v41, s1, v43, v102
	v_add_co_ci_u32_e64 v42, null, 0, v44, s1
	v_cmp_gt_i32_e64 s0, s11, v46
	v_add_co_u32 v41, s1, s4, v41
	v_add_co_ci_u32_e64 v42, null, s5, v42, s1
	v_mul_lo_u32 v39, v46, s18
	v_add_co_u32 v41, s1, 0x80, v41
	v_add_co_ci_u32_e64 v42, null, 0, v42, s1
	v_add_co_u32 v46, s1, v47, v102
	v_add_co_ci_u32_e64 v50, null, 0, v48, s1
	;; [unrolled: 2-line block ×32, first 2 shown]
	v_add_co_u32 v67, s1, v67, v20
	v_mad_i64_i32 v[75:76], null, 0xd2, v69, v[95:96]
	v_add_co_ci_u32_e64 v68, null, 0, v68, s1
	v_add_co_u32 v70, s1, s4, v70
	v_add_co_ci_u32_e64 v74, null, s5, v74, s1
	v_add_co_u32 v67, s1, s4, v67
	v_add_co_ci_u32_e64 v68, null, s5, v68, s1
	v_add_co_u32 v69, s1, 0x80, v70
	v_add_co_ci_u32_e64 v70, null, 0, v74, s1
	v_add_co_u32 v74, s1, v75, v102
	v_add_co_ci_u32_e64 v78, null, 0, v76, s1
	v_add_co_u32 v71, s1, v71, v20
	v_mad_i64_i32 v[79:80], null, 0xd2, v73, v[95:96]
	v_add_co_ci_u32_e64 v72, null, 0, v72, s1
	v_add_co_u32 v74, s1, s4, v74
	v_add_co_ci_u32_e64 v78, null, s5, v78, s1
	v_add_co_u32 v71, s1, s4, v71
	v_add_co_ci_u32_e64 v72, null, s5, v72, s1
	v_add_co_u32 v73, s1, 0x80, v74
	v_add_co_ci_u32_e64 v74, null, 0, v78, s1
	v_add_co_u32 v78, s1, v79, v102
	v_add_co_ci_u32_e64 v82, null, 0, v80, s1
	;; [unrolled: 11-line block ×6, first 2 shown]
	v_add_co_u32 v91, s1, v91, v20
	v_add_co_ci_u32_e64 v92, null, 0, v92, s1
	v_add_co_u32 v94, s1, s4, v94
	v_add_co_ci_u32_e64 v103, null, s5, v100, s1
	v_mad_i64_i32 v[100:101], null, 0xd2, v93, v[95:96]
	v_add_co_u32 v91, s1, s4, v91
	v_add_co_ci_u32_e64 v92, null, s5, v92, s1
	v_add_co_u32 v93, s1, 0x80, v94
	v_add_co_ci_u32_e64 v94, null, 0, v103, s1
	;; [unrolled: 2-line block ×4, first 2 shown]
	v_add_co_u32 v103, s1, s4, v103
	v_add_nc_u32_e32 v24, v26, v24
	v_add_co_ci_u32_e64 v107, null, s5, v104, s1
	v_mad_i64_i32 v[104:105], null, 0xd2, v99, v[95:96]
	v_add_co_u32 v96, s1, s4, v97
	v_ashrrev_i32_e32 v24, 5, v24
	v_add_co_ci_u32_e64 v97, null, s5, v98, s1
	v_add_co_u32 v98, s1, 0x80, v103
	v_add_co_ci_u32_e64 v99, null, 0, v107, s1
	v_add_co_u32 v95, s1, v104, v102
	v_cndmask_b32_e64 v23, 0, 2, vcc_lo
	v_mul_lo_u32 v106, v26, s12
	v_lshlrev_b32_e32 v24, 2, v24
	v_lshlrev_b32_e32 v26, 2, v26
	v_cmp_gt_u32_e32 vcc_lo, 4, v0
	v_add_co_ci_u32_e64 v102, null, 0, v105, s1
	v_add_co_u32 v100, s1, v100, v20
	v_add_co_ci_u32_e64 v101, null, 0, v101, s1
	v_add_co_u32 v95, s1, s4, v95
	s_ashr_i32 s19, s8, 31
	v_add3_u32 v24, v24, v26, 0x8e40
	v_mul_lo_u32 v111, v27, s12
	v_lshl_add_u32 v26, v1, 7, 0x8a40
	s_and_b32 s10, vcc_lo, s0
	v_add_co_ci_u32_e64 v103, null, s5, v102, s1
	v_add_co_u32 v100, s1, s4, v100
	s_add_u32 s20, s4, s16
	s_addc_u32 s21, s5, s17
	v_add_co_ci_u32_e64 v101, null, s5, v101, s1
	v_add_co_u32 v102, s1, 0x80, v95
	v_mad_i64_i32 v[107:108], null, 0xd2, v106, s[20:21]
	v_lshlrev_b32_e32 v117, 4, v27
	v_add_nc_u32_e32 v27, v26, v20
	v_add_co_ci_u32_e64 v103, null, 0, v103, s1
	v_add_co_u32 v20, s1, v104, v20
	v_mad_i64_i32 v[109:110], null, 0xd2, v109, 0
	v_add_co_ci_u32_e64 v95, null, 0, v105, s1
	v_mad_i64_i32 v[111:112], null, 0xd2, v111, 0
	v_add_co_u32 v104, s1, s4, v20
	v_add_co_ci_u32_e64 v105, null, s5, v95, s1
	v_add_co_u32 v107, s1, 0xd0, v107
	v_add_co_ci_u32_e64 v108, null, 0, v108, s1
	;; [unrolled: 2-line block ×9, first 2 shown]
	v_add_co_u32 v111, s1, 0xc0, v106
	v_mov_b32_e32 v22, 0
	v_lshlrev_b32_e32 v1, 4, v1
	v_mul_u32_u24_e32 v31, 0x104, v0
	v_ashrrev_i32_e32 v40, 31, v39
	v_add_co_ci_u32_e64 v112, null, 0, v112, s1
	v_add_nc_u32_e32 v113, v114, v115
	v_add_nc_u32_e32 v114, v116, v117
	v_mov_b32_e32 v115, v0
	v_mov_b32_e32 v106, 0
	v_mov_b32_e32 v95, 0
	v_mov_b32_e32 v20, 0
	s_movk_i32 s4, 0x80
	s_branch .LBB236_6
.LBB236_4:                              ;   in Loop: Header=BB236_6 Depth=1
	s_or_b32 exec_lo, exec_lo, s5
	s_waitcnt lgkmcnt(0)
	s_barrier
	buffer_gl0_inv
	ds_read2_b32 v[116:117], v31 offset0:44 offset1:45
	ds_read_b128 v[127:130], v26 offset:48
	ds_read_b128 v[131:134], v26 offset:32
	ds_read2_b32 v[118:119], v31 offset0:36 offset1:37
	ds_read2_b32 v[120:121], v31 offset0:40 offset1:41
	ds_read_b128 v[135:138], v26 offset:16
	ds_read_b128 v[139:142], v26
	ds_read2_b32 v[122:123], v31 offset0:46 offset1:47
	ds_read2_b32 v[143:144], v31 offset0:42 offset1:43
	;; [unrolled: 1-line block ×5, first 2 shown]
	v_mov_b32_e32 v126, 0
	v_add_nc_u32_e32 v124, 0x2130, v31
	v_mov_b32_e32 v125, 0
	v_mov_b32_e32 v177, 0
	v_add_nc_u32_e32 v153, 0x2110, v31
	v_mov_b32_e32 v178, 0
	ds_read2_b32 v[151:152], v124 offset1:1
	v_add_nc_u32_e32 v124, 0x4198, v31
	v_add_nc_u32_e32 v165, 0x41b8, v31
	s_waitcnt lgkmcnt(11)
	v_dot4c_i32_i8 v126, v116, v127
	v_add_nc_u32_e32 v116, 0x2108, v31
	v_mov_b32_e32 v179, 0
	s_waitcnt lgkmcnt(8)
	v_dot4c_i32_i8 v125, v120, v131
	s_waitcnt lgkmcnt(7)
	v_dot4c_i32_i8 v177, v118, v135
	v_dot4c_i32_i8 v126, v117, v128
	v_add_nc_u32_e32 v117, 0x2100, v31
	v_add_nc_u32_e32 v118, 0x2138, v31
	v_dot4c_i32_i8 v125, v121, v132
	v_dot4c_i32_i8 v177, v119, v136
	s_waitcnt lgkmcnt(5)
	v_dot4c_i32_i8 v126, v122, v129
	ds_read2_b32 v[121:122], v153 offset1:1
	ds_read2_b32 v[153:154], v116 offset1:1
	;; [unrolled: 1-line block ×4, first 2 shown]
	v_mov_b32_e32 v116, 0
	s_waitcnt lgkmcnt(5)
	v_dot4c_i32_i8 v178, v149, v139
	v_add_nc_u32_e32 v119, 0x2128, v31
	v_dot4c_i32_i8 v126, v123, v130
	v_dot4c_i32_i8 v125, v143, v133
	s_waitcnt lgkmcnt(4)
	v_dot4c_i32_i8 v116, v151, v127
	v_dot4c_i32_i8 v178, v150, v140
	v_add_nc_u32_e32 v123, 0x2118, v31
	v_add_nc_u32_e32 v120, 0x2120, v31
	v_dot4c_i32_i8 v177, v145, v137
	v_dot4c_i32_i8 v116, v152, v128
	;; [unrolled: 1-line block ×3, first 2 shown]
	ds_read2_b32 v[149:150], v119 offset1:1
	ds_read2_b32 v[119:120], v120 offset1:1
	;; [unrolled: 1-line block ×3, first 2 shown]
	v_dot4c_i32_i8 v125, v144, v134
	ds_read2_b32 v[143:144], v123 offset1:1
	v_add_nc_u32_e32 v123, 0x41a8, v31
	v_add_nc_u32_e32 v124, 0x41a0, v31
	v_dot4c_i32_i8 v177, v146, v138
	v_dot4c_i32_i8 v178, v148, v142
	s_waitcnt lgkmcnt(4)
	v_dot4c_i32_i8 v116, v117, v129
	v_add_nc_u32_e32 v117, 0x41b0, v31
	ds_read2_b32 v[145:146], v117 offset1:1
	ds_read2_b32 v[147:148], v123 offset1:1
	;; [unrolled: 1-line block ×3, first 2 shown]
	v_dot4c_i32_i8 v116, v118, v130
	v_mov_b32_e32 v118, 0
	v_add_nc_u32_e32 v117, 0x4190, v31
	v_add_nc_u32_e32 v123, 0x4188, v31
	;; [unrolled: 1-line block ×3, first 2 shown]
	ds_read2_b32 v[159:160], v117 offset1:1
	ds_read2_b32 v[161:162], v123 offset1:1
	;; [unrolled: 1-line block ×4, first 2 shown]
	s_waitcnt lgkmcnt(9)
	v_dot4c_i32_i8 v118, v119, v131
	v_mov_b32_e32 v124, 0
	v_mov_b32_e32 v119, 0
	v_add_nc_u32_e32 v117, 0x6218, v31
	v_mov_b32_e32 v123, 0
	v_dot4c_i32_i8 v118, v120, v132
	v_dot4c_i32_i8 v124, v121, v135
	v_mov_b32_e32 v120, 0
	ds_read2_b32 v[167:168], v117 offset1:1
	ds_read_b32 v117, v38 offset:384
	v_mov_b32_e32 v121, 0
	s_waitcnt lgkmcnt(6)
	v_dot4c_i32_i8 v119, v151, v131
	v_dot4c_i32_i8 v124, v122, v136
	;; [unrolled: 1-line block ×3, first 2 shown]
	v_add_nc_u32_e32 v145, 0x6220, v31
	v_dot4c_i32_i8 v123, v155, v139
	v_dot4c_i32_i8 v119, v152, v132
	;; [unrolled: 1-line block ×3, first 2 shown]
	v_add_nc_u32_e32 v143, 0x6230, v31
	v_dot4c_i32_i8 v120, v146, v128
	s_waitcnt lgkmcnt(5)
	v_dot4c_i32_i8 v121, v159, v135
	v_dot4c_i32_i8 v119, v147, v133
	v_add_nc_u32_e32 v147, 0x6210, v31
	v_dot4c_i32_i8 v124, v144, v138
	v_mov_b32_e32 v122, 0
	v_dot4c_i32_i8 v118, v149, v133
	v_dot4c_i32_i8 v119, v148, v134
	ds_read2_b32 v[143:144], v143 offset1:1
	ds_read2_b32 v[145:146], v145 offset1:1
	;; [unrolled: 1-line block ×3, first 2 shown]
	v_dot4c_i32_i8 v123, v156, v140
	v_dot4c_i32_i8 v121, v160, v136
	s_waitcnt lgkmcnt(6)
	v_dot4c_i32_i8 v122, v163, v139
	v_add_nc_u32_e32 v149, 0x6208, v31
	v_mov_b32_e32 v180, 0
	v_mov_b32_e32 v181, 0
	v_dot4c_i32_i8 v118, v150, v134
	v_add_nc_u32_e32 v150, 0x6200, v31
	v_add_nc_u32_e32 v151, 0x6238, v31
	v_dot4c_i32_i8 v123, v153, v141
	s_waitcnt lgkmcnt(5)
	v_dot4c_i32_i8 v120, v165, v129
	v_dot4c_i32_i8 v121, v157, v137
	;; [unrolled: 1-line block ×3, first 2 shown]
	ds_read2_b32 v[155:156], v149 offset1:1
	ds_read2_b32 v[159:160], v150 offset1:1
	;; [unrolled: 1-line block ×3, first 2 shown]
	v_add_nc_u32_e32 v149, 0x6228, v31
	v_add_nc_u32_e32 v150, 0x6258, v31
	v_dot4c_i32_i8 v123, v154, v142
	s_waitcnt lgkmcnt(5)
	v_dot4c_i32_i8 v179, v143, v127
	s_waitcnt lgkmcnt(4)
	v_dot4c_i32_i8 v180, v145, v131
	s_waitcnt lgkmcnt(3)
	v_dot4c_i32_i8 v181, v147, v135
	v_dot4c_i32_i8 v120, v166, v130
	ds_read2_b32 v[165:166], v149 offset1:1
	ds_read2_b32 v[169:170], v150 offset1:1
	v_dot4c_i32_i8 v121, v158, v138
	v_dot4c_i32_i8 v179, v144, v128
	;; [unrolled: 1-line block ×4, first 2 shown]
	ds_read_b128 v[143:146], v26 offset:80
	ds_read_b128 v[147:150], v26 offset:64
	ds_read2_b32 v[131:132], v31 offset0:52 offset1:53
	ds_read_b128 v[151:154], v26 offset:112
	ds_read2_b32 v[135:136], v31 offset0:62 offset1:63
	ds_read2_b32 v[157:158], v31 offset0:60 offset1:61
	;; [unrolled: 1-line block ×5, first 2 shown]
	v_mov_b32_e32 v182, 0
	v_mov_b32_e32 v183, 0
	v_dot4c_i32_i8 v122, v161, v141
	v_dot4c_i32_i8 v181, v167, v137
	v_mov_b32_e32 v167, 0
	s_waitcnt lgkmcnt(12)
	v_dot4c_i32_i8 v182, v159, v139
	v_add_nc_u32_e32 v139, 0x6240, v31
	s_waitcnt lgkmcnt(11)
	v_dot4c_i32_i8 v179, v163, v129
	v_dot4c_i32_i8 v181, v168, v138
	v_mov_b32_e32 v168, 0
	v_dot4c_i32_i8 v182, v160, v140
	v_dot4c_i32_i8 v122, v162, v142
	;; [unrolled: 1-line block ×3, first 2 shown]
	s_waitcnt lgkmcnt(6)
	v_dot4c_i32_i8 v167, v131, v143
	v_add_nc_u32_e32 v131, 0x6250, v31
	v_dot4c_i32_i8 v180, v165, v133
	s_waitcnt lgkmcnt(3)
	v_dot4c_i32_i8 v168, v157, v151
	v_add_nc_u32_e32 v133, 0x6270, v31
	v_dot4c_i32_i8 v167, v132, v144
	ds_read2_b32 v[131:132], v131 offset1:1
	ds_read2_b32 v[139:140], v139 offset1:1
	v_dot4c_i32_i8 v168, v158, v152
	v_dot4c_i32_i8 v180, v166, v134
	;; [unrolled: 1-line block ×3, first 2 shown]
	s_waitcnt lgkmcnt(2)
	v_dot4c_i32_i8 v183, v175, v147
	v_add_nc_u32_e32 v157, 0x6278, v31
	v_dot4c_i32_i8 v168, v135, v153
	ds_read2_b32 v[134:135], v133 offset1:1
	v_add_nc_u32_e32 v133, 0x6248, v31
	ds_read_b128 v[127:130], v26 offset:96
	ds_read2_b32 v[137:138], v31 offset0:58 offset1:59
	v_dot4c_i32_i8 v182, v156, v142
	v_dot4c_i32_i8 v167, v171, v145
	;; [unrolled: 1-line block ×3, first 2 shown]
	ds_read_b32 v171, v36 offset:256
	ds_read2_b32 v[141:142], v37 offset0:2 offset1:3
	ds_read2_b32 v[155:156], v133 offset1:1
	ds_read2_b32 v[157:158], v157 offset1:1
	v_mov_b32_e32 v165, 0
	v_add_nc_u32_e32 v159, 0x6260, v31
	v_dot4c_i32_i8 v167, v172, v146
	v_dot4c_i32_i8 v183, v173, v149
	v_mov_b32_e32 v173, 0
	s_waitcnt lgkmcnt(8)
	v_dot4c_i32_i8 v165, v131, v143
	v_mov_b32_e32 v172, 0
	ds_read2_b32 v[159:160], v159 offset1:1
	v_add_nc_u32_e32 v131, 0x6268, v31
	s_waitcnt lgkmcnt(8)
	v_dot4c_i32_i8 v173, v139, v147
	v_dot4c_i32_i8 v165, v132, v144
	v_add_nc_u32_e32 v133, 0x2158, v31
	s_waitcnt lgkmcnt(7)
	v_dot4c_i32_i8 v172, v134, v151
	ds_read2_b32 v[161:162], v131 offset1:1
	ds_read2_b32 v[163:164], v133 offset1:1
	v_dot4c_i32_i8 v173, v140, v148
	v_dot4c_i32_i8 v165, v169, v145
	v_dot4c_i32_i8 v172, v135, v152
	s_waitcnt lgkmcnt(5)
	v_bfe_i32 v135, v141, 8, 8
	v_bfe_i32 v139, v142, 8, 8
	s_waitcnt lgkmcnt(4)
	v_dot4c_i32_i8 v173, v155, v149
	v_dot4c_i32_i8 v165, v170, v146
	ds_read_b128 v[131:134], v1 offset:36944
	v_mul_lo_u32 v135, v181, v135
	v_mov_b32_e32 v169, 0
	v_dot4c_i32_i8 v173, v156, v150
	ds_read2_b32 v[155:156], v30 offset0:2 offset1:3
	v_bfe_i32 v140, v141, 0, 8
	v_mul_lo_u32 v139, v165, v139
	s_waitcnt lgkmcnt(5)
	v_dot4c_i32_i8 v172, v157, v153
	s_waitcnt lgkmcnt(4)
	v_dot4c_i32_i8 v169, v159, v127
	v_bfe_i32 v157, v142, 0, 8
	v_mad_u64_u32 v[165:166], null, v182, v140, v[135:136]
	v_ashrrev_i32_e32 v135, 24, v141
	v_dot4c_i32_i8 v169, v160, v128
	ds_read2_b32 v[159:160], v31 offset0:56 offset1:57
	v_mad_u64_u32 v[139:140], null, v173, v157, v[139:140]
	v_mul_lo_u32 v135, v179, v135
	v_dot4c_i32_i8 v172, v158, v154
	v_cvt_f32_i32_e32 v140, v165
	v_ashrrev_i32_e32 v157, 24, v142
	v_bfe_i32 v141, v141, 16, 8
	s_waitcnt lgkmcnt(4)
	v_dot4c_i32_i8 v169, v161, v129
	v_cvt_f32_i32_e32 v158, v139
	s_waitcnt lgkmcnt(2)
	v_fma_f32 v170, v131, v140, 0
	v_mul_lo_u32 v139, v172, v157
	v_mad_u64_u32 v[140:141], null, v180, v141, v[135:136]
	s_waitcnt lgkmcnt(1)
	v_bfe_i32 v135, v155, 8, 8
	v_dot4c_i32_i8 v169, v162, v130
	v_bfe_i32 v141, v142, 16, 8
	v_mov_b32_e32 v161, 0
	v_bfe_i32 v157, v156, 8, 8
	v_mul_lo_u32 v135, v177, v135
	v_fma_f32 v172, v133, v158, 0
	v_mad_u64_u32 v[141:142], null, v169, v141, v[139:140]
	v_cvt_f32_i32_e32 v142, v140
	v_bfe_i32 v140, v155, 0, 8
	s_waitcnt lgkmcnt(0)
	v_dot4c_i32_i8 v161, v159, v127
	v_mul_lo_u32 v139, v167, v157
	v_dot4c_i32_i8 v168, v136, v154
	v_dot4c_i32_i8 v183, v174, v150
	v_mad_u64_u32 v[157:158], null, v178, v140, v[135:136]
	v_dot4c_i32_i8 v161, v160, v128
	v_cvt_f32_i32_e32 v135, v141
	v_ashrrev_i32_e32 v136, 24, v156
	v_bfe_i32 v159, v156, 0, 8
	v_bfe_i32 v156, v156, 16, 8
	v_dot4c_i32_i8 v161, v137, v129
	v_fmac_f32_e32 v172, v134, v135
	v_cvt_f32_i32_e32 v135, v157
	v_add_nc_u32_e32 v137, 0x2150, v31
	v_mad_u64_u32 v[139:140], null, v183, v159, v[139:140]
	v_dot4c_i32_i8 v161, v138, v130
	v_fma_f32 v173, v131, v135, 0
	v_mul_lo_u32 v135, v168, v136
	ds_read2_b32 v[136:137], v137 offset1:1
	v_ashrrev_i32_e32 v138, 24, v155
	v_bfe_i32 v157, v155, 16, 8
	v_fmac_f32_e32 v170, v132, v142
	v_cvt_f32_i32_e32 v142, v139
	v_add_nc_u32_e32 v139, 0x2148, v31
	v_mul_lo_u32 v126, v126, v138
	v_add_nc_u32_e32 v140, 0x2140, v31
	ds_read2_b32 v[138:139], v139 offset1:1
	ds_read2_b32 v[140:141], v140 offset1:1
	v_mov_b32_e32 v162, 0
	v_mov_b32_e32 v165, 0
	v_mad_u64_u32 v[125:126], null, v125, v157, v[126:127]
	v_add_nc_u32_e32 v126, 0x2178, v31
	v_fma_f32 v142, v133, v142, 0
	v_mov_b32_e32 v176, 0
	v_mov_b32_e32 v177, 0
	s_waitcnt lgkmcnt(2)
	v_mad_u64_u32 v[155:156], null, v161, v156, v[135:136]
	ds_read_b32 v174, v32
	ds_read_b32 v175, v34 offset:128
	ds_read2_b32 v[156:157], v35 offset0:2 offset1:3
	ds_read2_b32 v[158:159], v33 offset0:2 offset1:3
	ds_read2_b32 v[160:161], v126 offset1:1
	v_add_nc_u32_e32 v135, 0x2170, v31
	v_dot4c_i32_i8 v162, v136, v143
	v_add_nc_u32_e32 v126, 0x2160, v31
	v_add_nc_u32_e32 v166, 0x41c8, v31
	v_add_nc_u32_e32 v168, 0x41f8, v31
	ds_read2_b32 v[135:136], v135 offset1:1
	v_dot4c_i32_i8 v162, v137, v144
	v_cvt_f32_i32_e32 v137, v155
	v_cvt_f32_i32_e32 v155, v125
	ds_read2_b32 v[125:126], v126 offset1:1
	s_waitcnt lgkmcnt(7)
	v_dot4c_i32_i8 v165, v140, v147
	v_dot4c_i32_i8 v162, v163, v145
	v_fmac_f32_e32 v142, v134, v137
	v_add_nc_u32_e32 v137, 0x2168, v31
	v_add_nc_u32_e32 v140, 0x41d8, v31
	v_dot4c_i32_i8 v165, v141, v148
	v_dot4c_i32_i8 v162, v164, v146
	v_fmac_f32_e32 v173, v132, v155
	s_waitcnt lgkmcnt(3)
	v_bfe_i32 v163, v158, 8, 8
	v_bfe_i32 v164, v159, 8, 8
	v_dot4c_i32_i8 v165, v138, v149
	ds_read2_b32 v[137:138], v137 offset1:1
	ds_read2_b32 v[140:141], v140 offset1:1
	v_add_nc_u32_e32 v155, 0x41e0, v31
	v_mul_lo_u32 v124, v124, v163
	v_mov_b32_e32 v178, 0
	s_waitcnt lgkmcnt(3)
	v_dot4c_i32_i8 v176, v135, v151
	v_mul_lo_u32 v135, v162, v164
	v_bfe_i32 v162, v158, 0, 8
	v_dot4c_i32_i8 v165, v139, v150
	v_bfe_i32 v139, v159, 0, 8
	s_waitcnt lgkmcnt(2)
	v_dot4c_i32_i8 v177, v125, v127
	v_dot4c_i32_i8 v176, v136, v152
	v_mad_u64_u32 v[123:124], null, v123, v162, v[124:125]
	v_add_nc_u32_e32 v124, 0x41d0, v31
	v_add_nc_u32_e32 v125, 0x41f0, v31
	v_mad_u64_u32 v[135:136], null, v165, v139, v[135:136]
	v_dot4c_i32_i8 v177, v126, v128
	v_dot4c_i32_i8 v176, v160, v153
	v_cvt_f32_i32_e32 v139, v123
	ds_read2_b32 v[123:124], v124 offset1:1
	ds_read2_b32 v[125:126], v125 offset1:1
	v_add_nc_u32_e32 v160, 0x41c0, v31
	s_waitcnt lgkmcnt(3)
	v_dot4c_i32_i8 v177, v137, v129
	v_cvt_f32_i32_e32 v137, v135
	v_add_nc_u32_e32 v135, 0x41e8, v31
	ds_read2_b32 v[135:136], v135 offset1:1
	ds_read2_b32 v[162:163], v155 offset1:1
	;; [unrolled: 1-line block ×5, first 2 shown]
	v_dot4c_i32_i8 v177, v138, v130
	v_fma_f32 v138, v131, v139, 0
	v_mov_b32_e32 v139, 0
	v_bfe_i32 v155, v158, 16, 8
	v_ashrrev_i32_e32 v158, 24, v158
	v_dot4c_i32_i8 v176, v161, v154
	v_mov_b32_e32 v161, 0
	v_bfe_i32 v160, v159, 16, 8
	v_ashrrev_i32_e32 v159, 24, v159
	v_mul_lo_u32 v116, v116, v158
	s_waitcnt lgkmcnt(5)
	v_dot4c_i32_i8 v139, v125, v151
	v_mov_b32_e32 v151, 0
	v_fma_f32 v137, v133, v137, 0
	v_fmac_f32_e32 v22, v174, v173
	v_fmac_f32_e32 v20, v117, v170
	v_dot4c_i32_i8 v139, v126, v152
	v_dot4c_i32_i8 v151, v123, v143
	s_waitcnt lgkmcnt(2)
	v_dot4c_i32_i8 v178, v164, v147
	v_dot4c_i32_i8 v161, v162, v127
	v_ashrrev_i32_e32 v127, 24, v157
	s_waitcnt lgkmcnt(0)
	v_dot4c_i32_i8 v139, v168, v153
	v_dot4c_i32_i8 v151, v124, v144
	v_mad_u64_u32 v[124:125], null, v118, v155, v[116:117]
	v_bfe_i32 v116, v156, 8, 8
	v_dot4c_i32_i8 v178, v165, v148
	v_dot4c_i32_i8 v151, v140, v145
	v_bfe_i32 v118, v157, 8, 8
	v_bfe_i32 v125, v156, 0, 8
	v_mul_lo_u32 v116, v121, v116
	v_ashrrev_i32_e32 v121, 24, v156
	v_dot4c_i32_i8 v151, v141, v146
	v_dot4c_i32_i8 v178, v166, v149
	;; [unrolled: 1-line block ×4, first 2 shown]
	v_mul_lo_u32 v120, v120, v121
	v_mul_lo_u32 v118, v151, v118
	v_mad_u64_u32 v[121:122], null, v122, v125, v[116:117]
	v_dot4c_i32_i8 v178, v167, v150
	v_bfe_i32 v126, v157, 0, 8
	v_dot4c_i32_i8 v161, v135, v129
	v_bfe_i32 v122, v156, 16, 8
	v_mul_lo_u32 v123, v176, v159
	v_mul_lo_u32 v116, v139, v127
	v_mad_u64_u32 v[125:126], null, v178, v126, v[118:119]
	v_dot4c_i32_i8 v161, v136, v130
	v_bfe_i32 v126, v157, 16, 8
	v_mad_u64_u32 v[118:119], null, v119, v122, v[120:121]
	v_cvt_f32_i32_e32 v122, v121
	v_mad_u64_u32 v[119:120], null, v177, v160, v[123:124]
	v_mad_u64_u32 v[120:121], null, v161, v126, v[116:117]
	v_cvt_f32_i32_e32 v116, v124
	v_cvt_f32_i32_e32 v121, v125
	v_fma_f32 v122, v131, v122, 0
	v_cvt_f32_i32_e32 v118, v118
	v_cvt_f32_i32_e32 v119, v119
	v_fmac_f32_e32 v138, v132, v116
	v_fma_f32 v116, v133, v121, 0
	v_cvt_f32_i32_e32 v120, v120
	v_fmac_f32_e32 v122, v132, v118
	v_fmac_f32_e32 v137, v134, v119
	;; [unrolled: 1-line block ×8, first 2 shown]
	s_barrier
	v_fmac_f32_e32 v95, v171, v116
	buffer_gl0_inv
.LBB236_5:                              ;   in Loop: Header=BB236_6 Depth=1
	v_add_co_u32 v41, s1, 0xd2, v41
	v_add_co_ci_u32_e64 v42, null, 0, v42, s1
	v_add_co_u32 v43, s1, 0xd2, v43
	v_add_co_ci_u32_e64 v44, null, 0, v44, s1
	;; [unrolled: 2-line block ×34, first 2 shown]
	v_add_co_u32 v111, s1, 0xd2, v111
	v_add_nc_u32_e32 v29, 8, v29
	v_add_nc_u32_e32 v28, 8, v28
	;; [unrolled: 1-line block ×3, first 2 shown]
	v_add_co_ci_u32_e64 v112, null, 0, v112, s1
	s_add_i32 s12, s12, -1
	s_addk_i32 s4, 0x100
	s_cmp_eq_u32 s12, 0
	s_cbranch_scc1 .LBB236_17
.LBB236_6:                              ; =>This Inner Loop Header: Depth=1
	v_add_co_u32 v116, s1, v43, s8
	v_add_co_ci_u32_e64 v117, null, s19, v44, s1
	global_load_dword v134, v[116:117], off
	v_add_co_u32 v116, s1, v41, s8
	v_add_co_ci_u32_e64 v117, null, s19, v42, s1
	v_add_co_u32 v118, s1, v47, s8
	v_add_co_ci_u32_e64 v119, null, s19, v48, s1
	;; [unrolled: 2-line block ×5, first 2 shown]
	global_load_dword v138, v[116:117], off
	global_load_dword v136, v[118:119], off
	;; [unrolled: 1-line block ×5, first 2 shown]
	v_add_co_u32 v116, s1, v55, s8
	v_add_co_ci_u32_e64 v117, null, s19, v56, s1
	v_add_co_u32 v118, s1, v53, s8
	v_add_co_ci_u32_e64 v119, null, s19, v54, s1
	;; [unrolled: 2-line block ×5, first 2 shown]
	global_load_dword v142, v[116:117], off
	global_load_dword v143, v[118:119], off
	;; [unrolled: 1-line block ×5, first 2 shown]
	v_add_co_u32 v116, s1, v61, s8
	v_add_co_ci_u32_e64 v117, null, s19, v62, s1
	v_add_co_u32 v118, s1, v67, s8
	v_add_co_ci_u32_e64 v119, null, s19, v68, s1
	;; [unrolled: 2-line block ×3, first 2 shown]
	global_load_dword v165, v[116:117], off
	global_load_dword v166, v[118:119], off
	global_load_dword v167, v[120:121], off
	v_add_co_u32 v116, s1, v69, s8
	v_add_co_ci_u32_e64 v117, null, s19, v70, s1
	v_add_co_u32 v118, s1, v71, s8
	v_add_co_ci_u32_e64 v119, null, s19, v72, s1
	global_load_dword v117, v[116:117], off
	global_load_dword v116, v[118:119], off
	v_add_co_u32 v118, s1, v75, s8
	v_add_co_ci_u32_e64 v119, null, s19, v76, s1
	v_add_co_u32 v120, s1, v73, s8
	v_add_co_ci_u32_e64 v121, null, s19, v74, s1
	global_load_dword v122, v[118:119], off
	v_add_co_u32 v123, s1, v79, s8
	global_load_dword v120, v[120:121], off
	v_add_co_ci_u32_e64 v124, null, s19, v80, s1
	v_add_co_u32 v125, s1, v77, s8
	v_add_co_ci_u32_e64 v126, null, s19, v78, s1
	v_add_co_u32 v127, s1, v83, s8
	;; [unrolled: 2-line block ×5, first 2 shown]
	global_load_dword v133, v[125:126], off
	v_add_co_ci_u32_e64 v150, null, s19, v86, s1
	v_add_co_u32 v151, s1, v91, s8
	v_add_co_ci_u32_e64 v152, null, s19, v92, s1
	v_add_co_u32 v118, s1, v89, s8
	;; [unrolled: 2-line block ×8, first 2 shown]
	v_add_co_ci_u32_e64 v164, null, s19, v103, s1
	global_load_dword v132, v[123:124], off
	global_load_dword v130, v[127:128], off
	;; [unrolled: 1-line block ×13, first 2 shown]
	s_waitcnt vmcnt(31)
	v_and_b32_e32 v145, 0xf0f0f0f, v134
	v_lshrrev_b32_e32 v134, 4, v134
	v_and_b32_e32 v134, 0xf0f0f0f, v134
	s_waitcnt vmcnt(30)
	v_ashrrev_i32_e32 v138, v23, v138
	s_waitcnt vmcnt(29)
	v_and_b32_e32 v146, 0xf0f0f0f, v136
	v_lshrrev_b32_e32 v136, 4, v136
	s_waitcnt vmcnt(28)
	v_ashrrev_i32_e32 v137, v23, v137
	s_waitcnt vmcnt(27)
	v_and_b32_e32 v147, 0xf0f0f0f, v135
	v_lshrrev_b32_e32 v135, 4, v135
	s_waitcnt vmcnt(26)
	v_ashrrev_i32_e32 v139, v23, v139
	v_lshlrev_b32_e32 v155, 4, v138
	v_and_b32_e32 v136, 0xf0f0f0f, v136
	v_lshlrev_b32_e32 v156, 4, v137
	v_and_b32_e32 v135, 0xf0f0f0f, v135
	v_lshlrev_b32_e32 v157, 4, v139
	v_and_or_b32 v145, 0x30303030, v155, v145
	v_and_or_b32 v134, 0x30303030, v138, v134
	;; [unrolled: 1-line block ×6, first 2 shown]
	v_lshrrev_b32_e32 v147, 16, v145
	v_lshrrev_b32_e32 v155, 16, v136
	s_waitcnt vmcnt(25)
	v_and_b32_e32 v148, 0xf0f0f0f, v142
	v_lshrrev_b32_e32 v142, 4, v142
	s_waitcnt vmcnt(24)
	v_ashrrev_i32_e32 v143, v23, v143
	s_waitcnt vmcnt(22)
	v_ashrrev_i32_e32 v141, v23, v141
	v_and_b32_e32 v149, 0xf0f0f0f, v140
	v_lshrrev_b32_e32 v140, 4, v140
	s_waitcnt vmcnt(21)
	v_and_b32_e32 v150, 0xf0f0f0f, v144
	v_lshrrev_b32_e32 v144, 4, v144
	v_and_b32_e32 v142, 0xf0f0f0f, v142
	v_lshlrev_b32_e32 v158, 4, v143
	v_lshlrev_b32_e32 v159, 4, v141
	v_and_b32_e32 v140, 0xf0f0f0f, v140
	v_and_b32_e32 v144, 0xf0f0f0f, v144
	v_and_or_b32 v142, 0x30303030, v143, v142
	v_and_or_b32 v139, 0x30303030, v158, v148
	;; [unrolled: 1-line block ×3, first 2 shown]
	s_waitcnt vmcnt(20)
	v_ashrrev_i32_e32 v151, v23, v165
	s_waitcnt vmcnt(19)
	v_and_b32_e32 v152, 0xf0f0f0f, v166
	s_waitcnt vmcnt(18)
	v_ashrrev_i32_e32 v154, v23, v167
	v_and_b32_e32 v148, 0x3f00, v145
	v_lshlrev_b16 v145, 8, v145
	v_lshlrev_b32_e32 v160, 4, v151
	v_lshrrev_b32_e32 v149, 16, v134
	v_lshlrev_b32_e32 v161, 4, v154
	v_and_or_b32 v140, 0x30303030, v141, v140
	v_and_or_b32 v144, 0x30303030, v151, v144
	;; [unrolled: 1-line block ×3, first 2 shown]
	v_and_b32_e32 v150, 0x3f00, v134
	v_lshlrev_b16 v134, 8, v134
	v_lshrrev_b32_e32 v151, 16, v138
	v_and_or_b32 v146, 0x30303030, v161, v152
	v_and_b32_e32 v152, 0x3f00, v138
	v_lshlrev_b16 v138, 8, v138
	v_lshrrev_b32_e32 v157, 16, v137
	v_lshrrev_b32_e32 v159, 16, v135
	v_and_b32_e32 v156, 0x3f00, v136
	v_lshlrev_b16 v136, 8, v136
	v_lshrrev_b32_e32 v161, 16, v139
	v_lshrrev_b32_e32 v163, 16, v142
	v_add_nc_u16 v145, 0xe000, v145
	v_and_b32_e32 v175, 0x3f00, v147
	v_lshlrev_b16 v147, 8, v147
	v_and_b32_e32 v176, 0x3f00, v149
	v_lshlrev_b16 v149, 8, v149
	v_and_b32_e32 v158, 0x3f00, v137
	v_lshlrev_b16 v137, 8, v137
	v_lshrrev_b32_e32 v165, 16, v143
	v_lshrrev_b32_e32 v167, 16, v140
	v_add_nc_u16 v134, 0xe000, v134
	v_and_b32_e32 v177, 0x3f00, v151
	v_lshlrev_b16 v151, 8, v151
	v_and_b32_e32 v178, 0x3f00, v155
	v_lshlrev_b16 v155, 8, v155
	;; [unrolled: 9-line block ×3, first 2 shown]
	v_add_nc_u16 v136, 0xe000, v136
	v_and_b32_e32 v181, 0x3f00, v161
	v_lshlrev_b16 v161, 8, v161
	v_and_b32_e32 v182, 0x3f00, v163
	v_lshlrev_b16 v163, 8, v163
	v_or_b32_sdwa v145, v148, v145 dst_sel:DWORD dst_unused:UNUSED_PAD src0_sel:DWORD src1_sel:BYTE_1
	v_add_nc_u16 v147, 0xe000, v147
	v_add_nc_u16 v148, 0xe000, v149
	;; [unrolled: 1-line block ×3, first 2 shown]
	v_and_b32_e32 v183, 0x3f00, v165
	v_lshlrev_b16 v165, 8, v165
	v_lshlrev_b16 v184, 8, v167
	v_or_b32_sdwa v134, v150, v134 dst_sel:DWORD dst_unused:UNUSED_PAD src0_sel:DWORD src1_sel:BYTE_1
	v_add_nc_u16 v149, 0xe000, v151
	v_add_nc_u16 v150, 0xe000, v155
	;; [unrolled: 1-line block ×3, first 2 shown]
	v_and_b32_e32 v185, 0x3f00, v169
	v_lshlrev_b16 v169, 8, v169
	v_and_b32_e32 v186, 0x3f00, v171
	v_lshlrev_b16 v171, 8, v171
	v_or_b32_sdwa v138, v152, v138 dst_sel:DWORD dst_unused:UNUSED_PAD src0_sel:DWORD src1_sel:BYTE_1
	v_add_nc_u16 v151, 0xe000, v157
	v_add_nc_u16 v152, 0xe000, v159
	v_and_b32_e32 v162, 0x3f00, v139
	v_lshlrev_b16 v139, 8, v139
	v_and_b32_e32 v164, 0x3f00, v142
	v_lshlrev_b16 v142, 8, v142
	v_or_b32_sdwa v136, v156, v136 dst_sel:DWORD dst_unused:UNUSED_PAD src0_sel:DWORD src1_sel:BYTE_1
	v_add_nc_u16 v155, 0xe000, v161
	v_add_nc_u16 v156, 0xe000, v163
	v_or_b32_sdwa v147, v175, v147 dst_sel:DWORD dst_unused:UNUSED_PAD src0_sel:DWORD src1_sel:BYTE_1
	v_or_b32_sdwa v148, v176, v148 dst_sel:DWORD dst_unused:UNUSED_PAD src0_sel:DWORD src1_sel:BYTE_1
	v_lshrrev_b32_e32 v153, 4, v166
	v_and_b32_e32 v166, 0x3f00, v143
	v_lshlrev_b16 v143, 8, v143
	v_and_b32_e32 v168, 0x3f00, v140
	v_lshlrev_b16 v140, 8, v140
	v_and_b32_e32 v167, 0x3f00, v167
	v_or_b32_sdwa v137, v158, v137 dst_sel:DWORD dst_unused:UNUSED_PAD src0_sel:DWORD src1_sel:BYTE_1
	v_add_nc_u16 v157, 0xe000, v165
	v_add_nc_u16 v158, 0xe000, v184
	v_or_b32_sdwa v149, v177, v149 dst_sel:DWORD dst_unused:UNUSED_PAD src0_sel:DWORD src1_sel:BYTE_1
	v_or_b32_sdwa v150, v178, v150 dst_sel:DWORD dst_unused:UNUSED_PAD src0_sel:DWORD src1_sel:BYTE_1
	v_and_b32_e32 v170, 0x3f00, v141
	v_lshlrev_b16 v141, 8, v141
	v_and_b32_e32 v172, 0x3f00, v144
	v_lshlrev_b16 v144, 8, v144
	v_or_b32_sdwa v135, v160, v135 dst_sel:DWORD dst_unused:UNUSED_PAD src0_sel:DWORD src1_sel:BYTE_1
	v_add_nc_u16 v159, 0xe000, v169
	v_add_nc_u16 v160, 0xe000, v171
	v_or_b32_sdwa v151, v179, v151 dst_sel:DWORD dst_unused:UNUSED_PAD src0_sel:DWORD src1_sel:BYTE_1
	v_or_b32_sdwa v152, v180, v152 dst_sel:DWORD dst_unused:UNUSED_PAD src0_sel:DWORD src1_sel:BYTE_1
	v_add_nc_u16 v139, 0xe000, v139
	v_add_nc_u16 v142, 0xe000, v142
	v_or_b32_sdwa v155, v181, v155 dst_sel:DWORD dst_unused:UNUSED_PAD src0_sel:DWORD src1_sel:BYTE_1
	v_or_b32_sdwa v156, v182, v156 dst_sel:DWORD dst_unused:UNUSED_PAD src0_sel:DWORD src1_sel:BYTE_1
	v_add_nc_u16 v147, 0xe000, v147
	v_add_nc_u16 v148, 0xe000, v148
	v_add_nc_u16 v143, 0xe000, v143
	v_add_nc_u16 v140, 0xe000, v140
	v_or_b32_sdwa v157, v183, v157 dst_sel:DWORD dst_unused:UNUSED_PAD src0_sel:DWORD src1_sel:BYTE_1
	v_or_b32_sdwa v158, v167, v158 dst_sel:DWORD dst_unused:UNUSED_PAD src0_sel:DWORD src1_sel:BYTE_1
	v_add_nc_u16 v149, 0xe000, v149
	v_add_nc_u16 v150, 0xe000, v150
	;; [unrolled: 6-line block ×3, first 2 shown]
	v_or_b32_sdwa v139, v162, v139 dst_sel:DWORD dst_unused:UNUSED_PAD src0_sel:DWORD src1_sel:BYTE_1
	v_or_b32_sdwa v142, v164, v142 dst_sel:DWORD dst_unused:UNUSED_PAD src0_sel:DWORD src1_sel:BYTE_1
	v_add_nc_u16 v155, 0xe000, v155
	v_add_nc_u16 v156, 0xe000, v156
	v_add_nc_u16 v145, 0xe000, v145
	v_add_nc_u16 v134, 0xe000, v134
	v_lshlrev_b32_e32 v147, 16, v147
	v_lshlrev_b32_e32 v148, 16, v148
	v_or_b32_sdwa v143, v166, v143 dst_sel:DWORD dst_unused:UNUSED_PAD src0_sel:DWORD src1_sel:BYTE_1
	v_or_b32_sdwa v140, v168, v140 dst_sel:DWORD dst_unused:UNUSED_PAD src0_sel:DWORD src1_sel:BYTE_1
	v_add_nc_u16 v138, 0xe000, v138
	v_add_nc_u16 v136, 0xe000, v136
	v_add_nc_u16 v157, 0xe000, v157
	v_add_nc_u16 v158, 0xe000, v158
	v_lshlrev_b32_e32 v149, 16, v149
	v_lshlrev_b32_e32 v150, 16, v150
	;; [unrolled: 8-line block ×3, first 2 shown]
	v_add_nc_u16 v139, 0xe000, v139
	v_add_nc_u16 v142, 0xe000, v142
	v_lshlrev_b32_e32 v155, 16, v155
	v_lshlrev_b32_e32 v156, 16, v156
	v_or_b32_sdwa v145, v145, v147 dst_sel:DWORD dst_unused:UNUSED_PAD src0_sel:WORD_0 src1_sel:DWORD
	v_or_b32_sdwa v134, v134, v148 dst_sel:DWORD dst_unused:UNUSED_PAD src0_sel:WORD_0 src1_sel:DWORD
	v_and_b32_e32 v153, 0xf0f0f0f, v153
	v_add_nc_u16 v143, 0xe000, v143
	v_add_nc_u16 v140, 0xe000, v140
	v_lshlrev_b32_e32 v157, 16, v157
	v_lshlrev_b32_e32 v158, 16, v158
	v_or_b32_sdwa v138, v138, v149 dst_sel:DWORD dst_unused:UNUSED_PAD src0_sel:WORD_0 src1_sel:DWORD
	v_or_b32_sdwa v136, v136, v150 dst_sel:DWORD dst_unused:UNUSED_PAD src0_sel:WORD_0 src1_sel:DWORD
	v_add_nc_u16 v141, 0xe000, v141
	v_add_nc_u16 v144, 0xe000, v144
	v_lshlrev_b32_e32 v159, 16, v159
	v_lshlrev_b32_e32 v160, 16, v160
	v_or_b32_sdwa v137, v137, v151 dst_sel:DWORD dst_unused:UNUSED_PAD src0_sel:WORD_0 src1_sel:DWORD
	v_or_b32_sdwa v135, v135, v152 dst_sel:DWORD dst_unused:UNUSED_PAD src0_sel:WORD_0 src1_sel:DWORD
	;; [unrolled: 1-line block ×4, first 2 shown]
	ds_write2_b32 v2, v145, v134 offset1:16
	ds_write2_b32 v3, v138, v136 offset1:16
	;; [unrolled: 1-line block ×4, first 2 shown]
	v_add_co_u32 v134, s1, v107, s8
	v_or_b32_sdwa v143, v143, v157 dst_sel:DWORD dst_unused:UNUSED_PAD src0_sel:WORD_0 src1_sel:DWORD
	v_or_b32_sdwa v140, v140, v158 dst_sel:DWORD dst_unused:UNUSED_PAD src0_sel:WORD_0 src1_sel:DWORD
	v_and_or_b32 v136, 0x30303030, v154, v153
	v_or_b32_sdwa v141, v141, v159 dst_sel:DWORD dst_unused:UNUSED_PAD src0_sel:WORD_0 src1_sel:DWORD
	v_or_b32_sdwa v144, v144, v160 dst_sel:DWORD dst_unused:UNUSED_PAD src0_sel:WORD_0 src1_sel:DWORD
	v_add_co_ci_u32_e64 v135, null, s19, v108, s1
	ds_write2_b32 v6, v143, v140 offset1:16
	ds_write2_b32 v7, v141, v144 offset1:16
	v_lshlrev_b16 v137, 8, v136
	global_load_ushort v144, v[134:135], off
	v_add_co_u32 v134, s1, v109, s8
	v_lshrrev_b32_e32 v140, 16, v136
	v_and_b32_e32 v141, 0x3f00, v136
	v_add_co_ci_u32_e64 v135, null, s19, v110, s1
	v_add_co_u32 v136, s1, v111, s8
	v_add_nc_u16 v142, 0xe000, v137
	v_add_co_ci_u32_e64 v137, null, s19, v112, s1
	global_load_dword v134, v[134:135], off
	global_load_dword v135, v[136:137], off
	v_lshrrev_b32_e32 v173, 16, v146
	v_and_b32_e32 v174, 0x3f00, v146
	v_lshlrev_b16 v146, 8, v146
	s_waitcnt vmcnt(20)
	v_ashrrev_i32_e32 v117, v23, v117
	v_lshlrev_b16 v143, 8, v140
	v_lshlrev_b16 v187, 8, v173
	v_and_b32_e32 v173, 0x3f00, v173
	v_add_nc_u16 v146, 0xe000, v146
	s_waitcnt vmcnt(19)
	v_and_b32_e32 v145, 0xf0f0f0f, v116
	v_and_b32_e32 v140, 0x3f00, v140
	v_add_nc_u16 v161, 0xe000, v187
	v_add_nc_u16 v136, 0xe000, v143
	v_or_b32_sdwa v138, v174, v146 dst_sel:DWORD dst_unused:UNUSED_PAD src0_sel:DWORD src1_sel:BYTE_1
	v_lshlrev_b32_e32 v146, 4, v117
	v_lshrrev_b32_e32 v116, 4, v116
	v_or_b32_sdwa v161, v173, v161 dst_sel:DWORD dst_unused:UNUSED_PAD src0_sel:DWORD src1_sel:BYTE_1
	v_or_b32_sdwa v141, v141, v142 dst_sel:DWORD dst_unused:UNUSED_PAD src0_sel:DWORD src1_sel:BYTE_1
	;; [unrolled: 1-line block ×3, first 2 shown]
	v_and_or_b32 v137, 0x30303030, v146, v145
	v_and_b32_e32 v116, 0xf0f0f0f, v116
	v_add_nc_u16 v139, 0xe000, v161
	v_add_nc_u16 v138, 0xe000, v138
	;; [unrolled: 1-line block ×3, first 2 shown]
	v_lshlrev_b16 v142, 8, v137
	v_lshrrev_b32_e32 v140, 16, v137
	v_lshlrev_b32_e32 v139, 16, v139
	v_and_b32_e32 v137, 0x3f00, v137
	v_and_or_b32 v116, 0x30303030, v117, v116
	v_add_nc_u16 v142, 0xe000, v142
	v_add_nc_u16 v141, 0xe000, v141
	v_lshlrev_b16 v143, 8, v140
	v_lshlrev_b32_e32 v117, 16, v136
	v_and_b32_e32 v140, 0x3f00, v140
	v_or_b32_sdwa v136, v137, v142 dst_sel:DWORD dst_unused:UNUSED_PAD src0_sel:DWORD src1_sel:BYTE_1
	v_or_b32_sdwa v137, v138, v139 dst_sel:DWORD dst_unused:UNUSED_PAD src0_sel:WORD_0 src1_sel:DWORD
	v_lshrrev_b32_e32 v139, 16, v116
	v_add_nc_u16 v143, 0xe000, v143
	v_or_b32_sdwa v117, v141, v117 dst_sel:DWORD dst_unused:UNUSED_PAD src0_sel:WORD_0 src1_sel:DWORD
	s_waitcnt vmcnt(17)
	v_ashrrev_i32_e32 v120, v23, v120
	v_and_b32_e32 v142, 0xf0f0f0f, v122
	v_lshlrev_b16 v141, 8, v139
	v_or_b32_sdwa v138, v140, v143 dst_sel:DWORD dst_unused:UNUSED_PAD src0_sel:DWORD src1_sel:BYTE_1
	v_lshlrev_b16 v140, 8, v116
	v_and_b32_e32 v139, 0x3f00, v139
	v_and_b32_e32 v116, 0x3f00, v116
	v_add_nc_u16 v141, 0xe000, v141
	v_add_nc_u16 v138, 0xe000, v138
	;; [unrolled: 1-line block ×3, first 2 shown]
	v_lshlrev_b32_e32 v143, 4, v120
	ds_write2_b32 v8, v137, v117 offset1:16
	v_or_b32_sdwa v117, v139, v141 dst_sel:DWORD dst_unused:UNUSED_PAD src0_sel:DWORD src1_sel:BYTE_1
	v_add_nc_u16 v136, 0xe000, v136
	v_lshlrev_b32_e32 v138, 16, v138
	v_or_b32_sdwa v116, v116, v140 dst_sel:DWORD dst_unused:UNUSED_PAD src0_sel:DWORD src1_sel:BYTE_1
	v_and_or_b32 v137, 0x30303030, v143, v142
	v_lshrrev_b32_e32 v122, 4, v122
	v_add_nc_u16 v117, 0xe000, v117
	v_or_b32_sdwa v136, v136, v138 dst_sel:DWORD dst_unused:UNUSED_PAD src0_sel:WORD_0 src1_sel:DWORD
	v_add_nc_u16 v116, 0xe000, v116
	v_lshrrev_b32_e32 v138, 16, v137
	v_lshlrev_b16 v139, 8, v137
	v_and_b32_e32 v122, 0xf0f0f0f, v122
	v_lshlrev_b32_e32 v117, 16, v117
	v_and_b32_e32 v137, 0x3f00, v137
	v_lshlrev_b16 v140, 8, v138
	v_add_nc_u16 v139, 0xe000, v139
	v_and_or_b32 v120, 0x30303030, v120, v122
	v_or_b32_sdwa v116, v116, v117 dst_sel:DWORD dst_unused:UNUSED_PAD src0_sel:WORD_0 src1_sel:DWORD
	v_and_b32_e32 v117, 0x3f00, v138
	v_add_nc_u16 v122, 0xe000, v140
	v_or_b32_sdwa v137, v137, v139 dst_sel:DWORD dst_unused:UNUSED_PAD src0_sel:DWORD src1_sel:BYTE_1
	v_lshrrev_b32_e32 v138, 16, v120
	ds_write2_b32 v9, v136, v116 offset1:16
	s_waitcnt vmcnt(16)
	v_ashrrev_i32_e32 v116, v23, v133
	v_or_b32_sdwa v117, v117, v122 dst_sel:DWORD dst_unused:UNUSED_PAD src0_sel:DWORD src1_sel:BYTE_1
	v_add_nc_u16 v122, 0xe000, v137
	v_lshlrev_b16 v133, 8, v138
	s_waitcnt vmcnt(15)
	v_and_b32_e32 v136, 0xf0f0f0f, v132
	v_lshlrev_b32_e32 v137, 4, v116
	v_lshlrev_b16 v139, 8, v120
	v_and_b32_e32 v138, 0x3f00, v138
	v_add_nc_u16 v133, 0xe000, v133
	v_and_b32_e32 v120, 0x3f00, v120
	v_and_or_b32 v136, 0x30303030, v137, v136
	v_add_nc_u16 v137, 0xe000, v139
	v_lshrrev_b32_e32 v132, 4, v132
	v_or_b32_sdwa v133, v138, v133 dst_sel:DWORD dst_unused:UNUSED_PAD src0_sel:DWORD src1_sel:BYTE_1
	v_add_nc_u16 v117, 0xe000, v117
	v_lshrrev_b32_e32 v138, 16, v136
	v_or_b32_sdwa v120, v120, v137 dst_sel:DWORD dst_unused:UNUSED_PAD src0_sel:DWORD src1_sel:BYTE_1
	v_lshlrev_b16 v137, 8, v136
	v_and_b32_e32 v132, 0xf0f0f0f, v132
	v_add_nc_u16 v133, 0xe000, v133
	v_lshlrev_b16 v139, 8, v138
	v_and_b32_e32 v136, 0x3f00, v136
	v_add_nc_u16 v137, 0xe000, v137
	v_and_or_b32 v116, 0x30303030, v116, v132
	v_lshlrev_b32_e32 v117, 16, v117
	v_and_b32_e32 v138, 0x3f00, v138
	v_add_nc_u16 v139, 0xe000, v139
	v_lshlrev_b32_e32 v132, 16, v133
	v_or_b32_sdwa v133, v136, v137 dst_sel:DWORD dst_unused:UNUSED_PAD src0_sel:DWORD src1_sel:BYTE_1
	v_lshrrev_b32_e32 v137, 16, v116
	v_add_nc_u16 v120, 0xe000, v120
	v_or_b32_sdwa v136, v138, v139 dst_sel:DWORD dst_unused:UNUSED_PAD src0_sel:DWORD src1_sel:BYTE_1
	v_or_b32_sdwa v117, v122, v117 dst_sel:DWORD dst_unused:UNUSED_PAD src0_sel:WORD_0 src1_sel:DWORD
	v_add_nc_u16 v122, 0xe000, v133
	v_lshlrev_b16 v133, 8, v137
	v_or_b32_sdwa v120, v120, v132 dst_sel:DWORD dst_unused:UNUSED_PAD src0_sel:WORD_0 src1_sel:DWORD
	v_add_nc_u16 v132, 0xe000, v136
	v_lshlrev_b16 v136, 8, v116
	s_waitcnt vmcnt(13)
	v_ashrrev_i32_e32 v131, v23, v131
	v_and_b32_e32 v137, 0x3f00, v137
	v_add_nc_u16 v133, 0xe000, v133
	v_and_b32_e32 v116, 0x3f00, v116
	v_add_nc_u16 v136, 0xe000, v136
	v_and_b32_e32 v138, 0xf0f0f0f, v130
	v_lshlrev_b32_e32 v139, 4, v131
	v_lshlrev_b32_e32 v132, 16, v132
	v_or_b32_sdwa v133, v137, v133 dst_sel:DWORD dst_unused:UNUSED_PAD src0_sel:DWORD src1_sel:BYTE_1
	v_lshrrev_b32_e32 v130, 4, v130
	v_or_b32_sdwa v116, v116, v136 dst_sel:DWORD dst_unused:UNUSED_PAD src0_sel:DWORD src1_sel:BYTE_1
	v_and_or_b32 v136, 0x30303030, v139, v138
	v_or_b32_sdwa v122, v122, v132 dst_sel:DWORD dst_unused:UNUSED_PAD src0_sel:WORD_0 src1_sel:DWORD
	v_add_nc_u16 v132, 0xe000, v133
	v_and_b32_e32 v130, 0xf0f0f0f, v130
	v_add_nc_u16 v116, 0xe000, v116
	v_lshrrev_b32_e32 v133, 16, v136
	v_lshlrev_b16 v137, 8, v136
	v_lshlrev_b32_e32 v132, 16, v132
	v_and_or_b32 v130, 0x30303030, v131, v130
	v_and_b32_e32 v136, 0x3f00, v136
	v_lshlrev_b16 v131, 8, v133
	v_add_nc_u16 v137, 0xe000, v137
	v_or_b32_sdwa v116, v116, v132 dst_sel:DWORD dst_unused:UNUSED_PAD src0_sel:WORD_0 src1_sel:DWORD
	v_and_b32_e32 v132, 0x3f00, v133
	v_lshrrev_b32_e32 v133, 16, v130
	v_add_nc_u16 v131, 0xe000, v131
	ds_write2_b32 v10, v117, v120 offset1:16
	ds_write2_b32 v11, v122, v116 offset1:16
	v_lshlrev_b16 v122, 8, v130
	s_waitcnt vmcnt(11)
	v_ashrrev_i32_e32 v129, v23, v129
	v_lshlrev_b16 v116, 8, v133
	v_or_b32_sdwa v117, v132, v131 dst_sel:DWORD dst_unused:UNUSED_PAD src0_sel:DWORD src1_sel:BYTE_1
	v_and_b32_e32 v131, 0x3f00, v133
	v_or_b32_sdwa v136, v136, v137 dst_sel:DWORD dst_unused:UNUSED_PAD src0_sel:DWORD src1_sel:BYTE_1
	v_and_b32_e32 v130, 0x3f00, v130
	v_add_nc_u16 v116, 0xe000, v116
	v_add_nc_u16 v117, 0xe000, v117
	;; [unrolled: 1-line block ×3, first 2 shown]
	v_lshlrev_b32_e32 v132, 4, v129
	v_add_nc_u16 v120, 0xe000, v136
	v_or_b32_sdwa v116, v131, v116 dst_sel:DWORD dst_unused:UNUSED_PAD src0_sel:DWORD src1_sel:BYTE_1
	v_and_b32_e32 v131, 0xf0f0f0f, v128
	v_lshrrev_b32_e32 v128, 4, v128
	v_or_b32_sdwa v122, v130, v122 dst_sel:DWORD dst_unused:UNUSED_PAD src0_sel:DWORD src1_sel:BYTE_1
	v_lshlrev_b32_e32 v117, 16, v117
	v_add_nc_u16 v116, 0xe000, v116
	v_and_or_b32 v130, 0x30303030, v132, v131
	v_and_b32_e32 v128, 0xf0f0f0f, v128
	v_add_nc_u16 v122, 0xe000, v122
	v_or_b32_sdwa v117, v120, v117 dst_sel:DWORD dst_unused:UNUSED_PAD src0_sel:WORD_0 src1_sel:DWORD
	v_lshlrev_b32_e32 v116, 16, v116
	s_waitcnt vmcnt(9)
	v_ashrrev_i32_e32 v127, v23, v127
	v_and_or_b32 v120, 0x30303030, v129, v128
	v_lshrrev_b32_e32 v128, 16, v130
	v_lshlrev_b16 v129, 8, v130
	v_or_b32_sdwa v116, v122, v116 dst_sel:DWORD dst_unused:UNUSED_PAD src0_sel:WORD_0 src1_sel:DWORD
	v_and_b32_e32 v122, 0x3f00, v130
	v_lshrrev_b32_e32 v130, 16, v120
	v_lshlrev_b16 v131, 8, v128
	v_add_nc_u16 v129, 0xe000, v129
	ds_write2_b32 v12, v117, v116 offset1:16
	v_and_b32_e32 v116, 0x3f00, v128
	v_lshlrev_b16 v117, 8, v130
	v_add_nc_u16 v128, 0xe000, v131
	v_or_b32_sdwa v122, v122, v129 dst_sel:DWORD dst_unused:UNUSED_PAD src0_sel:DWORD src1_sel:BYTE_1
	v_lshlrev_b16 v129, 8, v120
	v_and_b32_e32 v130, 0x3f00, v130
	v_add_nc_u16 v117, 0xe000, v117
	v_or_b32_sdwa v116, v116, v128 dst_sel:DWORD dst_unused:UNUSED_PAD src0_sel:DWORD src1_sel:BYTE_1
	v_and_b32_e32 v120, 0x3f00, v120
	v_add_nc_u16 v128, 0xe000, v129
	v_and_b32_e32 v129, 0xf0f0f0f, v126
	v_or_b32_sdwa v117, v130, v117 dst_sel:DWORD dst_unused:UNUSED_PAD src0_sel:DWORD src1_sel:BYTE_1
	v_lshlrev_b32_e32 v130, 4, v127
	v_add_nc_u16 v116, 0xe000, v116
	v_add_nc_u16 v122, 0xe000, v122
	v_or_b32_sdwa v120, v120, v128 dst_sel:DWORD dst_unused:UNUSED_PAD src0_sel:DWORD src1_sel:BYTE_1
	v_add_nc_u16 v117, 0xe000, v117
	v_and_or_b32 v128, 0x30303030, v130, v129
	v_lshlrev_b32_e32 v116, 16, v116
	v_lshrrev_b32_e32 v126, 4, v126
	v_add_nc_u16 v120, 0xe000, v120
	v_lshlrev_b32_e32 v117, 16, v117
	v_lshrrev_b32_e32 v129, 16, v128
	v_or_b32_sdwa v116, v122, v116 dst_sel:DWORD dst_unused:UNUSED_PAD src0_sel:WORD_0 src1_sel:DWORD
	v_and_b32_e32 v122, 0xf0f0f0f, v126
	v_lshlrev_b16 v126, 8, v128
	v_or_b32_sdwa v117, v120, v117 dst_sel:DWORD dst_unused:UNUSED_PAD src0_sel:WORD_0 src1_sel:DWORD
	v_lshlrev_b16 v120, 8, v129
	v_and_b32_e32 v128, 0x3f00, v128
	v_and_or_b32 v122, 0x30303030, v127, v122
	v_add_nc_u16 v126, 0xe000, v126
	v_and_b32_e32 v127, 0x3f00, v129
	v_add_nc_u16 v120, 0xe000, v120
	ds_write2_b32 v13, v116, v117 offset1:16
	v_lshrrev_b32_e32 v116, 16, v122
	s_waitcnt vmcnt(7)
	v_ashrrev_i32_e32 v125, v23, v125
	v_or_b32_sdwa v117, v128, v126 dst_sel:DWORD dst_unused:UNUSED_PAD src0_sel:DWORD src1_sel:BYTE_1
	v_or_b32_sdwa v120, v127, v120 dst_sel:DWORD dst_unused:UNUSED_PAD src0_sel:DWORD src1_sel:BYTE_1
	v_lshlrev_b16 v126, 8, v122
	v_lshlrev_b16 v127, 8, v116
	v_and_b32_e32 v128, 0xf0f0f0f, v124
	v_lshlrev_b32_e32 v129, 4, v125
	v_and_b32_e32 v122, 0x3f00, v122
	v_add_nc_u16 v126, 0xe000, v126
	v_and_b32_e32 v116, 0x3f00, v116
	v_add_nc_u16 v127, 0xe000, v127
	v_and_or_b32 v128, 0x30303030, v129, v128
	v_add_nc_u16 v120, 0xe000, v120
	v_or_b32_sdwa v122, v122, v126 dst_sel:DWORD dst_unused:UNUSED_PAD src0_sel:DWORD src1_sel:BYTE_1
	v_lshrrev_b32_e32 v124, 4, v124
	v_or_b32_sdwa v116, v116, v127 dst_sel:DWORD dst_unused:UNUSED_PAD src0_sel:DWORD src1_sel:BYTE_1
	v_lshrrev_b32_e32 v126, 16, v128
	v_add_nc_u16 v117, 0xe000, v117
	v_lshlrev_b32_e32 v120, 16, v120
	v_and_b32_e32 v124, 0xf0f0f0f, v124
	v_add_nc_u16 v116, 0xe000, v116
	v_lshlrev_b16 v127, 8, v126
	v_add_nc_u16 v122, 0xe000, v122
	v_lshlrev_b16 v129, 8, v128
	v_and_b32_e32 v126, 0x3f00, v126
	v_lshlrev_b32_e32 v116, 16, v116
	v_add_nc_u16 v127, 0xe000, v127
	v_or_b32_sdwa v117, v117, v120 dst_sel:DWORD dst_unused:UNUSED_PAD src0_sel:WORD_0 src1_sel:DWORD
	v_and_or_b32 v120, 0x30303030, v125, v124
	v_and_b32_e32 v128, 0x3f00, v128
	v_add_nc_u16 v129, 0xe000, v129
	v_or_b32_sdwa v124, v126, v127 dst_sel:DWORD dst_unused:UNUSED_PAD src0_sel:DWORD src1_sel:BYTE_1
	v_or_b32_sdwa v116, v122, v116 dst_sel:DWORD dst_unused:UNUSED_PAD src0_sel:WORD_0 src1_sel:DWORD
	s_waitcnt vmcnt(5)
	v_ashrrev_i32_e32 v122, v23, v123
	v_lshrrev_b32_e32 v123, 16, v120
	v_or_b32_sdwa v125, v128, v129 dst_sel:DWORD dst_unused:UNUSED_PAD src0_sel:DWORD src1_sel:BYTE_1
	v_add_nc_u16 v124, 0xe000, v124
	v_and_b32_e32 v126, 0xf0f0f0f, v121
	v_lshlrev_b32_e32 v127, 4, v122
	v_lshlrev_b16 v128, 8, v123
	v_add_nc_u16 v125, 0xe000, v125
	v_lshlrev_b32_e32 v124, 16, v124
	v_lshlrev_b16 v129, 8, v120
	v_and_b32_e32 v123, 0x3f00, v123
	v_and_or_b32 v126, 0x30303030, v127, v126
	v_add_nc_u16 v127, 0xe000, v128
	v_or_b32_sdwa v124, v125, v124 dst_sel:DWORD dst_unused:UNUSED_PAD src0_sel:WORD_0 src1_sel:DWORD
	v_and_b32_e32 v120, 0x3f00, v120
	v_add_nc_u16 v125, 0xe000, v129
	v_lshlrev_b16 v128, 8, v126
	v_or_b32_sdwa v123, v123, v127 dst_sel:DWORD dst_unused:UNUSED_PAD src0_sel:DWORD src1_sel:BYTE_1
	v_lshrrev_b32_e32 v127, 16, v126
	v_lshrrev_b32_e32 v121, 4, v121
	v_and_b32_e32 v126, 0x3f00, v126
	v_add_nc_u16 v128, 0xe000, v128
	v_or_b32_sdwa v120, v120, v125 dst_sel:DWORD dst_unused:UNUSED_PAD src0_sel:DWORD src1_sel:BYTE_1
	v_lshlrev_b16 v125, 8, v127
	v_and_b32_e32 v121, 0xf0f0f0f, v121
	v_add_nc_u16 v123, 0xe000, v123
	v_or_b32_sdwa v126, v126, v128 dst_sel:DWORD dst_unused:UNUSED_PAD src0_sel:DWORD src1_sel:BYTE_1
	v_and_b32_e32 v127, 0x3f00, v127
	v_add_nc_u16 v125, 0xe000, v125
	v_and_or_b32 v121, 0x30303030, v122, v121
	s_waitcnt vmcnt(3)
	v_ashrrev_i32_e32 v119, v23, v119
	v_lshrrev_b32_e32 v128, 4, v118
	v_lshlrev_b32_e32 v122, 16, v123
	v_add_nc_u16 v123, 0xe000, v126
	v_or_b32_sdwa v125, v127, v125 dst_sel:DWORD dst_unused:UNUSED_PAD src0_sel:DWORD src1_sel:BYTE_1
	v_lshrrev_b32_e32 v126, 16, v121
	v_lshlrev_b16 v127, 8, v121
	v_and_b32_e32 v118, 0xf0f0f0f, v118
	v_lshlrev_b32_e32 v129, 4, v119
	v_and_b32_e32 v128, 0xf0f0f0f, v128
	v_and_b32_e32 v121, 0x3f00, v121
	v_add_nc_u16 v127, 0xe000, v127
	v_lshlrev_b16 v130, 8, v126
	v_and_or_b32 v118, 0x30303030, v129, v118
	v_and_or_b32 v119, 0x30303030, v119, v128
	v_and_b32_e32 v126, 0x3f00, v126
	v_or_b32_sdwa v121, v121, v127 dst_sel:DWORD dst_unused:UNUSED_PAD src0_sel:DWORD src1_sel:BYTE_1
	v_add_nc_u16 v127, 0xe000, v130
	v_lshrrev_b32_e32 v128, 16, v118
	v_lshrrev_b32_e32 v129, 16, v119
	v_and_b32_e32 v130, 0x3f00, v118
	v_lshlrev_b16 v118, 8, v118
	v_or_b32_sdwa v126, v126, v127 dst_sel:DWORD dst_unused:UNUSED_PAD src0_sel:DWORD src1_sel:BYTE_1
	v_lshlrev_b16 v127, 8, v128
	v_lshlrev_b16 v131, 8, v129
	v_and_b32_e32 v128, 0x3f00, v128
	v_lshlrev_b16 v132, 8, v119
	v_and_b32_e32 v129, 0x3f00, v129
	v_add_nc_u16 v127, 0xe000, v127
	v_add_nc_u16 v131, 0xe000, v131
	;; [unrolled: 1-line block ×3, first 2 shown]
	v_and_b32_e32 v119, 0x3f00, v119
	v_add_nc_u16 v125, 0xe000, v125
	v_or_b32_sdwa v127, v128, v127 dst_sel:DWORD dst_unused:UNUSED_PAD src0_sel:DWORD src1_sel:BYTE_1
	v_add_nc_u16 v128, 0xe000, v132
	v_or_b32_sdwa v129, v129, v131 dst_sel:DWORD dst_unused:UNUSED_PAD src0_sel:DWORD src1_sel:BYTE_1
	;; [unrolled: 2-line block ×4, first 2 shown]
	v_add_nc_u16 v128, 0xe000, v129
	v_add_nc_u16 v120, 0xe000, v120
	v_lshlrev_b32_e32 v125, 16, v125
	v_add_nc_u16 v121, 0xe000, v121
	v_lshlrev_b32_e32 v126, 16, v126
	;; [unrolled: 2-line block ×4, first 2 shown]
	v_or_b32_sdwa v120, v120, v122 dst_sel:DWORD dst_unused:UNUSED_PAD src0_sel:WORD_0 src1_sel:DWORD
	ds_write2_b32 v14, v117, v116 offset1:16
	s_waitcnt vmcnt(2)
	v_cvt_f32_f16_e32 v116, v144
	v_or_b32_sdwa v122, v123, v125 dst_sel:DWORD dst_unused:UNUSED_PAD src0_sel:WORD_0 src1_sel:DWORD
	v_or_b32_sdwa v121, v121, v126 dst_sel:DWORD dst_unused:UNUSED_PAD src0_sel:WORD_0 src1_sel:DWORD
	s_add_i32 s1, s4, 0xffffff80
	v_or_b32_sdwa v118, v118, v127 dst_sel:DWORD dst_unused:UNUSED_PAD src0_sel:WORD_0 src1_sel:DWORD
	v_or_b32_sdwa v119, v119, v128 dst_sel:DWORD dst_unused:UNUSED_PAD src0_sel:WORD_0 src1_sel:DWORD
	s_cmp_lt_i32 s1, s9
	ds_write2_b32 v15, v124, v120 offset1:16
	ds_write2_b32 v16, v122, v121 offset1:16
	;; [unrolled: 1-line block ×3, first 2 shown]
	ds_write_b32 v24, v116
	s_waitcnt vmcnt(1)
	ds_write_b32 v113, v134
	s_waitcnt vmcnt(0)
	ds_write_b32 v114, v135
	s_cbranch_scc0 .LBB236_5
; %bb.7:                                ;   in Loop: Header=BB236_6 Depth=1
	v_cmp_gt_i32_e64 s1, s18, v28
	s_and_b32 s5, s0, s1
	s_and_saveexec_b32 s1, s5
	s_cbranch_execz .LBB236_9
; %bb.8:                                ;   in Loop: Header=BB236_6 Depth=1
	v_add_nc_u32_e32 v116, v39, v28
	v_mad_i64_i32 v[116:117], null, v116, 36, v[18:19]
	global_load_dword v116, v[116:117], off offset:4
	s_waitcnt vmcnt(0)
	ds_write_b32 v27, v116
.LBB236_9:                              ;   in Loop: Header=BB236_6 Depth=1
	s_or_b32 exec_lo, exec_lo, s1
	v_cmp_gt_i32_e64 s1, s18, v115
	s_and_b32 s5, s10, s1
	s_and_saveexec_b32 s1, s5
	s_cbranch_execz .LBB236_11
; %bb.10:                               ;   in Loop: Header=BB236_6 Depth=1
	v_add_nc_u32_e32 v116, v39, v115
	v_mad_i64_i32 v[116:117], null, v116, 36, s[6:7]
	global_load_dword v116, v[116:117], off
	v_add_nc_u32_e32 v117, v25, v1
	s_waitcnt vmcnt(0)
	v_cvt_f32_f16_e32 v116, v116
	ds_write_b32 v117, v116
.LBB236_11:                             ;   in Loop: Header=BB236_6 Depth=1
	s_or_b32 exec_lo, exec_lo, s1
	s_waitcnt lgkmcnt(0)
	s_barrier
	buffer_gl0_inv
	ds_read2_b32 v[116:117], v31 offset0:12 offset1:13
	ds_read_b128 v[127:130], v26 offset:48
	ds_read_b128 v[131:134], v26 offset:32
	ds_read2_b32 v[118:119], v31 offset0:4 offset1:5
	ds_read2_b32 v[120:121], v31 offset0:8 offset1:9
	ds_read_b128 v[135:138], v26 offset:16
	ds_read_b128 v[139:142], v26
	ds_read2_b32 v[122:123], v31 offset0:14 offset1:15
	ds_read2_b32 v[143:144], v31 offset0:10 offset1:11
	;; [unrolled: 1-line block ×4, first 2 shown]
	ds_read2_b32 v[149:150], v31 offset1:1
	v_mov_b32_e32 v126, 0
	v_add_nc_u32_e32 v124, 0x20b0, v31
	v_mov_b32_e32 v125, 0
	v_mov_b32_e32 v177, 0
	v_add_nc_u32_e32 v153, 0x2090, v31
	v_mov_b32_e32 v178, 0
	ds_read2_b32 v[151:152], v124 offset1:1
	v_add_nc_u32_e32 v124, 0x4118, v31
	v_add_nc_u32_e32 v165, 0x4138, v31
	s_waitcnt lgkmcnt(11)
	v_dot4c_i32_i8 v126, v116, v127
	v_add_nc_u32_e32 v116, 0x2088, v31
	v_mov_b32_e32 v179, 0
	s_waitcnt lgkmcnt(8)
	v_dot4c_i32_i8 v125, v120, v131
	s_waitcnt lgkmcnt(7)
	v_dot4c_i32_i8 v177, v118, v135
	v_dot4c_i32_i8 v126, v117, v128
	v_add_nc_u32_e32 v117, 0x2080, v31
	v_add_nc_u32_e32 v118, 0x20b8, v31
	v_dot4c_i32_i8 v125, v121, v132
	v_dot4c_i32_i8 v177, v119, v136
	s_waitcnt lgkmcnt(5)
	v_dot4c_i32_i8 v126, v122, v129
	ds_read2_b32 v[121:122], v153 offset1:1
	ds_read2_b32 v[153:154], v116 offset1:1
	;; [unrolled: 1-line block ×4, first 2 shown]
	v_mov_b32_e32 v116, 0
	s_waitcnt lgkmcnt(5)
	v_dot4c_i32_i8 v178, v149, v139
	v_add_nc_u32_e32 v119, 0x20a8, v31
	v_dot4c_i32_i8 v126, v123, v130
	v_dot4c_i32_i8 v125, v143, v133
	s_waitcnt lgkmcnt(4)
	v_dot4c_i32_i8 v116, v151, v127
	v_dot4c_i32_i8 v178, v150, v140
	v_add_nc_u32_e32 v123, 0x2098, v31
	v_add_nc_u32_e32 v120, 0x20a0, v31
	v_dot4c_i32_i8 v177, v145, v137
	v_dot4c_i32_i8 v116, v152, v128
	;; [unrolled: 1-line block ×3, first 2 shown]
	ds_read2_b32 v[149:150], v119 offset1:1
	ds_read2_b32 v[119:120], v120 offset1:1
	;; [unrolled: 1-line block ×3, first 2 shown]
	v_dot4c_i32_i8 v125, v144, v134
	ds_read2_b32 v[143:144], v123 offset1:1
	v_add_nc_u32_e32 v123, 0x4128, v31
	v_add_nc_u32_e32 v124, 0x4120, v31
	v_dot4c_i32_i8 v177, v146, v138
	v_dot4c_i32_i8 v178, v148, v142
	s_waitcnt lgkmcnt(4)
	v_dot4c_i32_i8 v116, v117, v129
	v_add_nc_u32_e32 v117, 0x4130, v31
	ds_read2_b32 v[145:146], v117 offset1:1
	ds_read2_b32 v[147:148], v123 offset1:1
	;; [unrolled: 1-line block ×3, first 2 shown]
	v_dot4c_i32_i8 v116, v118, v130
	v_mov_b32_e32 v118, 0
	v_add_nc_u32_e32 v117, 0x4110, v31
	v_add_nc_u32_e32 v123, 0x4108, v31
	;; [unrolled: 1-line block ×3, first 2 shown]
	ds_read2_b32 v[159:160], v117 offset1:1
	ds_read2_b32 v[161:162], v123 offset1:1
	;; [unrolled: 1-line block ×4, first 2 shown]
	s_waitcnt lgkmcnt(9)
	v_dot4c_i32_i8 v118, v119, v131
	v_mov_b32_e32 v124, 0
	v_mov_b32_e32 v119, 0
	v_add_nc_u32_e32 v117, 0x6198, v31
	v_mov_b32_e32 v123, 0
	v_dot4c_i32_i8 v118, v120, v132
	v_dot4c_i32_i8 v124, v121, v135
	v_mov_b32_e32 v120, 0
	ds_read2_b32 v[167:168], v117 offset1:1
	ds_read_b32 v117, v38 offset:384
	v_mov_b32_e32 v121, 0
	s_waitcnt lgkmcnt(6)
	v_dot4c_i32_i8 v119, v151, v131
	v_dot4c_i32_i8 v124, v122, v136
	;; [unrolled: 1-line block ×3, first 2 shown]
	v_add_nc_u32_e32 v145, 0x61a0, v31
	v_dot4c_i32_i8 v123, v155, v139
	v_dot4c_i32_i8 v119, v152, v132
	;; [unrolled: 1-line block ×3, first 2 shown]
	v_add_nc_u32_e32 v143, 0x61b0, v31
	v_dot4c_i32_i8 v120, v146, v128
	s_waitcnt lgkmcnt(5)
	v_dot4c_i32_i8 v121, v159, v135
	v_dot4c_i32_i8 v119, v147, v133
	v_add_nc_u32_e32 v147, 0x6190, v31
	v_dot4c_i32_i8 v124, v144, v138
	v_mov_b32_e32 v122, 0
	v_dot4c_i32_i8 v118, v149, v133
	v_dot4c_i32_i8 v119, v148, v134
	ds_read2_b32 v[143:144], v143 offset1:1
	ds_read2_b32 v[145:146], v145 offset1:1
	ds_read2_b32 v[147:148], v147 offset1:1
	v_dot4c_i32_i8 v123, v156, v140
	v_dot4c_i32_i8 v121, v160, v136
	s_waitcnt lgkmcnt(6)
	v_dot4c_i32_i8 v122, v163, v139
	v_add_nc_u32_e32 v149, 0x6188, v31
	v_mov_b32_e32 v180, 0
	v_mov_b32_e32 v181, 0
	v_dot4c_i32_i8 v118, v150, v134
	v_add_nc_u32_e32 v150, 0x6180, v31
	v_add_nc_u32_e32 v151, 0x61b8, v31
	v_dot4c_i32_i8 v123, v153, v141
	s_waitcnt lgkmcnt(5)
	v_dot4c_i32_i8 v120, v165, v129
	v_dot4c_i32_i8 v121, v157, v137
	;; [unrolled: 1-line block ×3, first 2 shown]
	ds_read2_b32 v[155:156], v149 offset1:1
	ds_read2_b32 v[159:160], v150 offset1:1
	;; [unrolled: 1-line block ×3, first 2 shown]
	v_add_nc_u32_e32 v149, 0x61a8, v31
	v_add_nc_u32_e32 v150, 0x61d8, v31
	v_dot4c_i32_i8 v123, v154, v142
	s_waitcnt lgkmcnt(5)
	v_dot4c_i32_i8 v179, v143, v127
	s_waitcnt lgkmcnt(4)
	;; [unrolled: 2-line block ×3, first 2 shown]
	v_dot4c_i32_i8 v181, v147, v135
	v_dot4c_i32_i8 v120, v166, v130
	ds_read2_b32 v[165:166], v149 offset1:1
	ds_read2_b32 v[169:170], v150 offset1:1
	v_dot4c_i32_i8 v121, v158, v138
	v_dot4c_i32_i8 v179, v144, v128
	;; [unrolled: 1-line block ×4, first 2 shown]
	ds_read_b128 v[143:146], v26 offset:80
	ds_read_b128 v[147:150], v26 offset:64
	ds_read2_b32 v[131:132], v31 offset0:20 offset1:21
	ds_read_b128 v[151:154], v26 offset:112
	ds_read2_b32 v[135:136], v31 offset0:30 offset1:31
	ds_read2_b32 v[157:158], v31 offset0:28 offset1:29
	;; [unrolled: 1-line block ×5, first 2 shown]
	v_mov_b32_e32 v182, 0
	v_mov_b32_e32 v183, 0
	v_dot4c_i32_i8 v122, v161, v141
	v_dot4c_i32_i8 v181, v167, v137
	v_mov_b32_e32 v167, 0
	s_waitcnt lgkmcnt(12)
	v_dot4c_i32_i8 v182, v159, v139
	v_add_nc_u32_e32 v139, 0x61c0, v31
	s_waitcnt lgkmcnt(11)
	v_dot4c_i32_i8 v179, v163, v129
	v_dot4c_i32_i8 v181, v168, v138
	v_mov_b32_e32 v168, 0
	v_dot4c_i32_i8 v182, v160, v140
	v_dot4c_i32_i8 v122, v162, v142
	;; [unrolled: 1-line block ×3, first 2 shown]
	s_waitcnt lgkmcnt(6)
	v_dot4c_i32_i8 v167, v131, v143
	v_add_nc_u32_e32 v131, 0x61d0, v31
	v_dot4c_i32_i8 v180, v165, v133
	s_waitcnt lgkmcnt(3)
	v_dot4c_i32_i8 v168, v157, v151
	v_add_nc_u32_e32 v133, 0x61f0, v31
	v_dot4c_i32_i8 v167, v132, v144
	ds_read2_b32 v[131:132], v131 offset1:1
	ds_read2_b32 v[139:140], v139 offset1:1
	v_dot4c_i32_i8 v168, v158, v152
	v_dot4c_i32_i8 v180, v166, v134
	;; [unrolled: 1-line block ×3, first 2 shown]
	s_waitcnt lgkmcnt(2)
	v_dot4c_i32_i8 v183, v175, v147
	v_add_nc_u32_e32 v157, 0x61f8, v31
	v_dot4c_i32_i8 v168, v135, v153
	ds_read2_b32 v[134:135], v133 offset1:1
	v_add_nc_u32_e32 v133, 0x61c8, v31
	ds_read_b128 v[127:130], v26 offset:96
	ds_read2_b32 v[137:138], v31 offset0:26 offset1:27
	v_dot4c_i32_i8 v182, v156, v142
	v_dot4c_i32_i8 v167, v171, v145
	;; [unrolled: 1-line block ×3, first 2 shown]
	ds_read_b32 v171, v36 offset:256
	ds_read2_b32 v[141:142], v37 offset1:1
	ds_read2_b32 v[155:156], v133 offset1:1
	;; [unrolled: 1-line block ×3, first 2 shown]
	v_mov_b32_e32 v165, 0
	v_add_nc_u32_e32 v159, 0x61e0, v31
	v_dot4c_i32_i8 v167, v172, v146
	v_dot4c_i32_i8 v183, v173, v149
	v_mov_b32_e32 v173, 0
	s_waitcnt lgkmcnt(8)
	v_dot4c_i32_i8 v165, v131, v143
	v_mov_b32_e32 v172, 0
	ds_read2_b32 v[159:160], v159 offset1:1
	v_add_nc_u32_e32 v131, 0x61e8, v31
	s_waitcnt lgkmcnt(8)
	v_dot4c_i32_i8 v173, v139, v147
	v_dot4c_i32_i8 v165, v132, v144
	v_add_nc_u32_e32 v133, 0x20d8, v31
	s_waitcnt lgkmcnt(7)
	v_dot4c_i32_i8 v172, v134, v151
	ds_read2_b32 v[161:162], v131 offset1:1
	ds_read2_b32 v[163:164], v133 offset1:1
	v_dot4c_i32_i8 v173, v140, v148
	v_dot4c_i32_i8 v165, v169, v145
	v_dot4c_i32_i8 v172, v135, v152
	s_waitcnt lgkmcnt(5)
	v_bfe_i32 v135, v141, 8, 8
	v_bfe_i32 v139, v142, 8, 8
	s_waitcnt lgkmcnt(4)
	v_dot4c_i32_i8 v173, v155, v149
	v_dot4c_i32_i8 v165, v170, v146
	ds_read_b128 v[131:134], v1 offset:36944
	v_mul_lo_u32 v135, v181, v135
	v_mov_b32_e32 v169, 0
	v_dot4c_i32_i8 v173, v156, v150
	ds_read2_b32 v[155:156], v30 offset1:1
	v_bfe_i32 v140, v141, 0, 8
	v_mul_lo_u32 v139, v165, v139
	s_waitcnt lgkmcnt(5)
	v_dot4c_i32_i8 v172, v157, v153
	s_waitcnt lgkmcnt(4)
	v_dot4c_i32_i8 v169, v159, v127
	v_bfe_i32 v157, v142, 0, 8
	v_mad_u64_u32 v[165:166], null, v182, v140, v[135:136]
	v_ashrrev_i32_e32 v135, 24, v141
	v_dot4c_i32_i8 v169, v160, v128
	ds_read2_b32 v[159:160], v31 offset0:24 offset1:25
	v_mad_u64_u32 v[139:140], null, v173, v157, v[139:140]
	v_mul_lo_u32 v135, v179, v135
	v_dot4c_i32_i8 v172, v158, v154
	v_cvt_f32_i32_e32 v140, v165
	v_ashrrev_i32_e32 v157, 24, v142
	v_bfe_i32 v141, v141, 16, 8
	s_waitcnt lgkmcnt(4)
	v_dot4c_i32_i8 v169, v161, v129
	v_cvt_f32_i32_e32 v158, v139
	s_waitcnt lgkmcnt(2)
	v_fma_f32 v170, v131, v140, 0
	v_mul_lo_u32 v139, v172, v157
	v_mad_u64_u32 v[140:141], null, v180, v141, v[135:136]
	s_waitcnt lgkmcnt(1)
	v_bfe_i32 v135, v155, 8, 8
	v_dot4c_i32_i8 v169, v162, v130
	v_bfe_i32 v141, v142, 16, 8
	v_mov_b32_e32 v161, 0
	v_bfe_i32 v157, v156, 8, 8
	v_mul_lo_u32 v135, v177, v135
	v_fma_f32 v172, v133, v158, 0
	v_mad_u64_u32 v[141:142], null, v169, v141, v[139:140]
	v_cvt_f32_i32_e32 v142, v140
	v_bfe_i32 v140, v155, 0, 8
	s_waitcnt lgkmcnt(0)
	v_dot4c_i32_i8 v161, v159, v127
	v_mul_lo_u32 v139, v167, v157
	v_dot4c_i32_i8 v168, v136, v154
	v_dot4c_i32_i8 v183, v174, v150
	v_mad_u64_u32 v[157:158], null, v178, v140, v[135:136]
	v_dot4c_i32_i8 v161, v160, v128
	v_cvt_f32_i32_e32 v135, v141
	v_ashrrev_i32_e32 v136, 24, v156
	v_bfe_i32 v159, v156, 0, 8
	v_bfe_i32 v156, v156, 16, 8
	v_dot4c_i32_i8 v161, v137, v129
	v_fmac_f32_e32 v172, v134, v135
	v_cvt_f32_i32_e32 v135, v157
	v_add_nc_u32_e32 v137, 0x20d0, v31
	v_mad_u64_u32 v[139:140], null, v183, v159, v[139:140]
	v_dot4c_i32_i8 v161, v138, v130
	v_fma_f32 v173, v131, v135, 0
	v_mul_lo_u32 v135, v168, v136
	ds_read2_b32 v[136:137], v137 offset1:1
	v_ashrrev_i32_e32 v138, 24, v155
	v_bfe_i32 v157, v155, 16, 8
	v_fmac_f32_e32 v170, v132, v142
	v_cvt_f32_i32_e32 v142, v139
	v_add_nc_u32_e32 v139, 0x20c8, v31
	v_mul_lo_u32 v126, v126, v138
	v_add_nc_u32_e32 v140, 0x20c0, v31
	ds_read2_b32 v[138:139], v139 offset1:1
	ds_read2_b32 v[140:141], v140 offset1:1
	v_mov_b32_e32 v162, 0
	v_mov_b32_e32 v165, 0
	v_mad_u64_u32 v[125:126], null, v125, v157, v[126:127]
	v_add_nc_u32_e32 v126, 0x20f8, v31
	v_fma_f32 v142, v133, v142, 0
	v_mov_b32_e32 v176, 0
	v_mov_b32_e32 v177, 0
	s_waitcnt lgkmcnt(2)
	v_mad_u64_u32 v[155:156], null, v161, v156, v[135:136]
	ds_read_b32 v174, v32
	ds_read_b32 v175, v34 offset:128
	ds_read2_b32 v[156:157], v35 offset1:1
	ds_read2_b32 v[158:159], v33 offset1:1
	;; [unrolled: 1-line block ×3, first 2 shown]
	v_add_nc_u32_e32 v135, 0x20f0, v31
	v_dot4c_i32_i8 v162, v136, v143
	v_add_nc_u32_e32 v126, 0x20e0, v31
	v_add_nc_u32_e32 v166, 0x4148, v31
	;; [unrolled: 1-line block ×3, first 2 shown]
	ds_read2_b32 v[135:136], v135 offset1:1
	v_dot4c_i32_i8 v162, v137, v144
	v_cvt_f32_i32_e32 v137, v155
	v_cvt_f32_i32_e32 v155, v125
	ds_read2_b32 v[125:126], v126 offset1:1
	s_waitcnt lgkmcnt(7)
	v_dot4c_i32_i8 v165, v140, v147
	v_dot4c_i32_i8 v162, v163, v145
	v_fmac_f32_e32 v142, v134, v137
	v_add_nc_u32_e32 v137, 0x20e8, v31
	v_add_nc_u32_e32 v140, 0x4158, v31
	v_dot4c_i32_i8 v165, v141, v148
	v_dot4c_i32_i8 v162, v164, v146
	v_fmac_f32_e32 v173, v132, v155
	s_waitcnt lgkmcnt(3)
	v_bfe_i32 v163, v158, 8, 8
	v_bfe_i32 v164, v159, 8, 8
	v_dot4c_i32_i8 v165, v138, v149
	ds_read2_b32 v[137:138], v137 offset1:1
	ds_read2_b32 v[140:141], v140 offset1:1
	v_add_nc_u32_e32 v155, 0x4160, v31
	v_mul_lo_u32 v124, v124, v163
	v_mov_b32_e32 v178, 0
	s_waitcnt lgkmcnt(3)
	v_dot4c_i32_i8 v176, v135, v151
	v_mul_lo_u32 v135, v162, v164
	v_bfe_i32 v162, v158, 0, 8
	v_dot4c_i32_i8 v165, v139, v150
	v_bfe_i32 v139, v159, 0, 8
	s_waitcnt lgkmcnt(2)
	v_dot4c_i32_i8 v177, v125, v127
	v_dot4c_i32_i8 v176, v136, v152
	v_mad_u64_u32 v[123:124], null, v123, v162, v[124:125]
	v_add_nc_u32_e32 v124, 0x4150, v31
	v_add_nc_u32_e32 v125, 0x4170, v31
	v_mad_u64_u32 v[135:136], null, v165, v139, v[135:136]
	v_dot4c_i32_i8 v177, v126, v128
	v_dot4c_i32_i8 v176, v160, v153
	v_cvt_f32_i32_e32 v139, v123
	ds_read2_b32 v[123:124], v124 offset1:1
	ds_read2_b32 v[125:126], v125 offset1:1
	v_add_nc_u32_e32 v160, 0x4140, v31
	s_waitcnt lgkmcnt(3)
	v_dot4c_i32_i8 v177, v137, v129
	v_cvt_f32_i32_e32 v137, v135
	v_add_nc_u32_e32 v135, 0x4168, v31
	ds_read2_b32 v[135:136], v135 offset1:1
	ds_read2_b32 v[162:163], v155 offset1:1
	;; [unrolled: 1-line block ×5, first 2 shown]
	v_dot4c_i32_i8 v177, v138, v130
	v_fma_f32 v138, v131, v139, 0
	v_mov_b32_e32 v139, 0
	v_bfe_i32 v155, v158, 16, 8
	v_ashrrev_i32_e32 v158, 24, v158
	v_dot4c_i32_i8 v176, v161, v154
	v_mov_b32_e32 v161, 0
	v_bfe_i32 v160, v159, 16, 8
	v_ashrrev_i32_e32 v159, 24, v159
	v_mul_lo_u32 v116, v116, v158
	s_waitcnt lgkmcnt(5)
	v_dot4c_i32_i8 v139, v125, v151
	v_mov_b32_e32 v151, 0
	v_fma_f32 v137, v133, v137, 0
	v_fmac_f32_e32 v22, v174, v173
	v_fmac_f32_e32 v20, v117, v170
	v_dot4c_i32_i8 v139, v126, v152
	v_dot4c_i32_i8 v151, v123, v143
	s_waitcnt lgkmcnt(2)
	v_dot4c_i32_i8 v178, v164, v147
	v_dot4c_i32_i8 v161, v162, v127
	v_ashrrev_i32_e32 v127, 24, v157
	s_waitcnt lgkmcnt(0)
	v_dot4c_i32_i8 v139, v168, v153
	v_dot4c_i32_i8 v151, v124, v144
	v_mad_u64_u32 v[124:125], null, v118, v155, v[116:117]
	v_bfe_i32 v116, v156, 8, 8
	v_dot4c_i32_i8 v178, v165, v148
	v_dot4c_i32_i8 v151, v140, v145
	v_bfe_i32 v118, v157, 8, 8
	v_bfe_i32 v125, v156, 0, 8
	v_mul_lo_u32 v116, v121, v116
	v_ashrrev_i32_e32 v121, 24, v156
	v_dot4c_i32_i8 v151, v141, v146
	v_dot4c_i32_i8 v178, v166, v149
	;; [unrolled: 1-line block ×4, first 2 shown]
	v_mul_lo_u32 v120, v120, v121
	v_mul_lo_u32 v118, v151, v118
	v_mad_u64_u32 v[121:122], null, v122, v125, v[116:117]
	v_dot4c_i32_i8 v178, v167, v150
	v_bfe_i32 v126, v157, 0, 8
	v_dot4c_i32_i8 v161, v135, v129
	v_bfe_i32 v122, v156, 16, 8
	v_mul_lo_u32 v123, v176, v159
	v_mul_lo_u32 v116, v139, v127
	v_mad_u64_u32 v[125:126], null, v178, v126, v[118:119]
	v_dot4c_i32_i8 v161, v136, v130
	v_bfe_i32 v126, v157, 16, 8
	v_mad_u64_u32 v[118:119], null, v119, v122, v[120:121]
	v_cvt_f32_i32_e32 v122, v121
	v_mad_u64_u32 v[119:120], null, v177, v160, v[123:124]
	v_mad_u64_u32 v[120:121], null, v161, v126, v[116:117]
	v_cvt_f32_i32_e32 v116, v124
	v_cvt_f32_i32_e32 v121, v125
	v_fma_f32 v122, v131, v122, 0
	v_cvt_f32_i32_e32 v118, v118
	v_cvt_f32_i32_e32 v119, v119
	v_fmac_f32_e32 v138, v132, v116
	v_fma_f32 v116, v133, v121, 0
	v_cvt_f32_i32_e32 v120, v120
	v_fmac_f32_e32 v122, v132, v118
	v_fmac_f32_e32 v137, v134, v119
	;; [unrolled: 1-line block ×8, first 2 shown]
	s_cmp_ge_i32 s4, s9
	v_fmac_f32_e32 v95, v171, v116
	s_barrier
	buffer_gl0_inv
	s_cbranch_scc1 .LBB236_5
; %bb.12:                               ;   in Loop: Header=BB236_6 Depth=1
	v_cmp_gt_i32_e64 s1, s18, v29
	s_and_b32 s5, s0, s1
	s_and_saveexec_b32 s1, s5
	s_cbranch_execz .LBB236_14
; %bb.13:                               ;   in Loop: Header=BB236_6 Depth=1
	v_add_nc_u32_e32 v116, v39, v29
	v_mad_i64_i32 v[116:117], null, v116, 36, v[18:19]
	global_load_dword v116, v[116:117], off offset:4
	s_waitcnt vmcnt(0)
	ds_write_b32 v27, v116
.LBB236_14:                             ;   in Loop: Header=BB236_6 Depth=1
	s_or_b32 exec_lo, exec_lo, s1
	s_and_saveexec_b32 s5, vcc_lo
	s_cbranch_execz .LBB236_4
; %bb.15:                               ;   in Loop: Header=BB236_6 Depth=1
	v_add_nc_u32_e32 v116, 4, v115
	v_cmp_gt_i32_e64 s1, s18, v116
	s_and_b32 s1, s0, s1
	s_and_b32 exec_lo, exec_lo, s1
	s_cbranch_execz .LBB236_4
; %bb.16:                               ;   in Loop: Header=BB236_6 Depth=1
	v_ashrrev_i32_e32 v116, 31, v115
	v_add_co_u32 v117, s1, v39, v115
	v_add_co_ci_u32_e64 v118, null, v40, v116, s1
	v_mad_u64_u32 v[116:117], null, v117, 36, s[6:7]
	v_mad_i32_i24 v117, v118, 36, v117
	global_load_dword v116, v[116:117], off offset:144
	v_add_nc_u32_e32 v117, v25, v1
	s_waitcnt vmcnt(0)
	v_cvt_f32_f16_e32 v116, v116
	ds_write_b32 v117, v116
	s_branch .LBB236_4
.LBB236_17:
	s_mul_i32 s0, s14, s11
	s_waitcnt vmcnt(0)
	v_cmp_gt_i32_e32 vcc_lo, s0, v21
	s_and_saveexec_b32 s0, vcc_lo
	s_cbranch_execz .LBB236_26
; %bb.18:
	v_add_nc_u32_e32 v1, s15, v0
	v_mul_lo_u32 v0, v21, s13
	s_mov_b32 s0, exec_lo
	v_cmpx_gt_u32_e64 s13, v1
	s_cbranch_execz .LBB236_20
; %bb.19:
	v_add_nc_u32_e32 v2, v0, v1
	v_mov_b32_e32 v3, 0
	v_bfe_u32 v4, v22, 16, 1
	v_cmp_o_f32_e32 vcc_lo, v22, v22
	v_mov_b32_e32 v5, 0x7fc0
	v_lshlrev_b64 v[2:3], 1, v[2:3]
	v_add3_u32 v4, v22, v4, 0x7fff
	v_cndmask_b32_sdwa v4, v5, v4, vcc_lo dst_sel:DWORD dst_unused:UNUSED_PAD src0_sel:DWORD src1_sel:WORD_1
	v_add_co_u32 v2, vcc_lo, s2, v2
	v_add_co_ci_u32_e64 v3, null, s3, v3, vcc_lo
	global_store_short v[2:3], v4, off
.LBB236_20:
	s_or_b32 exec_lo, exec_lo, s0
	v_add_nc_u32_e32 v2, 32, v1
	s_mov_b32 s0, exec_lo
	v_cmpx_gt_u32_e64 s13, v2
	s_cbranch_execz .LBB236_22
; %bb.21:
	v_add_nc_u32_e32 v2, v0, v2
	v_mov_b32_e32 v3, 0
	v_bfe_u32 v4, v106, 16, 1
	v_cmp_o_f32_e32 vcc_lo, v106, v106
	v_mov_b32_e32 v5, 0x7fc0
	v_lshlrev_b64 v[2:3], 1, v[2:3]
	v_add3_u32 v4, v106, v4, 0x7fff
	v_cndmask_b32_sdwa v4, v5, v4, vcc_lo dst_sel:DWORD dst_unused:UNUSED_PAD src0_sel:DWORD src1_sel:WORD_1
	v_add_co_u32 v2, vcc_lo, s2, v2
	v_add_co_ci_u32_e64 v3, null, s3, v3, vcc_lo
	global_store_short v[2:3], v4, off
.LBB236_22:
	s_or_b32 exec_lo, exec_lo, s0
	v_add_nc_u32_e32 v2, 64, v1
	;; [unrolled: 18-line block ×3, first 2 shown]
	v_cmp_gt_u32_e32 vcc_lo, s13, v1
	s_and_b32 exec_lo, exec_lo, vcc_lo
	s_cbranch_execz .LBB236_26
; %bb.25:
	v_add_nc_u32_e32 v0, v0, v1
	v_mov_b32_e32 v1, 0
	v_bfe_u32 v2, v20, 16, 1
	v_cmp_o_f32_e32 vcc_lo, v20, v20
	v_mov_b32_e32 v3, 0x7fc0
	v_lshlrev_b64 v[0:1], 1, v[0:1]
	v_add3_u32 v2, v20, v2, 0x7fff
	v_cndmask_b32_sdwa v2, v3, v2, vcc_lo dst_sel:DWORD dst_unused:UNUSED_PAD src0_sel:DWORD src1_sel:WORD_1
	v_add_co_u32 v0, vcc_lo, s2, v0
	v_add_co_ci_u32_e64 v1, null, s3, v1, vcc_lo
	global_store_short v[0:1], v2, off
.LBB236_26:
	s_endpgm
	.section	.rodata,"a",@progbits
	.p2align	6, 0x0
	.amdhsa_kernel _ZL8moe_q6_KIN3c108BFloat16ELb1EEvPKvS3_PT_PKiS7_S7_iiiiiii
		.amdhsa_group_segment_fixed_size 37072
		.amdhsa_private_segment_fixed_size 0
		.amdhsa_kernarg_size 76
		.amdhsa_user_sgpr_count 6
		.amdhsa_user_sgpr_private_segment_buffer 1
		.amdhsa_user_sgpr_dispatch_ptr 0
		.amdhsa_user_sgpr_queue_ptr 0
		.amdhsa_user_sgpr_kernarg_segment_ptr 1
		.amdhsa_user_sgpr_dispatch_id 0
		.amdhsa_user_sgpr_flat_scratch_init 0
		.amdhsa_user_sgpr_private_segment_size 0
		.amdhsa_wavefront_size32 1
		.amdhsa_uses_dynamic_stack 0
		.amdhsa_system_sgpr_private_segment_wavefront_offset 0
		.amdhsa_system_sgpr_workgroup_id_x 1
		.amdhsa_system_sgpr_workgroup_id_y 1
		.amdhsa_system_sgpr_workgroup_id_z 0
		.amdhsa_system_sgpr_workgroup_info 0
		.amdhsa_system_vgpr_workitem_id 1
		.amdhsa_next_free_vgpr 188
		.amdhsa_next_free_sgpr 22
		.amdhsa_reserve_vcc 1
		.amdhsa_reserve_flat_scratch 0
		.amdhsa_float_round_mode_32 0
		.amdhsa_float_round_mode_16_64 0
		.amdhsa_float_denorm_mode_32 3
		.amdhsa_float_denorm_mode_16_64 3
		.amdhsa_dx10_clamp 1
		.amdhsa_ieee_mode 1
		.amdhsa_fp16_overflow 0
		.amdhsa_workgroup_processor_mode 1
		.amdhsa_memory_ordered 1
		.amdhsa_forward_progress 1
		.amdhsa_shared_vgpr_count 0
		.amdhsa_exception_fp_ieee_invalid_op 0
		.amdhsa_exception_fp_denorm_src 0
		.amdhsa_exception_fp_ieee_div_zero 0
		.amdhsa_exception_fp_ieee_overflow 0
		.amdhsa_exception_fp_ieee_underflow 0
		.amdhsa_exception_fp_ieee_inexact 0
		.amdhsa_exception_int_div_zero 0
	.end_amdhsa_kernel
	.section	.text._ZL8moe_q6_KIN3c108BFloat16ELb1EEvPKvS3_PT_PKiS7_S7_iiiiiii,"axG",@progbits,_ZL8moe_q6_KIN3c108BFloat16ELb1EEvPKvS3_PT_PKiS7_S7_iiiiiii,comdat
.Lfunc_end236:
	.size	_ZL8moe_q6_KIN3c108BFloat16ELb1EEvPKvS3_PT_PKiS7_S7_iiiiiii, .Lfunc_end236-_ZL8moe_q6_KIN3c108BFloat16ELb1EEvPKvS3_PT_PKiS7_S7_iiiiiii
                                        ; -- End function
	.set _ZL8moe_q6_KIN3c108BFloat16ELb1EEvPKvS3_PT_PKiS7_S7_iiiiiii.num_vgpr, 188
	.set _ZL8moe_q6_KIN3c108BFloat16ELb1EEvPKvS3_PT_PKiS7_S7_iiiiiii.num_agpr, 0
	.set _ZL8moe_q6_KIN3c108BFloat16ELb1EEvPKvS3_PT_PKiS7_S7_iiiiiii.numbered_sgpr, 22
	.set _ZL8moe_q6_KIN3c108BFloat16ELb1EEvPKvS3_PT_PKiS7_S7_iiiiiii.num_named_barrier, 0
	.set _ZL8moe_q6_KIN3c108BFloat16ELb1EEvPKvS3_PT_PKiS7_S7_iiiiiii.private_seg_size, 0
	.set _ZL8moe_q6_KIN3c108BFloat16ELb1EEvPKvS3_PT_PKiS7_S7_iiiiiii.uses_vcc, 1
	.set _ZL8moe_q6_KIN3c108BFloat16ELb1EEvPKvS3_PT_PKiS7_S7_iiiiiii.uses_flat_scratch, 0
	.set _ZL8moe_q6_KIN3c108BFloat16ELb1EEvPKvS3_PT_PKiS7_S7_iiiiiii.has_dyn_sized_stack, 0
	.set _ZL8moe_q6_KIN3c108BFloat16ELb1EEvPKvS3_PT_PKiS7_S7_iiiiiii.has_recursion, 0
	.set _ZL8moe_q6_KIN3c108BFloat16ELb1EEvPKvS3_PT_PKiS7_S7_iiiiiii.has_indirect_call, 0
	.section	.AMDGPU.csdata,"",@progbits
; Kernel info:
; codeLenInByte = 15276
; TotalNumSgprs: 24
; NumVgprs: 188
; ScratchSize: 0
; MemoryBound: 0
; FloatMode: 240
; IeeeMode: 1
; LDSByteSize: 37072 bytes/workgroup (compile time only)
; SGPRBlocks: 0
; VGPRBlocks: 23
; NumSGPRsForWavesPerEU: 24
; NumVGPRsForWavesPerEU: 188
; Occupancy: 5
; WaveLimiterHint : 1
; COMPUTE_PGM_RSRC2:SCRATCH_EN: 0
; COMPUTE_PGM_RSRC2:USER_SGPR: 6
; COMPUTE_PGM_RSRC2:TRAP_HANDLER: 0
; COMPUTE_PGM_RSRC2:TGID_X_EN: 1
; COMPUTE_PGM_RSRC2:TGID_Y_EN: 1
; COMPUTE_PGM_RSRC2:TGID_Z_EN: 0
; COMPUTE_PGM_RSRC2:TIDIG_COMP_CNT: 1
	.section	.text._ZL9moe_vec_qIfLi32ELi4E10block_q4_0Li2EXadL_ZL17vec_dot_q4_0_q8_1PKvPK10block_q8_1RKiEEEvS2_S2_PT_PS6_iiii,"axG",@progbits,_ZL9moe_vec_qIfLi32ELi4E10block_q4_0Li2EXadL_ZL17vec_dot_q4_0_q8_1PKvPK10block_q8_1RKiEEEvS2_S2_PT_PS6_iiii,comdat
	.globl	_ZL9moe_vec_qIfLi32ELi4E10block_q4_0Li2EXadL_ZL17vec_dot_q4_0_q8_1PKvPK10block_q8_1RKiEEEvS2_S2_PT_PS6_iiii ; -- Begin function _ZL9moe_vec_qIfLi32ELi4E10block_q4_0Li2EXadL_ZL17vec_dot_q4_0_q8_1PKvPK10block_q8_1RKiEEEvS2_S2_PT_PS6_iiii
	.p2align	8
	.type	_ZL9moe_vec_qIfLi32ELi4E10block_q4_0Li2EXadL_ZL17vec_dot_q4_0_q8_1PKvPK10block_q8_1RKiEEEvS2_S2_PT_PS6_iiii,@function
_ZL9moe_vec_qIfLi32ELi4E10block_q4_0Li2EXadL_ZL17vec_dot_q4_0_q8_1PKvPK10block_q8_1RKiEEEvS2_S2_PT_PS6_iiii: ; @_ZL9moe_vec_qIfLi32ELi4E10block_q4_0Li2EXadL_ZL17vec_dot_q4_0_q8_1PKvPK10block_q8_1RKiEEEvS2_S2_PT_PS6_iiii
; %bb.0:
	s_mov_b32 s8, s7
	s_clause 0x1
	s_load_dword s7, s[4:5], 0x3c
	s_load_dwordx4 s[0:3], s[4:5], 0x20
	s_waitcnt lgkmcnt(0)
	s_lshr_b32 s7, s7, 16
	v_mad_u64_u32 v[1:2], null, s6, s7, v[1:2]
	s_mov_b32 s6, exec_lo
	v_cmpx_gt_u32_e64 s2, v1
	s_cbranch_execz .LBB237_7
; %bb.1:
	v_cvt_f32_u32_e32 v2, s0
	s_load_dwordx2 s[10:11], s[4:5], 0x10
	s_ashr_i32 s6, s1, 31
	s_mov_b32 s12, exec_lo
	s_lshr_b32 s6, s6, 27
	v_rcp_iflag_f32_e32 v2, v2
	s_add_i32 s1, s1, s6
	s_ashr_i32 s13, s1, 5
	v_mul_f32_e32 v3, 0x4f7ffffe, v2
	v_lshrrev_b32_e32 v2, 1, v0
	v_cvt_u32_f32_e32 v3, v3
	v_readfirstlane_b32 s1, v3
	v_mov_b32_e32 v3, 0
	v_cmpx_gt_u32_e64 s13, v2
	s_cbranch_execz .LBB237_5
; %bb.2:
	s_load_dwordx2 s[6:7], s[4:5], 0x18
	s_sub_i32 s9, 0, s0
	v_lshlrev_b32_e32 v3, 3, v0
	s_mul_i32 s14, s9, s1
	s_mov_b32 s9, 0
	s_mul_hi_u32 s16, s1, s14
	s_lshl_b64 s[14:15], s[8:9], 2
	s_add_i32 s1, s1, s16
	s_mul_i32 s16, s13, s2
	s_mul_hi_u32 s1, s8, s1
	v_mul_lo_u32 v4, v1, s13
	v_and_b32_e32 v5, 8, v3
	v_mov_b32_e32 v3, 0
	s_waitcnt lgkmcnt(0)
	s_add_u32 s6, s6, s14
	s_addc_u32 s7, s7, s15
	s_mul_i32 s15, s1, s0
	s_load_dword s14, s[6:7], 0x0
	s_load_dwordx4 s[4:7], s[4:5], 0x0
	s_sub_i32 s17, s8, s15
	s_add_i32 s18, s1, 1
	s_sub_i32 s19, s17, s0
	s_cmp_ge_u32 s17, s0
	s_mov_b32 s15, s9
	s_cselect_b32 s1, s18, s1
	s_cselect_b32 s17, s19, s17
	s_add_i32 s18, s1, 1
	s_cmp_ge_u32 s17, s0
	s_cselect_b32 s0, s18, s1
	s_waitcnt lgkmcnt(0)
	s_mul_i32 s1, s16, s14
	s_mul_i32 s14, s0, s3
	;; [unrolled: 1-line block ×3, first 2 shown]
	s_mul_hi_i32 s1, s1, 18
	s_add_u32 s0, s4, s0
	s_addc_u32 s1, s5, s1
	s_lshl_b64 s[4:5], s[14:15], 2
	s_add_u32 s4, s6, s4
	s_addc_u32 s5, s7, s5
.LBB237_3:                              ; =>This Inner Loop Header: Depth=1
	v_add_nc_u32_e32 v6, v4, v2
	v_mad_i64_i32 v[8:9], null, v2, 36, s[4:5]
	v_add_nc_u32_e32 v2, 16, v2
	v_mad_i64_i32 v[6:7], null, v6, 18, s[0:1]
	v_add_co_u32 v10, vcc_lo, v6, v5
	v_add_co_ci_u32_e64 v11, null, 0, v7, vcc_lo
	v_add_co_u32 v12, vcc_lo, v8, v5
	v_add_co_ci_u32_e64 v13, null, 0, v9, vcc_lo
	global_load_dwordx2 v[10:11], v[10:11], off offset:2
	s_clause 0x2
	global_load_dwordx2 v[14:15], v[12:13], off offset:4
	global_load_dwordx2 v[12:13], v[12:13], off offset:20
	global_load_dword v8, v[8:9], off
	global_load_ushort v6, v[6:7], off
	v_mov_b32_e32 v7, 0
	v_cmp_le_u32_e32 vcc_lo, s13, v2
	s_or_b32 s9, vcc_lo, s9
	s_waitcnt vmcnt(4)
	v_lshrrev_b32_e32 v9, 4, v10
	v_and_b32_e32 v10, 0xf0f0f0f, v10
	v_and_b32_e32 v9, 0xf0f0f0f, v9
	s_waitcnt vmcnt(3)
	v_dot4c_i32_i8 v7, v10, v14
	v_and_b32_e32 v10, 0xf0f0f0f, v11
	v_lshrrev_b32_e32 v11, 4, v11
	s_waitcnt vmcnt(2)
	v_dot4c_i32_i8 v7, v9, v12
	v_and_b32_e32 v9, 0xf0f0f0f, v11
	v_dot4c_i32_i8 v7, v10, v15
	s_waitcnt vmcnt(1)
	v_cvt_f32_f16_sdwa v10, v8 dst_sel:DWORD dst_unused:UNUSED_PAD src0_sel:WORD_1
	v_dot4c_i32_i8 v7, v9, v13
	v_mul_f32_e32 v9, -4.0, v10
	v_cvt_f32_i32_e32 v7, v7
	v_fma_mix_f32 v7, v7, v8, v9 op_sel_hi:[0,1,0]
	s_waitcnt vmcnt(0)
	v_fma_mix_f32 v3, v7, v6, v3 op_sel_hi:[0,1,0]
	s_andn2_b32 exec_lo, exec_lo, s9
	s_cbranch_execnz .LBB237_3
; %bb.4:
	s_or_b32 exec_lo, exec_lo, s9
.LBB237_5:
	s_or_b32 exec_lo, exec_lo, s12
	v_mbcnt_lo_u32_b32 v2, -1, 0
	v_xor_b32_e32 v4, 16, v2
	v_xor_b32_e32 v5, 8, v2
	v_cmp_gt_i32_e32 vcc_lo, 32, v4
	v_cndmask_b32_e32 v4, v2, v4, vcc_lo
	v_cmp_gt_i32_e32 vcc_lo, 32, v5
	v_lshlrev_b32_e32 v4, 2, v4
	v_cndmask_b32_e32 v5, v2, v5, vcc_lo
	ds_bpermute_b32 v4, v4, v3
	v_lshlrev_b32_e32 v5, 2, v5
	s_waitcnt lgkmcnt(0)
	v_add_f32_e32 v3, v3, v4
	ds_bpermute_b32 v4, v5, v3
	v_xor_b32_e32 v5, 4, v2
	v_cmp_gt_i32_e32 vcc_lo, 32, v5
	v_cndmask_b32_e32 v5, v2, v5, vcc_lo
	v_lshlrev_b32_e32 v5, 2, v5
	s_waitcnt lgkmcnt(0)
	v_add_f32_e32 v3, v3, v4
	ds_bpermute_b32 v4, v5, v3
	v_xor_b32_e32 v5, 2, v2
	v_cmp_gt_i32_e32 vcc_lo, 32, v5
	v_cndmask_b32_e32 v5, v2, v5, vcc_lo
	;; [unrolled: 7-line block ×3, first 2 shown]
	v_cmp_eq_u32_e32 vcc_lo, 0, v0
	s_waitcnt lgkmcnt(0)
	v_add_f32_e32 v2, v3, v4
	v_lshlrev_b32_e32 v3, 2, v5
	ds_bpermute_b32 v3, v3, v2
	s_and_b32 exec_lo, exec_lo, vcc_lo
	s_cbranch_execz .LBB237_7
; %bb.6:
	v_mad_u64_u32 v[0:1], null, s2, s8, v[1:2]
	v_mov_b32_e32 v1, 0
	s_waitcnt lgkmcnt(0)
	v_add_f32_e32 v2, v2, v3
	v_lshlrev_b64 v[0:1], 2, v[0:1]
	v_add_co_u32 v0, vcc_lo, s10, v0
	v_add_co_ci_u32_e64 v1, null, s11, v1, vcc_lo
	global_store_dword v[0:1], v2, off
.LBB237_7:
	s_endpgm
	.section	.rodata,"a",@progbits
	.p2align	6, 0x0
	.amdhsa_kernel _ZL9moe_vec_qIfLi32ELi4E10block_q4_0Li2EXadL_ZL17vec_dot_q4_0_q8_1PKvPK10block_q8_1RKiEEEvS2_S2_PT_PS6_iiii
		.amdhsa_group_segment_fixed_size 0
		.amdhsa_private_segment_fixed_size 0
		.amdhsa_kernarg_size 304
		.amdhsa_user_sgpr_count 6
		.amdhsa_user_sgpr_private_segment_buffer 1
		.amdhsa_user_sgpr_dispatch_ptr 0
		.amdhsa_user_sgpr_queue_ptr 0
		.amdhsa_user_sgpr_kernarg_segment_ptr 1
		.amdhsa_user_sgpr_dispatch_id 0
		.amdhsa_user_sgpr_flat_scratch_init 0
		.amdhsa_user_sgpr_private_segment_size 0
		.amdhsa_wavefront_size32 1
		.amdhsa_uses_dynamic_stack 0
		.amdhsa_system_sgpr_private_segment_wavefront_offset 0
		.amdhsa_system_sgpr_workgroup_id_x 1
		.amdhsa_system_sgpr_workgroup_id_y 0
		.amdhsa_system_sgpr_workgroup_id_z 1
		.amdhsa_system_sgpr_workgroup_info 0
		.amdhsa_system_vgpr_workitem_id 1
		.amdhsa_next_free_vgpr 16
		.amdhsa_next_free_sgpr 20
		.amdhsa_reserve_vcc 1
		.amdhsa_reserve_flat_scratch 0
		.amdhsa_float_round_mode_32 0
		.amdhsa_float_round_mode_16_64 0
		.amdhsa_float_denorm_mode_32 3
		.amdhsa_float_denorm_mode_16_64 3
		.amdhsa_dx10_clamp 1
		.amdhsa_ieee_mode 1
		.amdhsa_fp16_overflow 0
		.amdhsa_workgroup_processor_mode 1
		.amdhsa_memory_ordered 1
		.amdhsa_forward_progress 1
		.amdhsa_shared_vgpr_count 0
		.amdhsa_exception_fp_ieee_invalid_op 0
		.amdhsa_exception_fp_denorm_src 0
		.amdhsa_exception_fp_ieee_div_zero 0
		.amdhsa_exception_fp_ieee_overflow 0
		.amdhsa_exception_fp_ieee_underflow 0
		.amdhsa_exception_fp_ieee_inexact 0
		.amdhsa_exception_int_div_zero 0
	.end_amdhsa_kernel
	.section	.text._ZL9moe_vec_qIfLi32ELi4E10block_q4_0Li2EXadL_ZL17vec_dot_q4_0_q8_1PKvPK10block_q8_1RKiEEEvS2_S2_PT_PS6_iiii,"axG",@progbits,_ZL9moe_vec_qIfLi32ELi4E10block_q4_0Li2EXadL_ZL17vec_dot_q4_0_q8_1PKvPK10block_q8_1RKiEEEvS2_S2_PT_PS6_iiii,comdat
.Lfunc_end237:
	.size	_ZL9moe_vec_qIfLi32ELi4E10block_q4_0Li2EXadL_ZL17vec_dot_q4_0_q8_1PKvPK10block_q8_1RKiEEEvS2_S2_PT_PS6_iiii, .Lfunc_end237-_ZL9moe_vec_qIfLi32ELi4E10block_q4_0Li2EXadL_ZL17vec_dot_q4_0_q8_1PKvPK10block_q8_1RKiEEEvS2_S2_PT_PS6_iiii
                                        ; -- End function
	.set _ZL9moe_vec_qIfLi32ELi4E10block_q4_0Li2EXadL_ZL17vec_dot_q4_0_q8_1PKvPK10block_q8_1RKiEEEvS2_S2_PT_PS6_iiii.num_vgpr, 16
	.set _ZL9moe_vec_qIfLi32ELi4E10block_q4_0Li2EXadL_ZL17vec_dot_q4_0_q8_1PKvPK10block_q8_1RKiEEEvS2_S2_PT_PS6_iiii.num_agpr, 0
	.set _ZL9moe_vec_qIfLi32ELi4E10block_q4_0Li2EXadL_ZL17vec_dot_q4_0_q8_1PKvPK10block_q8_1RKiEEEvS2_S2_PT_PS6_iiii.numbered_sgpr, 20
	.set _ZL9moe_vec_qIfLi32ELi4E10block_q4_0Li2EXadL_ZL17vec_dot_q4_0_q8_1PKvPK10block_q8_1RKiEEEvS2_S2_PT_PS6_iiii.num_named_barrier, 0
	.set _ZL9moe_vec_qIfLi32ELi4E10block_q4_0Li2EXadL_ZL17vec_dot_q4_0_q8_1PKvPK10block_q8_1RKiEEEvS2_S2_PT_PS6_iiii.private_seg_size, 0
	.set _ZL9moe_vec_qIfLi32ELi4E10block_q4_0Li2EXadL_ZL17vec_dot_q4_0_q8_1PKvPK10block_q8_1RKiEEEvS2_S2_PT_PS6_iiii.uses_vcc, 1
	.set _ZL9moe_vec_qIfLi32ELi4E10block_q4_0Li2EXadL_ZL17vec_dot_q4_0_q8_1PKvPK10block_q8_1RKiEEEvS2_S2_PT_PS6_iiii.uses_flat_scratch, 0
	.set _ZL9moe_vec_qIfLi32ELi4E10block_q4_0Li2EXadL_ZL17vec_dot_q4_0_q8_1PKvPK10block_q8_1RKiEEEvS2_S2_PT_PS6_iiii.has_dyn_sized_stack, 0
	.set _ZL9moe_vec_qIfLi32ELi4E10block_q4_0Li2EXadL_ZL17vec_dot_q4_0_q8_1PKvPK10block_q8_1RKiEEEvS2_S2_PT_PS6_iiii.has_recursion, 0
	.set _ZL9moe_vec_qIfLi32ELi4E10block_q4_0Li2EXadL_ZL17vec_dot_q4_0_q8_1PKvPK10block_q8_1RKiEEEvS2_S2_PT_PS6_iiii.has_indirect_call, 0
	.section	.AMDGPU.csdata,"",@progbits
; Kernel info:
; codeLenInByte = 764
; TotalNumSgprs: 22
; NumVgprs: 16
; ScratchSize: 0
; MemoryBound: 0
; FloatMode: 240
; IeeeMode: 1
; LDSByteSize: 0 bytes/workgroup (compile time only)
; SGPRBlocks: 0
; VGPRBlocks: 1
; NumSGPRsForWavesPerEU: 22
; NumVGPRsForWavesPerEU: 16
; Occupancy: 16
; WaveLimiterHint : 1
; COMPUTE_PGM_RSRC2:SCRATCH_EN: 0
; COMPUTE_PGM_RSRC2:USER_SGPR: 6
; COMPUTE_PGM_RSRC2:TRAP_HANDLER: 0
; COMPUTE_PGM_RSRC2:TGID_X_EN: 1
; COMPUTE_PGM_RSRC2:TGID_Y_EN: 0
; COMPUTE_PGM_RSRC2:TGID_Z_EN: 1
; COMPUTE_PGM_RSRC2:TIDIG_COMP_CNT: 1
	.section	.text._ZL9moe_vec_qIfLi32ELi4E10block_q4_1Li2EXadL_ZL17vec_dot_q4_1_q8_1PKvPK10block_q8_1RKiEEEvS2_S2_PT_PS6_iiii,"axG",@progbits,_ZL9moe_vec_qIfLi32ELi4E10block_q4_1Li2EXadL_ZL17vec_dot_q4_1_q8_1PKvPK10block_q8_1RKiEEEvS2_S2_PT_PS6_iiii,comdat
	.globl	_ZL9moe_vec_qIfLi32ELi4E10block_q4_1Li2EXadL_ZL17vec_dot_q4_1_q8_1PKvPK10block_q8_1RKiEEEvS2_S2_PT_PS6_iiii ; -- Begin function _ZL9moe_vec_qIfLi32ELi4E10block_q4_1Li2EXadL_ZL17vec_dot_q4_1_q8_1PKvPK10block_q8_1RKiEEEvS2_S2_PT_PS6_iiii
	.p2align	8
	.type	_ZL9moe_vec_qIfLi32ELi4E10block_q4_1Li2EXadL_ZL17vec_dot_q4_1_q8_1PKvPK10block_q8_1RKiEEEvS2_S2_PT_PS6_iiii,@function
_ZL9moe_vec_qIfLi32ELi4E10block_q4_1Li2EXadL_ZL17vec_dot_q4_1_q8_1PKvPK10block_q8_1RKiEEEvS2_S2_PT_PS6_iiii: ; @_ZL9moe_vec_qIfLi32ELi4E10block_q4_1Li2EXadL_ZL17vec_dot_q4_1_q8_1PKvPK10block_q8_1RKiEEEvS2_S2_PT_PS6_iiii
; %bb.0:
	s_mov_b32 s8, s7
	s_clause 0x1
	s_load_dword s7, s[4:5], 0x3c
	s_load_dwordx4 s[0:3], s[4:5], 0x20
	s_waitcnt lgkmcnt(0)
	s_lshr_b32 s7, s7, 16
	v_mad_u64_u32 v[1:2], null, s6, s7, v[1:2]
	s_mov_b32 s6, exec_lo
	v_cmpx_gt_u32_e64 s2, v1
	s_cbranch_execz .LBB238_7
; %bb.1:
	v_cvt_f32_u32_e32 v2, s0
	s_load_dwordx2 s[10:11], s[4:5], 0x10
	s_ashr_i32 s6, s1, 31
	s_mov_b32 s12, exec_lo
	s_lshr_b32 s6, s6, 27
	v_rcp_iflag_f32_e32 v2, v2
	s_add_i32 s1, s1, s6
	s_ashr_i32 s13, s1, 5
	v_mul_f32_e32 v3, 0x4f7ffffe, v2
	v_lshrrev_b32_e32 v2, 1, v0
	v_cvt_u32_f32_e32 v3, v3
	v_readfirstlane_b32 s1, v3
	v_mov_b32_e32 v3, 0
	v_cmpx_gt_u32_e64 s13, v2
	s_cbranch_execz .LBB238_5
; %bb.2:
	s_load_dwordx2 s[6:7], s[4:5], 0x18
	s_sub_i32 s9, 0, s0
	v_lshlrev_b32_e32 v3, 3, v0
	s_mul_i32 s14, s9, s1
	s_mov_b32 s9, 0
	s_mul_hi_u32 s16, s1, s14
	s_lshl_b64 s[14:15], s[8:9], 2
	s_add_i32 s1, s1, s16
	s_mul_i32 s16, s13, s2
	s_mul_hi_u32 s1, s8, s1
	v_mul_lo_u32 v4, v1, s13
	v_and_b32_e32 v5, 8, v3
	v_mov_b32_e32 v3, 0
	s_waitcnt lgkmcnt(0)
	s_add_u32 s6, s6, s14
	s_addc_u32 s7, s7, s15
	s_mul_i32 s15, s1, s0
	s_load_dword s14, s[6:7], 0x0
	s_load_dwordx4 s[4:7], s[4:5], 0x0
	s_sub_i32 s17, s8, s15
	s_add_i32 s18, s1, 1
	s_sub_i32 s19, s17, s0
	s_cmp_ge_u32 s17, s0
	s_mov_b32 s15, s9
	s_cselect_b32 s1, s18, s1
	s_cselect_b32 s17, s19, s17
	s_add_i32 s18, s1, 1
	s_cmp_ge_u32 s17, s0
	s_cselect_b32 s0, s18, s1
	s_waitcnt lgkmcnt(0)
	s_mul_i32 s1, s16, s14
	s_mul_i32 s14, s0, s3
	;; [unrolled: 1-line block ×3, first 2 shown]
	s_mul_hi_i32 s1, s1, 20
	s_add_u32 s0, s4, s0
	s_addc_u32 s1, s5, s1
	s_lshl_b64 s[4:5], s[14:15], 2
	s_add_u32 s4, s6, s4
	s_addc_u32 s5, s7, s5
.LBB238_3:                              ; =>This Inner Loop Header: Depth=1
	v_add_nc_u32_e32 v6, v4, v2
	v_mad_i64_i32 v[8:9], null, v2, 36, s[4:5]
	v_add_nc_u32_e32 v2, 16, v2
	v_mad_i64_i32 v[6:7], null, v6, 20, s[0:1]
	v_add_co_u32 v10, vcc_lo, v6, v5
	v_add_co_ci_u32_e64 v11, null, 0, v7, vcc_lo
	v_add_co_u32 v12, vcc_lo, v8, v5
	v_add_co_ci_u32_e64 v13, null, 0, v9, vcc_lo
	global_load_dwordx2 v[10:11], v[10:11], off offset:4
	s_clause 0x2
	global_load_dwordx2 v[14:15], v[12:13], off offset:4
	global_load_dwordx2 v[12:13], v[12:13], off offset:20
	global_load_dword v8, v[8:9], off
	global_load_dword v6, v[6:7], off
	v_mov_b32_e32 v7, 0
	v_cmp_le_u32_e32 vcc_lo, s13, v2
	s_or_b32 s9, vcc_lo, s9
	s_waitcnt vmcnt(4)
	v_lshrrev_b32_e32 v9, 4, v10
	v_and_b32_e32 v10, 0xf0f0f0f, v10
	s_waitcnt vmcnt(0)
	v_pk_mul_f16 v6, v6, v8
	v_and_b32_e32 v9, 0xf0f0f0f, v9
	v_dot4c_i32_i8 v7, v10, v14
	v_and_b32_e32 v10, 0xf0f0f0f, v11
	v_lshrrev_b32_e32 v11, 4, v11
	v_dot4c_i32_i8 v7, v9, v12
	v_cvt_f32_f16_sdwa v9, v6 dst_sel:DWORD dst_unused:UNUSED_PAD src0_sel:WORD_1
	v_and_b32_e32 v8, 0xf0f0f0f, v11
	v_dot4c_i32_i8 v7, v10, v15
	v_dot4c_i32_i8 v7, v8, v13
	v_mul_f32_e32 v8, 0.5, v9
	v_cvt_f32_i32_e32 v7, v7
	v_fma_mix_f32 v6, v7, v6, v8 op_sel_hi:[0,1,0]
	v_add_f32_e32 v3, v3, v6
	s_andn2_b32 exec_lo, exec_lo, s9
	s_cbranch_execnz .LBB238_3
; %bb.4:
	s_or_b32 exec_lo, exec_lo, s9
.LBB238_5:
	s_or_b32 exec_lo, exec_lo, s12
	v_mbcnt_lo_u32_b32 v2, -1, 0
	v_xor_b32_e32 v4, 16, v2
	v_xor_b32_e32 v5, 8, v2
	v_cmp_gt_i32_e32 vcc_lo, 32, v4
	v_cndmask_b32_e32 v4, v2, v4, vcc_lo
	v_cmp_gt_i32_e32 vcc_lo, 32, v5
	v_lshlrev_b32_e32 v4, 2, v4
	v_cndmask_b32_e32 v5, v2, v5, vcc_lo
	ds_bpermute_b32 v4, v4, v3
	v_lshlrev_b32_e32 v5, 2, v5
	s_waitcnt lgkmcnt(0)
	v_add_f32_e32 v3, v3, v4
	ds_bpermute_b32 v4, v5, v3
	v_xor_b32_e32 v5, 4, v2
	v_cmp_gt_i32_e32 vcc_lo, 32, v5
	v_cndmask_b32_e32 v5, v2, v5, vcc_lo
	v_lshlrev_b32_e32 v5, 2, v5
	s_waitcnt lgkmcnt(0)
	v_add_f32_e32 v3, v3, v4
	ds_bpermute_b32 v4, v5, v3
	v_xor_b32_e32 v5, 2, v2
	v_cmp_gt_i32_e32 vcc_lo, 32, v5
	v_cndmask_b32_e32 v5, v2, v5, vcc_lo
	;; [unrolled: 7-line block ×3, first 2 shown]
	v_cmp_eq_u32_e32 vcc_lo, 0, v0
	s_waitcnt lgkmcnt(0)
	v_add_f32_e32 v2, v3, v4
	v_lshlrev_b32_e32 v3, 2, v5
	ds_bpermute_b32 v3, v3, v2
	s_and_b32 exec_lo, exec_lo, vcc_lo
	s_cbranch_execz .LBB238_7
; %bb.6:
	v_mad_u64_u32 v[0:1], null, s2, s8, v[1:2]
	v_mov_b32_e32 v1, 0
	s_waitcnt lgkmcnt(0)
	v_add_f32_e32 v2, v2, v3
	v_lshlrev_b64 v[0:1], 2, v[0:1]
	v_add_co_u32 v0, vcc_lo, s10, v0
	v_add_co_ci_u32_e64 v1, null, s11, v1, vcc_lo
	global_store_dword v[0:1], v2, off
.LBB238_7:
	s_endpgm
	.section	.rodata,"a",@progbits
	.p2align	6, 0x0
	.amdhsa_kernel _ZL9moe_vec_qIfLi32ELi4E10block_q4_1Li2EXadL_ZL17vec_dot_q4_1_q8_1PKvPK10block_q8_1RKiEEEvS2_S2_PT_PS6_iiii
		.amdhsa_group_segment_fixed_size 0
		.amdhsa_private_segment_fixed_size 0
		.amdhsa_kernarg_size 304
		.amdhsa_user_sgpr_count 6
		.amdhsa_user_sgpr_private_segment_buffer 1
		.amdhsa_user_sgpr_dispatch_ptr 0
		.amdhsa_user_sgpr_queue_ptr 0
		.amdhsa_user_sgpr_kernarg_segment_ptr 1
		.amdhsa_user_sgpr_dispatch_id 0
		.amdhsa_user_sgpr_flat_scratch_init 0
		.amdhsa_user_sgpr_private_segment_size 0
		.amdhsa_wavefront_size32 1
		.amdhsa_uses_dynamic_stack 0
		.amdhsa_system_sgpr_private_segment_wavefront_offset 0
		.amdhsa_system_sgpr_workgroup_id_x 1
		.amdhsa_system_sgpr_workgroup_id_y 0
		.amdhsa_system_sgpr_workgroup_id_z 1
		.amdhsa_system_sgpr_workgroup_info 0
		.amdhsa_system_vgpr_workitem_id 1
		.amdhsa_next_free_vgpr 16
		.amdhsa_next_free_sgpr 20
		.amdhsa_reserve_vcc 1
		.amdhsa_reserve_flat_scratch 0
		.amdhsa_float_round_mode_32 0
		.amdhsa_float_round_mode_16_64 0
		.amdhsa_float_denorm_mode_32 3
		.amdhsa_float_denorm_mode_16_64 3
		.amdhsa_dx10_clamp 1
		.amdhsa_ieee_mode 1
		.amdhsa_fp16_overflow 0
		.amdhsa_workgroup_processor_mode 1
		.amdhsa_memory_ordered 1
		.amdhsa_forward_progress 1
		.amdhsa_shared_vgpr_count 0
		.amdhsa_exception_fp_ieee_invalid_op 0
		.amdhsa_exception_fp_denorm_src 0
		.amdhsa_exception_fp_ieee_div_zero 0
		.amdhsa_exception_fp_ieee_overflow 0
		.amdhsa_exception_fp_ieee_underflow 0
		.amdhsa_exception_fp_ieee_inexact 0
		.amdhsa_exception_int_div_zero 0
	.end_amdhsa_kernel
	.section	.text._ZL9moe_vec_qIfLi32ELi4E10block_q4_1Li2EXadL_ZL17vec_dot_q4_1_q8_1PKvPK10block_q8_1RKiEEEvS2_S2_PT_PS6_iiii,"axG",@progbits,_ZL9moe_vec_qIfLi32ELi4E10block_q4_1Li2EXadL_ZL17vec_dot_q4_1_q8_1PKvPK10block_q8_1RKiEEEvS2_S2_PT_PS6_iiii,comdat
.Lfunc_end238:
	.size	_ZL9moe_vec_qIfLi32ELi4E10block_q4_1Li2EXadL_ZL17vec_dot_q4_1_q8_1PKvPK10block_q8_1RKiEEEvS2_S2_PT_PS6_iiii, .Lfunc_end238-_ZL9moe_vec_qIfLi32ELi4E10block_q4_1Li2EXadL_ZL17vec_dot_q4_1_q8_1PKvPK10block_q8_1RKiEEEvS2_S2_PT_PS6_iiii
                                        ; -- End function
	.set _ZL9moe_vec_qIfLi32ELi4E10block_q4_1Li2EXadL_ZL17vec_dot_q4_1_q8_1PKvPK10block_q8_1RKiEEEvS2_S2_PT_PS6_iiii.num_vgpr, 16
	.set _ZL9moe_vec_qIfLi32ELi4E10block_q4_1Li2EXadL_ZL17vec_dot_q4_1_q8_1PKvPK10block_q8_1RKiEEEvS2_S2_PT_PS6_iiii.num_agpr, 0
	.set _ZL9moe_vec_qIfLi32ELi4E10block_q4_1Li2EXadL_ZL17vec_dot_q4_1_q8_1PKvPK10block_q8_1RKiEEEvS2_S2_PT_PS6_iiii.numbered_sgpr, 20
	.set _ZL9moe_vec_qIfLi32ELi4E10block_q4_1Li2EXadL_ZL17vec_dot_q4_1_q8_1PKvPK10block_q8_1RKiEEEvS2_S2_PT_PS6_iiii.num_named_barrier, 0
	.set _ZL9moe_vec_qIfLi32ELi4E10block_q4_1Li2EXadL_ZL17vec_dot_q4_1_q8_1PKvPK10block_q8_1RKiEEEvS2_S2_PT_PS6_iiii.private_seg_size, 0
	.set _ZL9moe_vec_qIfLi32ELi4E10block_q4_1Li2EXadL_ZL17vec_dot_q4_1_q8_1PKvPK10block_q8_1RKiEEEvS2_S2_PT_PS6_iiii.uses_vcc, 1
	.set _ZL9moe_vec_qIfLi32ELi4E10block_q4_1Li2EXadL_ZL17vec_dot_q4_1_q8_1PKvPK10block_q8_1RKiEEEvS2_S2_PT_PS6_iiii.uses_flat_scratch, 0
	.set _ZL9moe_vec_qIfLi32ELi4E10block_q4_1Li2EXadL_ZL17vec_dot_q4_1_q8_1PKvPK10block_q8_1RKiEEEvS2_S2_PT_PS6_iiii.has_dyn_sized_stack, 0
	.set _ZL9moe_vec_qIfLi32ELi4E10block_q4_1Li2EXadL_ZL17vec_dot_q4_1_q8_1PKvPK10block_q8_1RKiEEEvS2_S2_PT_PS6_iiii.has_recursion, 0
	.set _ZL9moe_vec_qIfLi32ELi4E10block_q4_1Li2EXadL_ZL17vec_dot_q4_1_q8_1PKvPK10block_q8_1RKiEEEvS2_S2_PT_PS6_iiii.has_indirect_call, 0
	.section	.AMDGPU.csdata,"",@progbits
; Kernel info:
; codeLenInByte = 756
; TotalNumSgprs: 22
; NumVgprs: 16
; ScratchSize: 0
; MemoryBound: 0
; FloatMode: 240
; IeeeMode: 1
; LDSByteSize: 0 bytes/workgroup (compile time only)
; SGPRBlocks: 0
; VGPRBlocks: 1
; NumSGPRsForWavesPerEU: 22
; NumVGPRsForWavesPerEU: 16
; Occupancy: 16
; WaveLimiterHint : 1
; COMPUTE_PGM_RSRC2:SCRATCH_EN: 0
; COMPUTE_PGM_RSRC2:USER_SGPR: 6
; COMPUTE_PGM_RSRC2:TRAP_HANDLER: 0
; COMPUTE_PGM_RSRC2:TGID_X_EN: 1
; COMPUTE_PGM_RSRC2:TGID_Y_EN: 0
; COMPUTE_PGM_RSRC2:TGID_Z_EN: 1
; COMPUTE_PGM_RSRC2:TIDIG_COMP_CNT: 1
	.section	.text._ZL9moe_vec_qIfLi32ELi4E10block_q5_0Li2EXadL_ZL17vec_dot_q5_0_q8_1PKvPK10block_q8_1RKiEEEvS2_S2_PT_PS6_iiii,"axG",@progbits,_ZL9moe_vec_qIfLi32ELi4E10block_q5_0Li2EXadL_ZL17vec_dot_q5_0_q8_1PKvPK10block_q8_1RKiEEEvS2_S2_PT_PS6_iiii,comdat
	.globl	_ZL9moe_vec_qIfLi32ELi4E10block_q5_0Li2EXadL_ZL17vec_dot_q5_0_q8_1PKvPK10block_q8_1RKiEEEvS2_S2_PT_PS6_iiii ; -- Begin function _ZL9moe_vec_qIfLi32ELi4E10block_q5_0Li2EXadL_ZL17vec_dot_q5_0_q8_1PKvPK10block_q8_1RKiEEEvS2_S2_PT_PS6_iiii
	.p2align	8
	.type	_ZL9moe_vec_qIfLi32ELi4E10block_q5_0Li2EXadL_ZL17vec_dot_q5_0_q8_1PKvPK10block_q8_1RKiEEEvS2_S2_PT_PS6_iiii,@function
_ZL9moe_vec_qIfLi32ELi4E10block_q5_0Li2EXadL_ZL17vec_dot_q5_0_q8_1PKvPK10block_q8_1RKiEEEvS2_S2_PT_PS6_iiii: ; @_ZL9moe_vec_qIfLi32ELi4E10block_q5_0Li2EXadL_ZL17vec_dot_q5_0_q8_1PKvPK10block_q8_1RKiEEEvS2_S2_PT_PS6_iiii
; %bb.0:
	s_mov_b32 s8, s7
	s_clause 0x1
	s_load_dword s7, s[4:5], 0x3c
	s_load_dwordx4 s[0:3], s[4:5], 0x20
	s_waitcnt lgkmcnt(0)
	s_lshr_b32 s7, s7, 16
	v_mad_u64_u32 v[1:2], null, s6, s7, v[1:2]
	s_mov_b32 s6, exec_lo
	v_cmpx_gt_u32_e64 s2, v1
	s_cbranch_execz .LBB239_7
; %bb.1:
	v_cvt_f32_u32_e32 v2, s0
	s_load_dwordx2 s[10:11], s[4:5], 0x10
	s_ashr_i32 s6, s1, 31
	s_mov_b32 s12, exec_lo
	s_lshr_b32 s6, s6, 27
	v_rcp_iflag_f32_e32 v2, v2
	s_add_i32 s1, s1, s6
	s_ashr_i32 s13, s1, 5
	v_mul_f32_e32 v3, 0x4f7ffffe, v2
	v_lshrrev_b32_e32 v2, 1, v0
	v_cvt_u32_f32_e32 v3, v3
	v_readfirstlane_b32 s1, v3
	v_mov_b32_e32 v3, 0
	v_cmpx_gt_u32_e64 s13, v2
	s_cbranch_execz .LBB239_5
; %bb.2:
	s_load_dwordx2 s[6:7], s[4:5], 0x18
	s_sub_i32 s9, 0, s0
	v_lshlrev_b32_e32 v5, 3, v0
	s_mul_i32 s14, s9, s1
	s_mov_b32 s9, 0
	s_mul_hi_u32 s16, s1, s14
	s_lshl_b64 s[14:15], s[8:9], 2
	s_add_i32 s1, s1, s16
	s_mul_i32 s16, s13, s2
	s_mul_hi_u32 s1, s8, s1
	v_and_b32_e32 v5, 8, v5
	v_mul_lo_u32 v4, v1, s13
	v_mov_b32_e32 v3, 0
	v_or_b32_e32 v6, 4, v5
	s_waitcnt lgkmcnt(0)
	s_add_u32 s6, s6, s14
	s_addc_u32 s7, s7, s15
	s_mul_i32 s15, s1, s0
	s_load_dword s14, s[6:7], 0x0
	s_load_dwordx4 s[4:7], s[4:5], 0x0
	s_sub_i32 s17, s8, s15
	s_add_i32 s18, s1, 1
	s_sub_i32 s19, s17, s0
	s_cmp_ge_u32 s17, s0
	s_mov_b32 s15, s9
	s_cselect_b32 s1, s18, s1
	s_cselect_b32 s17, s19, s17
	s_add_i32 s18, s1, 1
	s_cmp_ge_u32 s17, s0
	s_cselect_b32 s0, s18, s1
	s_waitcnt lgkmcnt(0)
	s_mul_i32 s1, s16, s14
	s_mul_i32 s14, s0, s3
	;; [unrolled: 1-line block ×3, first 2 shown]
	s_mul_hi_i32 s1, s1, 22
	s_add_u32 s0, s4, s0
	s_addc_u32 s1, s5, s1
	s_lshl_b64 s[4:5], s[14:15], 2
	s_add_u32 s4, s6, s4
	s_addc_u32 s5, s7, s5
.LBB239_3:                              ; =>This Inner Loop Header: Depth=1
	v_add_nc_u32_e32 v7, v4, v2
	v_mad_i64_i32 v[11:12], null, v2, 36, s[4:5]
	v_add_nc_u32_e32 v2, 16, v2
	v_mad_i64_i32 v[7:8], null, v7, 22, s[0:1]
	v_add_co_u32 v9, vcc_lo, v7, v5
	v_add_co_ci_u32_e64 v10, null, 0, v8, vcc_lo
	v_add_co_u32 v13, vcc_lo, v11, v5
	s_clause 0x1
	global_load_dword v17, v[7:8], off offset:2
	global_load_dwordx2 v[9:10], v[9:10], off offset:6
	v_add_co_ci_u32_e64 v14, null, 0, v12, vcc_lo
	s_clause 0x2
	global_load_dwordx2 v[15:16], v[13:14], off offset:4
	global_load_dwordx2 v[13:14], v[13:14], off offset:20
	global_load_dword v11, v[11:12], off
	global_load_ushort v7, v[7:8], off
	v_mov_b32_e32 v8, 0
	v_cmp_le_u32_e32 vcc_lo, s13, v2
	s_or_b32 s9, vcc_lo, s9
	s_waitcnt vmcnt(5)
	v_ashrrev_i32_e32 v12, v5, v17
	v_ashrrev_i32_e32 v17, v6, v17
	s_waitcnt vmcnt(4)
	v_and_b32_e32 v18, 0xf0f0f0f, v9
	v_lshrrev_b32_e32 v9, 4, v9
	v_and_b32_e32 v26, 0xf0f0f0f, v10
	v_lshlrev_b32_e32 v19, 4, v12
	v_lshlrev_b32_e32 v20, 11, v12
	;; [unrolled: 1-line block ×4, first 2 shown]
	v_lshrrev_b32_e32 v23, 12, v12
	v_lshrrev_b32_e32 v24, 5, v12
	v_lshlrev_b32_e32 v25, 2, v12
	v_and_b32_e32 v19, 16, v19
	v_and_b32_e32 v20, 0x1000, v20
	v_lshlrev_b32_e32 v12, 9, v12
	v_lshlrev_b32_e32 v27, 4, v17
	;; [unrolled: 1-line block ×4, first 2 shown]
	v_and_b32_e32 v21, 0x100000, v21
	v_and_b32_e32 v22, 0x10000000, v22
	;; [unrolled: 1-line block ×5, first 2 shown]
	v_or3_b32 v18, v19, v18, v20
	v_lshlrev_b32_e32 v30, 25, v17
	v_lshrrev_b32_e32 v31, 12, v17
	v_lshrrev_b32_e32 v32, 5, v17
	v_lshlrev_b32_e32 v33, 2, v17
	v_and_b32_e32 v9, 0xf0f0f0f, v9
	v_and_b32_e32 v12, 0x10000000, v12
	;; [unrolled: 1-line block ×5, first 2 shown]
	v_or3_b32 v23, v24, v23, v25
	v_or3_b32 v18, v18, v21, v22
	v_lshrrev_b32_e32 v10, 4, v10
	v_lshlrev_b32_e32 v17, 9, v17
	v_and_b32_e32 v20, 0x10000000, v30
	v_and_b32_e32 v29, 16, v31
	;; [unrolled: 1-line block ×4, first 2 shown]
	v_or3_b32 v19, v28, v27, v19
	v_or3_b32 v9, v23, v12, v9
	s_waitcnt vmcnt(3)
	v_dot4c_i32_i8 v8, v18, v15
	v_and_b32_e32 v10, 0xf0f0f0f, v10
	v_and_b32_e32 v12, 0x10000000, v17
	v_or3_b32 v15, v21, v29, v22
	v_or3_b32 v17, v19, v20, v26
	s_waitcnt vmcnt(2)
	v_dot4c_i32_i8 v8, v9, v13
	v_or3_b32 v9, v15, v12, v10
	s_waitcnt vmcnt(1)
	v_cvt_f32_f16_sdwa v10, v11 dst_sel:DWORD dst_unused:UNUSED_PAD src0_sel:WORD_1
	v_dot4c_i32_i8 v8, v17, v16
	v_dot4c_i32_i8 v8, v9, v14
	v_mul_f32_e32 v9, 0xc1000000, v10
	v_cvt_f32_i32_e32 v8, v8
	v_fma_mix_f32 v8, v11, v8, v9 op_sel_hi:[1,0,0]
	s_waitcnt vmcnt(0)
	v_fma_mix_f32 v3, v8, v7, v3 op_sel_hi:[0,1,0]
	s_andn2_b32 exec_lo, exec_lo, s9
	s_cbranch_execnz .LBB239_3
; %bb.4:
	s_or_b32 exec_lo, exec_lo, s9
.LBB239_5:
	s_or_b32 exec_lo, exec_lo, s12
	v_mbcnt_lo_u32_b32 v2, -1, 0
	v_xor_b32_e32 v4, 16, v2
	v_xor_b32_e32 v5, 8, v2
	v_cmp_gt_i32_e32 vcc_lo, 32, v4
	v_cndmask_b32_e32 v4, v2, v4, vcc_lo
	v_cmp_gt_i32_e32 vcc_lo, 32, v5
	v_lshlrev_b32_e32 v4, 2, v4
	v_cndmask_b32_e32 v5, v2, v5, vcc_lo
	ds_bpermute_b32 v4, v4, v3
	v_lshlrev_b32_e32 v5, 2, v5
	s_waitcnt lgkmcnt(0)
	v_add_f32_e32 v3, v3, v4
	ds_bpermute_b32 v4, v5, v3
	v_xor_b32_e32 v5, 4, v2
	v_cmp_gt_i32_e32 vcc_lo, 32, v5
	v_cndmask_b32_e32 v5, v2, v5, vcc_lo
	v_lshlrev_b32_e32 v5, 2, v5
	s_waitcnt lgkmcnt(0)
	v_add_f32_e32 v3, v3, v4
	ds_bpermute_b32 v4, v5, v3
	v_xor_b32_e32 v5, 2, v2
	v_cmp_gt_i32_e32 vcc_lo, 32, v5
	v_cndmask_b32_e32 v5, v2, v5, vcc_lo
	;; [unrolled: 7-line block ×3, first 2 shown]
	v_cmp_eq_u32_e32 vcc_lo, 0, v0
	s_waitcnt lgkmcnt(0)
	v_add_f32_e32 v2, v3, v4
	v_lshlrev_b32_e32 v3, 2, v5
	ds_bpermute_b32 v3, v3, v2
	s_and_b32 exec_lo, exec_lo, vcc_lo
	s_cbranch_execz .LBB239_7
; %bb.6:
	v_mad_u64_u32 v[0:1], null, s2, s8, v[1:2]
	v_mov_b32_e32 v1, 0
	s_waitcnt lgkmcnt(0)
	v_add_f32_e32 v2, v2, v3
	v_lshlrev_b64 v[0:1], 2, v[0:1]
	v_add_co_u32 v0, vcc_lo, s10, v0
	v_add_co_ci_u32_e64 v1, null, s11, v1, vcc_lo
	global_store_dword v[0:1], v2, off
.LBB239_7:
	s_endpgm
	.section	.rodata,"a",@progbits
	.p2align	6, 0x0
	.amdhsa_kernel _ZL9moe_vec_qIfLi32ELi4E10block_q5_0Li2EXadL_ZL17vec_dot_q5_0_q8_1PKvPK10block_q8_1RKiEEEvS2_S2_PT_PS6_iiii
		.amdhsa_group_segment_fixed_size 0
		.amdhsa_private_segment_fixed_size 0
		.amdhsa_kernarg_size 304
		.amdhsa_user_sgpr_count 6
		.amdhsa_user_sgpr_private_segment_buffer 1
		.amdhsa_user_sgpr_dispatch_ptr 0
		.amdhsa_user_sgpr_queue_ptr 0
		.amdhsa_user_sgpr_kernarg_segment_ptr 1
		.amdhsa_user_sgpr_dispatch_id 0
		.amdhsa_user_sgpr_flat_scratch_init 0
		.amdhsa_user_sgpr_private_segment_size 0
		.amdhsa_wavefront_size32 1
		.amdhsa_uses_dynamic_stack 0
		.amdhsa_system_sgpr_private_segment_wavefront_offset 0
		.amdhsa_system_sgpr_workgroup_id_x 1
		.amdhsa_system_sgpr_workgroup_id_y 0
		.amdhsa_system_sgpr_workgroup_id_z 1
		.amdhsa_system_sgpr_workgroup_info 0
		.amdhsa_system_vgpr_workitem_id 1
		.amdhsa_next_free_vgpr 34
		.amdhsa_next_free_sgpr 20
		.amdhsa_reserve_vcc 1
		.amdhsa_reserve_flat_scratch 0
		.amdhsa_float_round_mode_32 0
		.amdhsa_float_round_mode_16_64 0
		.amdhsa_float_denorm_mode_32 3
		.amdhsa_float_denorm_mode_16_64 3
		.amdhsa_dx10_clamp 1
		.amdhsa_ieee_mode 1
		.amdhsa_fp16_overflow 0
		.amdhsa_workgroup_processor_mode 1
		.amdhsa_memory_ordered 1
		.amdhsa_forward_progress 1
		.amdhsa_shared_vgpr_count 0
		.amdhsa_exception_fp_ieee_invalid_op 0
		.amdhsa_exception_fp_denorm_src 0
		.amdhsa_exception_fp_ieee_div_zero 0
		.amdhsa_exception_fp_ieee_overflow 0
		.amdhsa_exception_fp_ieee_underflow 0
		.amdhsa_exception_fp_ieee_inexact 0
		.amdhsa_exception_int_div_zero 0
	.end_amdhsa_kernel
	.section	.text._ZL9moe_vec_qIfLi32ELi4E10block_q5_0Li2EXadL_ZL17vec_dot_q5_0_q8_1PKvPK10block_q8_1RKiEEEvS2_S2_PT_PS6_iiii,"axG",@progbits,_ZL9moe_vec_qIfLi32ELi4E10block_q5_0Li2EXadL_ZL17vec_dot_q5_0_q8_1PKvPK10block_q8_1RKiEEEvS2_S2_PT_PS6_iiii,comdat
.Lfunc_end239:
	.size	_ZL9moe_vec_qIfLi32ELi4E10block_q5_0Li2EXadL_ZL17vec_dot_q5_0_q8_1PKvPK10block_q8_1RKiEEEvS2_S2_PT_PS6_iiii, .Lfunc_end239-_ZL9moe_vec_qIfLi32ELi4E10block_q5_0Li2EXadL_ZL17vec_dot_q5_0_q8_1PKvPK10block_q8_1RKiEEEvS2_S2_PT_PS6_iiii
                                        ; -- End function
	.set _ZL9moe_vec_qIfLi32ELi4E10block_q5_0Li2EXadL_ZL17vec_dot_q5_0_q8_1PKvPK10block_q8_1RKiEEEvS2_S2_PT_PS6_iiii.num_vgpr, 34
	.set _ZL9moe_vec_qIfLi32ELi4E10block_q5_0Li2EXadL_ZL17vec_dot_q5_0_q8_1PKvPK10block_q8_1RKiEEEvS2_S2_PT_PS6_iiii.num_agpr, 0
	.set _ZL9moe_vec_qIfLi32ELi4E10block_q5_0Li2EXadL_ZL17vec_dot_q5_0_q8_1PKvPK10block_q8_1RKiEEEvS2_S2_PT_PS6_iiii.numbered_sgpr, 20
	.set _ZL9moe_vec_qIfLi32ELi4E10block_q5_0Li2EXadL_ZL17vec_dot_q5_0_q8_1PKvPK10block_q8_1RKiEEEvS2_S2_PT_PS6_iiii.num_named_barrier, 0
	.set _ZL9moe_vec_qIfLi32ELi4E10block_q5_0Li2EXadL_ZL17vec_dot_q5_0_q8_1PKvPK10block_q8_1RKiEEEvS2_S2_PT_PS6_iiii.private_seg_size, 0
	.set _ZL9moe_vec_qIfLi32ELi4E10block_q5_0Li2EXadL_ZL17vec_dot_q5_0_q8_1PKvPK10block_q8_1RKiEEEvS2_S2_PT_PS6_iiii.uses_vcc, 1
	.set _ZL9moe_vec_qIfLi32ELi4E10block_q5_0Li2EXadL_ZL17vec_dot_q5_0_q8_1PKvPK10block_q8_1RKiEEEvS2_S2_PT_PS6_iiii.uses_flat_scratch, 0
	.set _ZL9moe_vec_qIfLi32ELi4E10block_q5_0Li2EXadL_ZL17vec_dot_q5_0_q8_1PKvPK10block_q8_1RKiEEEvS2_S2_PT_PS6_iiii.has_dyn_sized_stack, 0
	.set _ZL9moe_vec_qIfLi32ELi4E10block_q5_0Li2EXadL_ZL17vec_dot_q5_0_q8_1PKvPK10block_q8_1RKiEEEvS2_S2_PT_PS6_iiii.has_recursion, 0
	.set _ZL9moe_vec_qIfLi32ELi4E10block_q5_0Li2EXadL_ZL17vec_dot_q5_0_q8_1PKvPK10block_q8_1RKiEEEvS2_S2_PT_PS6_iiii.has_indirect_call, 0
	.section	.AMDGPU.csdata,"",@progbits
; Kernel info:
; codeLenInByte = 1036
; TotalNumSgprs: 22
; NumVgprs: 34
; ScratchSize: 0
; MemoryBound: 0
; FloatMode: 240
; IeeeMode: 1
; LDSByteSize: 0 bytes/workgroup (compile time only)
; SGPRBlocks: 0
; VGPRBlocks: 4
; NumSGPRsForWavesPerEU: 22
; NumVGPRsForWavesPerEU: 34
; Occupancy: 16
; WaveLimiterHint : 1
; COMPUTE_PGM_RSRC2:SCRATCH_EN: 0
; COMPUTE_PGM_RSRC2:USER_SGPR: 6
; COMPUTE_PGM_RSRC2:TRAP_HANDLER: 0
; COMPUTE_PGM_RSRC2:TGID_X_EN: 1
; COMPUTE_PGM_RSRC2:TGID_Y_EN: 0
; COMPUTE_PGM_RSRC2:TGID_Z_EN: 1
; COMPUTE_PGM_RSRC2:TIDIG_COMP_CNT: 1
	.section	.text._ZL9moe_vec_qIfLi32ELi4E10block_q5_1Li2EXadL_ZL17vec_dot_q5_1_q8_1PKvPK10block_q8_1RKiEEEvS2_S2_PT_PS6_iiii,"axG",@progbits,_ZL9moe_vec_qIfLi32ELi4E10block_q5_1Li2EXadL_ZL17vec_dot_q5_1_q8_1PKvPK10block_q8_1RKiEEEvS2_S2_PT_PS6_iiii,comdat
	.globl	_ZL9moe_vec_qIfLi32ELi4E10block_q5_1Li2EXadL_ZL17vec_dot_q5_1_q8_1PKvPK10block_q8_1RKiEEEvS2_S2_PT_PS6_iiii ; -- Begin function _ZL9moe_vec_qIfLi32ELi4E10block_q5_1Li2EXadL_ZL17vec_dot_q5_1_q8_1PKvPK10block_q8_1RKiEEEvS2_S2_PT_PS6_iiii
	.p2align	8
	.type	_ZL9moe_vec_qIfLi32ELi4E10block_q5_1Li2EXadL_ZL17vec_dot_q5_1_q8_1PKvPK10block_q8_1RKiEEEvS2_S2_PT_PS6_iiii,@function
_ZL9moe_vec_qIfLi32ELi4E10block_q5_1Li2EXadL_ZL17vec_dot_q5_1_q8_1PKvPK10block_q8_1RKiEEEvS2_S2_PT_PS6_iiii: ; @_ZL9moe_vec_qIfLi32ELi4E10block_q5_1Li2EXadL_ZL17vec_dot_q5_1_q8_1PKvPK10block_q8_1RKiEEEvS2_S2_PT_PS6_iiii
; %bb.0:
	s_mov_b32 s8, s7
	s_clause 0x1
	s_load_dword s7, s[4:5], 0x3c
	s_load_dwordx4 s[0:3], s[4:5], 0x20
	s_waitcnt lgkmcnt(0)
	s_lshr_b32 s7, s7, 16
	v_mad_u64_u32 v[1:2], null, s6, s7, v[1:2]
	s_mov_b32 s6, exec_lo
	v_cmpx_gt_u32_e64 s2, v1
	s_cbranch_execz .LBB240_7
; %bb.1:
	v_cvt_f32_u32_e32 v2, s0
	s_load_dwordx2 s[10:11], s[4:5], 0x10
	s_ashr_i32 s6, s1, 31
	s_mov_b32 s12, exec_lo
	s_lshr_b32 s6, s6, 27
	v_rcp_iflag_f32_e32 v2, v2
	s_add_i32 s1, s1, s6
	s_ashr_i32 s13, s1, 5
	v_mul_f32_e32 v3, 0x4f7ffffe, v2
	v_lshrrev_b32_e32 v2, 1, v0
	v_cvt_u32_f32_e32 v3, v3
	v_readfirstlane_b32 s1, v3
	v_mov_b32_e32 v3, 0
	v_cmpx_gt_u32_e64 s13, v2
	s_cbranch_execz .LBB240_5
; %bb.2:
	s_load_dwordx2 s[6:7], s[4:5], 0x18
	s_sub_i32 s9, 0, s0
	v_lshlrev_b32_e32 v5, 3, v0
	s_mul_i32 s14, s9, s1
	s_mov_b32 s9, 0
	s_mul_hi_u32 s16, s1, s14
	s_lshl_b64 s[14:15], s[8:9], 2
	s_add_i32 s1, s1, s16
	s_mul_i32 s16, s13, s2
	s_mul_hi_u32 s1, s8, s1
	v_and_b32_e32 v5, 8, v5
	v_mul_lo_u32 v4, v1, s13
	v_mov_b32_e32 v3, 0
	v_or_b32_e32 v6, 4, v5
	s_waitcnt lgkmcnt(0)
	s_add_u32 s6, s6, s14
	s_addc_u32 s7, s7, s15
	s_mul_i32 s15, s1, s0
	s_load_dword s14, s[6:7], 0x0
	s_load_dwordx4 s[4:7], s[4:5], 0x0
	s_sub_i32 s17, s8, s15
	s_add_i32 s18, s1, 1
	s_sub_i32 s19, s17, s0
	s_cmp_ge_u32 s17, s0
	s_mov_b32 s15, s9
	s_cselect_b32 s1, s18, s1
	s_cselect_b32 s17, s19, s17
	s_add_i32 s18, s1, 1
	s_cmp_ge_u32 s17, s0
	s_cselect_b32 s0, s18, s1
	s_waitcnt lgkmcnt(0)
	s_mul_i32 s1, s16, s14
	s_mul_i32 s14, s0, s3
	;; [unrolled: 1-line block ×3, first 2 shown]
	s_mul_hi_i32 s1, s1, 24
	s_add_u32 s0, s4, s0
	s_addc_u32 s1, s5, s1
	s_lshl_b64 s[4:5], s[14:15], 2
	s_add_u32 s4, s6, s4
	s_addc_u32 s5, s7, s5
.LBB240_3:                              ; =>This Inner Loop Header: Depth=1
	v_add_nc_u32_e32 v7, v4, v2
	v_mad_i64_i32 v[11:12], null, v2, 36, s[4:5]
	v_add_nc_u32_e32 v2, 16, v2
	v_mad_i64_i32 v[7:8], null, v7, 24, s[0:1]
	v_add_co_u32 v9, vcc_lo, v7, v5
	v_add_co_ci_u32_e64 v10, null, 0, v8, vcc_lo
	v_add_co_u32 v13, vcc_lo, v11, v5
	s_clause 0x1
	global_load_dwordx2 v[7:8], v[7:8], off
	global_load_dwordx2 v[9:10], v[9:10], off offset:8
	v_add_co_ci_u32_e64 v14, null, 0, v12, vcc_lo
	s_clause 0x2
	global_load_dwordx2 v[15:16], v[13:14], off offset:4
	global_load_dwordx2 v[13:14], v[13:14], off offset:20
	global_load_dword v11, v[11:12], off
	v_mov_b32_e32 v12, 0
	v_cmp_le_u32_e32 vcc_lo, s13, v2
	s_or_b32 s9, vcc_lo, s9
	s_waitcnt vmcnt(4)
	v_ashrrev_i32_e32 v17, v5, v8
	v_ashrrev_i32_e32 v8, v6, v8
	s_waitcnt vmcnt(3)
	v_and_b32_e32 v18, 0xf0f0f0f, v9
	v_lshrrev_b32_e32 v9, 4, v9
	v_and_b32_e32 v26, 0xf0f0f0f, v10
	v_lshlrev_b32_e32 v19, 4, v17
	v_lshlrev_b32_e32 v20, 11, v17
	;; [unrolled: 1-line block ×4, first 2 shown]
	v_lshrrev_b32_e32 v23, 12, v17
	v_lshrrev_b32_e32 v24, 5, v17
	v_lshlrev_b32_e32 v25, 2, v17
	v_and_b32_e32 v19, 16, v19
	v_and_b32_e32 v20, 0x1000, v20
	v_lshlrev_b32_e32 v17, 9, v17
	v_lshlrev_b32_e32 v27, 4, v8
	;; [unrolled: 1-line block ×4, first 2 shown]
	v_and_b32_e32 v21, 0x100000, v21
	v_and_b32_e32 v22, 0x10000000, v22
	;; [unrolled: 1-line block ×5, first 2 shown]
	v_or3_b32 v18, v19, v18, v20
	v_lshlrev_b32_e32 v30, 25, v8
	v_lshrrev_b32_e32 v31, 12, v8
	v_lshrrev_b32_e32 v32, 5, v8
	v_lshlrev_b32_e32 v33, 2, v8
	v_and_b32_e32 v9, 0xf0f0f0f, v9
	v_and_b32_e32 v17, 0x10000000, v17
	;; [unrolled: 1-line block ×5, first 2 shown]
	v_or3_b32 v23, v24, v23, v25
	v_or3_b32 v18, v18, v21, v22
	v_lshrrev_b32_e32 v10, 4, v10
	v_lshlrev_b32_e32 v8, 9, v8
	v_and_b32_e32 v20, 0x10000000, v30
	v_and_b32_e32 v29, 16, v31
	;; [unrolled: 1-line block ×4, first 2 shown]
	v_or3_b32 v19, v28, v27, v19
	v_or3_b32 v9, v23, v17, v9
	s_waitcnt vmcnt(2)
	v_dot4c_i32_i8 v12, v18, v15
	v_and_b32_e32 v10, 0xf0f0f0f, v10
	v_and_b32_e32 v8, 0x10000000, v8
	v_or3_b32 v15, v21, v29, v22
	v_or3_b32 v17, v19, v20, v26
	s_waitcnt vmcnt(1)
	v_dot4c_i32_i8 v12, v9, v13
	s_waitcnt vmcnt(0)
	v_pk_mul_f16 v7, v7, v11
	v_or3_b32 v8, v15, v8, v10
	v_dot4c_i32_i8 v12, v17, v16
	v_cvt_f32_f16_sdwa v9, v7 dst_sel:DWORD dst_unused:UNUSED_PAD src0_sel:WORD_1
	v_dot4c_i32_i8 v12, v8, v14
	v_mul_f32_e32 v8, 0.5, v9
	v_cvt_f32_i32_e32 v9, v12
	v_fma_mix_f32 v7, v9, v7, v8 op_sel_hi:[0,1,0]
	v_add_f32_e32 v3, v3, v7
	s_andn2_b32 exec_lo, exec_lo, s9
	s_cbranch_execnz .LBB240_3
; %bb.4:
	s_or_b32 exec_lo, exec_lo, s9
.LBB240_5:
	s_or_b32 exec_lo, exec_lo, s12
	v_mbcnt_lo_u32_b32 v2, -1, 0
	v_xor_b32_e32 v4, 16, v2
	v_xor_b32_e32 v5, 8, v2
	v_cmp_gt_i32_e32 vcc_lo, 32, v4
	v_cndmask_b32_e32 v4, v2, v4, vcc_lo
	v_cmp_gt_i32_e32 vcc_lo, 32, v5
	v_lshlrev_b32_e32 v4, 2, v4
	v_cndmask_b32_e32 v5, v2, v5, vcc_lo
	ds_bpermute_b32 v4, v4, v3
	v_lshlrev_b32_e32 v5, 2, v5
	s_waitcnt lgkmcnt(0)
	v_add_f32_e32 v3, v3, v4
	ds_bpermute_b32 v4, v5, v3
	v_xor_b32_e32 v5, 4, v2
	v_cmp_gt_i32_e32 vcc_lo, 32, v5
	v_cndmask_b32_e32 v5, v2, v5, vcc_lo
	v_lshlrev_b32_e32 v5, 2, v5
	s_waitcnt lgkmcnt(0)
	v_add_f32_e32 v3, v3, v4
	ds_bpermute_b32 v4, v5, v3
	v_xor_b32_e32 v5, 2, v2
	v_cmp_gt_i32_e32 vcc_lo, 32, v5
	v_cndmask_b32_e32 v5, v2, v5, vcc_lo
	;; [unrolled: 7-line block ×3, first 2 shown]
	v_cmp_eq_u32_e32 vcc_lo, 0, v0
	s_waitcnt lgkmcnt(0)
	v_add_f32_e32 v2, v3, v4
	v_lshlrev_b32_e32 v3, 2, v5
	ds_bpermute_b32 v3, v3, v2
	s_and_b32 exec_lo, exec_lo, vcc_lo
	s_cbranch_execz .LBB240_7
; %bb.6:
	v_mad_u64_u32 v[0:1], null, s2, s8, v[1:2]
	v_mov_b32_e32 v1, 0
	s_waitcnt lgkmcnt(0)
	v_add_f32_e32 v2, v2, v3
	v_lshlrev_b64 v[0:1], 2, v[0:1]
	v_add_co_u32 v0, vcc_lo, s10, v0
	v_add_co_ci_u32_e64 v1, null, s11, v1, vcc_lo
	global_store_dword v[0:1], v2, off
.LBB240_7:
	s_endpgm
	.section	.rodata,"a",@progbits
	.p2align	6, 0x0
	.amdhsa_kernel _ZL9moe_vec_qIfLi32ELi4E10block_q5_1Li2EXadL_ZL17vec_dot_q5_1_q8_1PKvPK10block_q8_1RKiEEEvS2_S2_PT_PS6_iiii
		.amdhsa_group_segment_fixed_size 0
		.amdhsa_private_segment_fixed_size 0
		.amdhsa_kernarg_size 304
		.amdhsa_user_sgpr_count 6
		.amdhsa_user_sgpr_private_segment_buffer 1
		.amdhsa_user_sgpr_dispatch_ptr 0
		.amdhsa_user_sgpr_queue_ptr 0
		.amdhsa_user_sgpr_kernarg_segment_ptr 1
		.amdhsa_user_sgpr_dispatch_id 0
		.amdhsa_user_sgpr_flat_scratch_init 0
		.amdhsa_user_sgpr_private_segment_size 0
		.amdhsa_wavefront_size32 1
		.amdhsa_uses_dynamic_stack 0
		.amdhsa_system_sgpr_private_segment_wavefront_offset 0
		.amdhsa_system_sgpr_workgroup_id_x 1
		.amdhsa_system_sgpr_workgroup_id_y 0
		.amdhsa_system_sgpr_workgroup_id_z 1
		.amdhsa_system_sgpr_workgroup_info 0
		.amdhsa_system_vgpr_workitem_id 1
		.amdhsa_next_free_vgpr 34
		.amdhsa_next_free_sgpr 20
		.amdhsa_reserve_vcc 1
		.amdhsa_reserve_flat_scratch 0
		.amdhsa_float_round_mode_32 0
		.amdhsa_float_round_mode_16_64 0
		.amdhsa_float_denorm_mode_32 3
		.amdhsa_float_denorm_mode_16_64 3
		.amdhsa_dx10_clamp 1
		.amdhsa_ieee_mode 1
		.amdhsa_fp16_overflow 0
		.amdhsa_workgroup_processor_mode 1
		.amdhsa_memory_ordered 1
		.amdhsa_forward_progress 1
		.amdhsa_shared_vgpr_count 0
		.amdhsa_exception_fp_ieee_invalid_op 0
		.amdhsa_exception_fp_denorm_src 0
		.amdhsa_exception_fp_ieee_div_zero 0
		.amdhsa_exception_fp_ieee_overflow 0
		.amdhsa_exception_fp_ieee_underflow 0
		.amdhsa_exception_fp_ieee_inexact 0
		.amdhsa_exception_int_div_zero 0
	.end_amdhsa_kernel
	.section	.text._ZL9moe_vec_qIfLi32ELi4E10block_q5_1Li2EXadL_ZL17vec_dot_q5_1_q8_1PKvPK10block_q8_1RKiEEEvS2_S2_PT_PS6_iiii,"axG",@progbits,_ZL9moe_vec_qIfLi32ELi4E10block_q5_1Li2EXadL_ZL17vec_dot_q5_1_q8_1PKvPK10block_q8_1RKiEEEvS2_S2_PT_PS6_iiii,comdat
.Lfunc_end240:
	.size	_ZL9moe_vec_qIfLi32ELi4E10block_q5_1Li2EXadL_ZL17vec_dot_q5_1_q8_1PKvPK10block_q8_1RKiEEEvS2_S2_PT_PS6_iiii, .Lfunc_end240-_ZL9moe_vec_qIfLi32ELi4E10block_q5_1Li2EXadL_ZL17vec_dot_q5_1_q8_1PKvPK10block_q8_1RKiEEEvS2_S2_PT_PS6_iiii
                                        ; -- End function
	.set _ZL9moe_vec_qIfLi32ELi4E10block_q5_1Li2EXadL_ZL17vec_dot_q5_1_q8_1PKvPK10block_q8_1RKiEEEvS2_S2_PT_PS6_iiii.num_vgpr, 34
	.set _ZL9moe_vec_qIfLi32ELi4E10block_q5_1Li2EXadL_ZL17vec_dot_q5_1_q8_1PKvPK10block_q8_1RKiEEEvS2_S2_PT_PS6_iiii.num_agpr, 0
	.set _ZL9moe_vec_qIfLi32ELi4E10block_q5_1Li2EXadL_ZL17vec_dot_q5_1_q8_1PKvPK10block_q8_1RKiEEEvS2_S2_PT_PS6_iiii.numbered_sgpr, 20
	.set _ZL9moe_vec_qIfLi32ELi4E10block_q5_1Li2EXadL_ZL17vec_dot_q5_1_q8_1PKvPK10block_q8_1RKiEEEvS2_S2_PT_PS6_iiii.num_named_barrier, 0
	.set _ZL9moe_vec_qIfLi32ELi4E10block_q5_1Li2EXadL_ZL17vec_dot_q5_1_q8_1PKvPK10block_q8_1RKiEEEvS2_S2_PT_PS6_iiii.private_seg_size, 0
	.set _ZL9moe_vec_qIfLi32ELi4E10block_q5_1Li2EXadL_ZL17vec_dot_q5_1_q8_1PKvPK10block_q8_1RKiEEEvS2_S2_PT_PS6_iiii.uses_vcc, 1
	.set _ZL9moe_vec_qIfLi32ELi4E10block_q5_1Li2EXadL_ZL17vec_dot_q5_1_q8_1PKvPK10block_q8_1RKiEEEvS2_S2_PT_PS6_iiii.uses_flat_scratch, 0
	.set _ZL9moe_vec_qIfLi32ELi4E10block_q5_1Li2EXadL_ZL17vec_dot_q5_1_q8_1PKvPK10block_q8_1RKiEEEvS2_S2_PT_PS6_iiii.has_dyn_sized_stack, 0
	.set _ZL9moe_vec_qIfLi32ELi4E10block_q5_1Li2EXadL_ZL17vec_dot_q5_1_q8_1PKvPK10block_q8_1RKiEEEvS2_S2_PT_PS6_iiii.has_recursion, 0
	.set _ZL9moe_vec_qIfLi32ELi4E10block_q5_1Li2EXadL_ZL17vec_dot_q5_1_q8_1PKvPK10block_q8_1RKiEEEvS2_S2_PT_PS6_iiii.has_indirect_call, 0
	.section	.AMDGPU.csdata,"",@progbits
; Kernel info:
; codeLenInByte = 1024
; TotalNumSgprs: 22
; NumVgprs: 34
; ScratchSize: 0
; MemoryBound: 0
; FloatMode: 240
; IeeeMode: 1
; LDSByteSize: 0 bytes/workgroup (compile time only)
; SGPRBlocks: 0
; VGPRBlocks: 4
; NumSGPRsForWavesPerEU: 22
; NumVGPRsForWavesPerEU: 34
; Occupancy: 16
; WaveLimiterHint : 1
; COMPUTE_PGM_RSRC2:SCRATCH_EN: 0
; COMPUTE_PGM_RSRC2:USER_SGPR: 6
; COMPUTE_PGM_RSRC2:TRAP_HANDLER: 0
; COMPUTE_PGM_RSRC2:TGID_X_EN: 1
; COMPUTE_PGM_RSRC2:TGID_Y_EN: 0
; COMPUTE_PGM_RSRC2:TGID_Z_EN: 1
; COMPUTE_PGM_RSRC2:TIDIG_COMP_CNT: 1
	.section	.text._ZL9moe_vec_qIfLi32ELi8E10block_q8_0Li2EXadL_ZL17vec_dot_q8_0_q8_1PKvPK10block_q8_1RKiEEEvS2_S2_PT_PS6_iiii,"axG",@progbits,_ZL9moe_vec_qIfLi32ELi8E10block_q8_0Li2EXadL_ZL17vec_dot_q8_0_q8_1PKvPK10block_q8_1RKiEEEvS2_S2_PT_PS6_iiii,comdat
	.globl	_ZL9moe_vec_qIfLi32ELi8E10block_q8_0Li2EXadL_ZL17vec_dot_q8_0_q8_1PKvPK10block_q8_1RKiEEEvS2_S2_PT_PS6_iiii ; -- Begin function _ZL9moe_vec_qIfLi32ELi8E10block_q8_0Li2EXadL_ZL17vec_dot_q8_0_q8_1PKvPK10block_q8_1RKiEEEvS2_S2_PT_PS6_iiii
	.p2align	8
	.type	_ZL9moe_vec_qIfLi32ELi8E10block_q8_0Li2EXadL_ZL17vec_dot_q8_0_q8_1PKvPK10block_q8_1RKiEEEvS2_S2_PT_PS6_iiii,@function
_ZL9moe_vec_qIfLi32ELi8E10block_q8_0Li2EXadL_ZL17vec_dot_q8_0_q8_1PKvPK10block_q8_1RKiEEEvS2_S2_PT_PS6_iiii: ; @_ZL9moe_vec_qIfLi32ELi8E10block_q8_0Li2EXadL_ZL17vec_dot_q8_0_q8_1PKvPK10block_q8_1RKiEEEvS2_S2_PT_PS6_iiii
; %bb.0:
	s_mov_b32 s8, s7
	s_clause 0x1
	s_load_dword s7, s[4:5], 0x3c
	s_load_dwordx4 s[0:3], s[4:5], 0x20
	s_waitcnt lgkmcnt(0)
	s_lshr_b32 s7, s7, 16
	v_mad_u64_u32 v[1:2], null, s6, s7, v[1:2]
	s_mov_b32 s6, exec_lo
	v_cmpx_gt_u32_e64 s2, v1
	s_cbranch_execz .LBB241_7
; %bb.1:
	v_cvt_f32_u32_e32 v2, s0
	s_load_dwordx2 s[10:11], s[4:5], 0x10
	s_ashr_i32 s6, s1, 31
	s_mov_b32 s12, exec_lo
	s_lshr_b32 s6, s6, 27
	v_rcp_iflag_f32_e32 v2, v2
	s_add_i32 s1, s1, s6
	s_ashr_i32 s13, s1, 5
	v_mul_f32_e32 v3, 0x4f7ffffe, v2
	v_lshrrev_b32_e32 v2, 2, v0
	v_cvt_u32_f32_e32 v3, v3
	v_readfirstlane_b32 s1, v3
	v_mov_b32_e32 v3, 0
	v_cmpx_gt_u32_e64 s13, v2
	s_cbranch_execz .LBB241_5
; %bb.2:
	s_load_dwordx2 s[6:7], s[4:5], 0x18
	s_sub_i32 s9, 0, s0
	v_lshlrev_b32_e32 v3, 3, v0
	s_mul_i32 s14, s9, s1
	s_mov_b32 s9, 0
	s_mul_hi_u32 s16, s1, s14
	s_lshl_b64 s[14:15], s[8:9], 2
	s_add_i32 s1, s1, s16
	s_mul_i32 s16, s13, s2
	s_mul_hi_u32 s1, s8, s1
	v_mul_lo_u32 v4, v1, s13
	v_and_b32_e32 v5, 24, v3
	v_mov_b32_e32 v3, 0
	s_waitcnt lgkmcnt(0)
	s_add_u32 s6, s6, s14
	s_addc_u32 s7, s7, s15
	s_mul_i32 s15, s1, s0
	s_load_dword s14, s[6:7], 0x0
	s_load_dwordx4 s[4:7], s[4:5], 0x0
	s_sub_i32 s17, s8, s15
	s_add_i32 s18, s1, 1
	s_sub_i32 s19, s17, s0
	s_cmp_ge_u32 s17, s0
	s_mov_b32 s15, s9
	s_cselect_b32 s1, s18, s1
	s_cselect_b32 s17, s19, s17
	s_add_i32 s18, s1, 1
	s_cmp_ge_u32 s17, s0
	s_cselect_b32 s0, s18, s1
	s_waitcnt lgkmcnt(0)
	s_mul_i32 s1, s16, s14
	s_mul_i32 s14, s0, s3
	;; [unrolled: 1-line block ×3, first 2 shown]
	s_mul_hi_i32 s1, s1, 34
	s_add_u32 s0, s4, s0
	s_addc_u32 s1, s5, s1
	s_lshl_b64 s[4:5], s[14:15], 2
	s_add_u32 s4, s6, s4
	s_addc_u32 s5, s7, s5
	s_inst_prefetch 0x1
	.p2align	6
.LBB241_3:                              ; =>This Inner Loop Header: Depth=1
	v_add_nc_u32_e32 v8, v4, v2
	v_mad_i64_i32 v[6:7], null, v2, 36, s[4:5]
	v_add_nc_u32_e32 v2, 8, v2
	v_mad_i64_i32 v[8:9], null, v8, 34, s[0:1]
	v_add_co_u32 v10, vcc_lo, v6, v5
	v_add_co_ci_u32_e64 v11, null, 0, v7, vcc_lo
	v_add_co_u32 v12, vcc_lo, v8, v5
	v_add_co_ci_u32_e64 v13, null, 0, v9, vcc_lo
	v_cmp_le_u32_e32 vcc_lo, s13, v2
	global_load_dwordx2 v[10:11], v[10:11], off offset:4
	global_load_dwordx2 v[12:13], v[12:13], off offset:2
	global_load_dword v6, v[6:7], off
	global_load_ushort v7, v[8:9], off
	v_mov_b32_e32 v8, 0
	s_or_b32 s9, vcc_lo, s9
	s_waitcnt vmcnt(2)
	v_dot4c_i32_i8 v8, v12, v10
	s_waitcnt vmcnt(1)
	v_cvt_f32_f16_e32 v6, v6
	s_waitcnt vmcnt(0)
	v_cvt_f32_f16_e32 v7, v7
	v_dot4c_i32_i8 v8, v13, v11
	v_mul_f32_e32 v6, v7, v6
	v_cvt_f32_i32_e32 v7, v8
	v_fmac_f32_e32 v3, v6, v7
	s_andn2_b32 exec_lo, exec_lo, s9
	s_cbranch_execnz .LBB241_3
; %bb.4:
	s_inst_prefetch 0x2
	s_or_b32 exec_lo, exec_lo, s9
.LBB241_5:
	s_or_b32 exec_lo, exec_lo, s12
	v_mbcnt_lo_u32_b32 v2, -1, 0
	v_xor_b32_e32 v4, 16, v2
	v_xor_b32_e32 v5, 8, v2
	v_cmp_gt_i32_e32 vcc_lo, 32, v4
	v_cndmask_b32_e32 v4, v2, v4, vcc_lo
	v_cmp_gt_i32_e32 vcc_lo, 32, v5
	v_lshlrev_b32_e32 v4, 2, v4
	v_cndmask_b32_e32 v5, v2, v5, vcc_lo
	ds_bpermute_b32 v4, v4, v3
	v_lshlrev_b32_e32 v5, 2, v5
	s_waitcnt lgkmcnt(0)
	v_add_f32_e32 v3, v3, v4
	ds_bpermute_b32 v4, v5, v3
	v_xor_b32_e32 v5, 4, v2
	v_cmp_gt_i32_e32 vcc_lo, 32, v5
	v_cndmask_b32_e32 v5, v2, v5, vcc_lo
	v_lshlrev_b32_e32 v5, 2, v5
	s_waitcnt lgkmcnt(0)
	v_add_f32_e32 v3, v3, v4
	ds_bpermute_b32 v4, v5, v3
	v_xor_b32_e32 v5, 2, v2
	v_cmp_gt_i32_e32 vcc_lo, 32, v5
	v_cndmask_b32_e32 v5, v2, v5, vcc_lo
	;; [unrolled: 7-line block ×3, first 2 shown]
	v_cmp_eq_u32_e32 vcc_lo, 0, v0
	s_waitcnt lgkmcnt(0)
	v_add_f32_e32 v2, v3, v4
	v_lshlrev_b32_e32 v3, 2, v5
	ds_bpermute_b32 v3, v3, v2
	s_and_b32 exec_lo, exec_lo, vcc_lo
	s_cbranch_execz .LBB241_7
; %bb.6:
	v_mad_u64_u32 v[0:1], null, s2, s8, v[1:2]
	v_mov_b32_e32 v1, 0
	s_waitcnt lgkmcnt(0)
	v_add_f32_e32 v2, v2, v3
	v_lshlrev_b64 v[0:1], 2, v[0:1]
	v_add_co_u32 v0, vcc_lo, s10, v0
	v_add_co_ci_u32_e64 v1, null, s11, v1, vcc_lo
	global_store_dword v[0:1], v2, off
.LBB241_7:
	s_endpgm
	.section	.rodata,"a",@progbits
	.p2align	6, 0x0
	.amdhsa_kernel _ZL9moe_vec_qIfLi32ELi8E10block_q8_0Li2EXadL_ZL17vec_dot_q8_0_q8_1PKvPK10block_q8_1RKiEEEvS2_S2_PT_PS6_iiii
		.amdhsa_group_segment_fixed_size 0
		.amdhsa_private_segment_fixed_size 0
		.amdhsa_kernarg_size 304
		.amdhsa_user_sgpr_count 6
		.amdhsa_user_sgpr_private_segment_buffer 1
		.amdhsa_user_sgpr_dispatch_ptr 0
		.amdhsa_user_sgpr_queue_ptr 0
		.amdhsa_user_sgpr_kernarg_segment_ptr 1
		.amdhsa_user_sgpr_dispatch_id 0
		.amdhsa_user_sgpr_flat_scratch_init 0
		.amdhsa_user_sgpr_private_segment_size 0
		.amdhsa_wavefront_size32 1
		.amdhsa_uses_dynamic_stack 0
		.amdhsa_system_sgpr_private_segment_wavefront_offset 0
		.amdhsa_system_sgpr_workgroup_id_x 1
		.amdhsa_system_sgpr_workgroup_id_y 0
		.amdhsa_system_sgpr_workgroup_id_z 1
		.amdhsa_system_sgpr_workgroup_info 0
		.amdhsa_system_vgpr_workitem_id 1
		.amdhsa_next_free_vgpr 14
		.amdhsa_next_free_sgpr 20
		.amdhsa_reserve_vcc 1
		.amdhsa_reserve_flat_scratch 0
		.amdhsa_float_round_mode_32 0
		.amdhsa_float_round_mode_16_64 0
		.amdhsa_float_denorm_mode_32 3
		.amdhsa_float_denorm_mode_16_64 3
		.amdhsa_dx10_clamp 1
		.amdhsa_ieee_mode 1
		.amdhsa_fp16_overflow 0
		.amdhsa_workgroup_processor_mode 1
		.amdhsa_memory_ordered 1
		.amdhsa_forward_progress 1
		.amdhsa_shared_vgpr_count 0
		.amdhsa_exception_fp_ieee_invalid_op 0
		.amdhsa_exception_fp_denorm_src 0
		.amdhsa_exception_fp_ieee_div_zero 0
		.amdhsa_exception_fp_ieee_overflow 0
		.amdhsa_exception_fp_ieee_underflow 0
		.amdhsa_exception_fp_ieee_inexact 0
		.amdhsa_exception_int_div_zero 0
	.end_amdhsa_kernel
	.section	.text._ZL9moe_vec_qIfLi32ELi8E10block_q8_0Li2EXadL_ZL17vec_dot_q8_0_q8_1PKvPK10block_q8_1RKiEEEvS2_S2_PT_PS6_iiii,"axG",@progbits,_ZL9moe_vec_qIfLi32ELi8E10block_q8_0Li2EXadL_ZL17vec_dot_q8_0_q8_1PKvPK10block_q8_1RKiEEEvS2_S2_PT_PS6_iiii,comdat
.Lfunc_end241:
	.size	_ZL9moe_vec_qIfLi32ELi8E10block_q8_0Li2EXadL_ZL17vec_dot_q8_0_q8_1PKvPK10block_q8_1RKiEEEvS2_S2_PT_PS6_iiii, .Lfunc_end241-_ZL9moe_vec_qIfLi32ELi8E10block_q8_0Li2EXadL_ZL17vec_dot_q8_0_q8_1PKvPK10block_q8_1RKiEEEvS2_S2_PT_PS6_iiii
                                        ; -- End function
	.set _ZL9moe_vec_qIfLi32ELi8E10block_q8_0Li2EXadL_ZL17vec_dot_q8_0_q8_1PKvPK10block_q8_1RKiEEEvS2_S2_PT_PS6_iiii.num_vgpr, 14
	.set _ZL9moe_vec_qIfLi32ELi8E10block_q8_0Li2EXadL_ZL17vec_dot_q8_0_q8_1PKvPK10block_q8_1RKiEEEvS2_S2_PT_PS6_iiii.num_agpr, 0
	.set _ZL9moe_vec_qIfLi32ELi8E10block_q8_0Li2EXadL_ZL17vec_dot_q8_0_q8_1PKvPK10block_q8_1RKiEEEvS2_S2_PT_PS6_iiii.numbered_sgpr, 20
	.set _ZL9moe_vec_qIfLi32ELi8E10block_q8_0Li2EXadL_ZL17vec_dot_q8_0_q8_1PKvPK10block_q8_1RKiEEEvS2_S2_PT_PS6_iiii.num_named_barrier, 0
	.set _ZL9moe_vec_qIfLi32ELi8E10block_q8_0Li2EXadL_ZL17vec_dot_q8_0_q8_1PKvPK10block_q8_1RKiEEEvS2_S2_PT_PS6_iiii.private_seg_size, 0
	.set _ZL9moe_vec_qIfLi32ELi8E10block_q8_0Li2EXadL_ZL17vec_dot_q8_0_q8_1PKvPK10block_q8_1RKiEEEvS2_S2_PT_PS6_iiii.uses_vcc, 1
	.set _ZL9moe_vec_qIfLi32ELi8E10block_q8_0Li2EXadL_ZL17vec_dot_q8_0_q8_1PKvPK10block_q8_1RKiEEEvS2_S2_PT_PS6_iiii.uses_flat_scratch, 0
	.set _ZL9moe_vec_qIfLi32ELi8E10block_q8_0Li2EXadL_ZL17vec_dot_q8_0_q8_1PKvPK10block_q8_1RKiEEEvS2_S2_PT_PS6_iiii.has_dyn_sized_stack, 0
	.set _ZL9moe_vec_qIfLi32ELi8E10block_q8_0Li2EXadL_ZL17vec_dot_q8_0_q8_1PKvPK10block_q8_1RKiEEEvS2_S2_PT_PS6_iiii.has_recursion, 0
	.set _ZL9moe_vec_qIfLi32ELi8E10block_q8_0Li2EXadL_ZL17vec_dot_q8_0_q8_1PKvPK10block_q8_1RKiEEEvS2_S2_PT_PS6_iiii.has_indirect_call, 0
	.section	.AMDGPU.csdata,"",@progbits
; Kernel info:
; codeLenInByte = 708
; TotalNumSgprs: 22
; NumVgprs: 14
; ScratchSize: 0
; MemoryBound: 0
; FloatMode: 240
; IeeeMode: 1
; LDSByteSize: 0 bytes/workgroup (compile time only)
; SGPRBlocks: 0
; VGPRBlocks: 1
; NumSGPRsForWavesPerEU: 22
; NumVGPRsForWavesPerEU: 14
; Occupancy: 16
; WaveLimiterHint : 1
; COMPUTE_PGM_RSRC2:SCRATCH_EN: 0
; COMPUTE_PGM_RSRC2:USER_SGPR: 6
; COMPUTE_PGM_RSRC2:TRAP_HANDLER: 0
; COMPUTE_PGM_RSRC2:TGID_X_EN: 1
; COMPUTE_PGM_RSRC2:TGID_Y_EN: 0
; COMPUTE_PGM_RSRC2:TGID_Z_EN: 1
; COMPUTE_PGM_RSRC2:TIDIG_COMP_CNT: 1
	.section	.text._ZL9moe_vec_qIfLi256ELi16E10block_q2_KLi1EXadL_ZL17vec_dot_q2_K_q8_1PKvPK10block_q8_1RKiEEEvS2_S2_PT_PS6_iiii,"axG",@progbits,_ZL9moe_vec_qIfLi256ELi16E10block_q2_KLi1EXadL_ZL17vec_dot_q2_K_q8_1PKvPK10block_q8_1RKiEEEvS2_S2_PT_PS6_iiii,comdat
	.globl	_ZL9moe_vec_qIfLi256ELi16E10block_q2_KLi1EXadL_ZL17vec_dot_q2_K_q8_1PKvPK10block_q8_1RKiEEEvS2_S2_PT_PS6_iiii ; -- Begin function _ZL9moe_vec_qIfLi256ELi16E10block_q2_KLi1EXadL_ZL17vec_dot_q2_K_q8_1PKvPK10block_q8_1RKiEEEvS2_S2_PT_PS6_iiii
	.p2align	8
	.type	_ZL9moe_vec_qIfLi256ELi16E10block_q2_KLi1EXadL_ZL17vec_dot_q2_K_q8_1PKvPK10block_q8_1RKiEEEvS2_S2_PT_PS6_iiii,@function
_ZL9moe_vec_qIfLi256ELi16E10block_q2_KLi1EXadL_ZL17vec_dot_q2_K_q8_1PKvPK10block_q8_1RKiEEEvS2_S2_PT_PS6_iiii: ; @_ZL9moe_vec_qIfLi256ELi16E10block_q2_KLi1EXadL_ZL17vec_dot_q2_K_q8_1PKvPK10block_q8_1RKiEEEvS2_S2_PT_PS6_iiii
; %bb.0:
	s_mov_b32 s8, s7
	s_clause 0x1
	s_load_dword s7, s[4:5], 0x3c
	s_load_dwordx4 s[0:3], s[4:5], 0x20
	s_waitcnt lgkmcnt(0)
	s_lshr_b32 s7, s7, 16
	v_mad_u64_u32 v[1:2], null, s6, s7, v[1:2]
	s_mov_b32 s6, exec_lo
	v_cmpx_gt_u32_e64 s2, v1
	s_cbranch_execz .LBB242_7
; %bb.1:
	s_load_dwordx2 s[10:11], s[4:5], 0x10
	s_ashr_i32 s6, s1, 31
	v_lshrrev_b32_e32 v8, 4, v0
	s_lshr_b32 s6, s6, 24
	v_mov_b32_e32 v3, 0
	s_add_i32 s1, s1, s6
	s_ashr_i32 s12, s1, 8
	s_mov_b32 s1, exec_lo
	v_cmpx_gt_u32_e64 s12, v8
	s_cbranch_execz .LBB242_5
; %bb.2:
	s_load_dwordx2 s[6:7], s[4:5], 0x18
	s_mov_b32 s9, 0
	v_cvt_f32_u32_e32 v2, s0
	s_lshl_b64 s[14:15], s[8:9], 2
	v_and_b32_e32 v4, 15, v0
	v_lshrrev_b32_e32 v5, 1, v0
	v_mov_b32_e32 v3, 0
	v_rcp_iflag_f32_e32 v2, v2
	v_mul_lo_u32 v9, v1, s12
	v_lshlrev_b32_e32 v11, 2, v4
	v_and_b32_e32 v5, 4, v5
	v_lshlrev_b32_e32 v12, 3, v8
	v_mul_f32_e32 v2, 0x4f7ffffe, v2
	s_waitcnt lgkmcnt(0)
	s_add_u32 s6, s6, s14
	s_addc_u32 s7, s7, s15
	v_cvt_u32_f32_e32 v2, v2
	s_load_dword s13, s[6:7], 0x0
	s_load_dwordx4 s[4:7], s[4:5], 0x0
	s_mul_i32 s14, s12, s2
	s_waitcnt lgkmcnt(0)
	s_mul_i32 s13, s14, s13
	v_readfirstlane_b32 s14, v2
	s_mul_i32 s15, s13, 0x54
	s_mul_hi_i32 s13, s13, 0x54
	s_add_u32 s4, s4, s15
	s_addc_u32 s5, s5, s13
	s_sub_i32 s13, 0, s0
	v_sub_co_u32 v2, vcc_lo, v4, 8
	s_mul_i32 s13, s13, s14
	s_mul_hi_u32 s13, s14, s13
	v_cndmask_b32_e32 v2, v2, v4, vcc_lo
	s_add_i32 s14, s14, s13
	s_mul_hi_u32 s13, s8, s14
	s_mul_i32 s14, s13, s0
	s_add_i32 s15, s13, 1
	s_sub_i32 s14, s8, s14
	v_sub_nc_u32_e32 v6, v4, v2
	s_sub_i32 s16, s14, s0
	s_cmp_ge_u32 s14, s0
	v_cmp_lt_u32_e32 vcc_lo, 3, v2
	s_cselect_b32 s13, s15, s13
	s_cselect_b32 s14, s16, s14
	s_add_i32 s16, s13, 1
	s_cmp_ge_u32 s14, s0
	s_mov_b32 s15, s9
	s_cselect_b32 s0, s16, s13
	v_add_co_ci_u32_e64 v10, null, 0, v6, vcc_lo
	s_mul_i32 s14, s0, s3
	v_lshlrev_b64 v[6:7], 2, v[2:3]
	s_lshl_b64 s[14:15], s[14:15], 2
	v_ashrrev_i32_e32 v2, 31, v10
	s_add_u32 s6, s6, s14
	s_addc_u32 s7, s7, s15
	v_mad_u64_u32 v[4:5], null, v5, 36, s[6:7]
.LBB242_3:                              ; =>This Inner Loop Header: Depth=1
	v_add_nc_u32_e32 v15, v9, v8
	v_mad_i64_i32 v[13:14], null, v12, 36, v[4:5]
	v_mov_b32_e32 v29, 0
	v_mov_b32_e32 v30, 0
	v_mad_i64_i32 v[15:16], null, 0x54, v15, s[4:5]
	v_mov_b32_e32 v31, 0
	v_mov_b32_e32 v33, 0
	v_add_co_u32 v17, vcc_lo, v13, v6
	v_add_co_ci_u32_e64 v18, null, v14, v7, vcc_lo
	v_add_co_u32 v19, vcc_lo, v15, v11
	v_add_co_ci_u32_e64 v20, null, 0, v16, vcc_lo
	;; [unrolled: 2-line block ×3, first 2 shown]
	s_clause 0x3
	global_load_dword v23, v[13:14], off
	global_load_dword v24, v[17:18], off offset:4
	global_load_dword v25, v[17:18], off offset:40
	;; [unrolled: 1-line block ×3, first 2 shown]
	s_clause 0x4
	global_load_dword v19, v[19:20], off offset:16
	global_load_ubyte v20, v[21:22], off
	global_load_ubyte v27, v[21:22], off offset:2
	global_load_ubyte v28, v[21:22], off offset:4
	;; [unrolled: 1-line block ×3, first 2 shown]
	s_clause 0x3
	global_load_dword v17, v[17:18], off offset:112
	global_load_dword v18, v[13:14], off offset:36
	global_load_dword v22, v[13:14], off offset:72
	global_load_dword v13, v[13:14], off offset:108
	global_load_dword v14, v[15:16], off offset:80
	v_mov_b32_e32 v15, 0
	v_mov_b32_e32 v16, 0
	;; [unrolled: 1-line block ×4, first 2 shown]
	v_add_nc_u32_e32 v8, 2, v8
	v_add_nc_u32_e32 v12, 16, v12
	v_cmp_le_u32_e32 vcc_lo, s12, v8
	s_or_b32 s9, vcc_lo, s9
	s_waitcnt vmcnt(9)
	v_and_b32_e32 v35, 0x3030303, v19
	s_waitcnt vmcnt(8)
	v_and_b32_e32 v36, 15, v20
	v_lshrrev_b32_e32 v20, 4, v20
	v_lshrrev_b32_e32 v37, 2, v19
	s_waitcnt vmcnt(7)
	v_and_b32_e32 v38, 15, v27
	v_lshrrev_b32_e32 v27, 4, v27
	s_waitcnt vmcnt(5)
	v_and_b32_e32 v41, 15, v21
	v_mul_lo_u32 v20, 0x1010101, v20
	v_lshrrev_b32_e32 v21, 4, v21
	v_lshrrev_b32_e32 v39, 4, v19
	v_and_b32_e32 v40, 15, v28
	v_lshrrev_b32_e32 v28, 4, v28
	v_lshrrev_b32_e32 v19, 6, v19
	v_dot4c_i32_i8 v15, v35, v24
	v_and_b32_e32 v35, 0x3030303, v37
	v_mul_lo_u32 v27, 0x1010101, v27
	v_mul_lo_u32 v21, 0x1010101, v21
	v_dot4c_i32_i8 v16, v20, v24
	v_and_b32_e32 v37, 0x3030303, v39
	v_mul_lo_u32 v28, 0x1010101, v28
	v_and_b32_e32 v19, 0x3030303, v19
	v_mul_lo_u32 v15, v36, v15
	v_dot4c_i32_i8 v29, v35, v25
	v_dot4c_i32_i8 v30, v27, v25
	v_cvt_f32_i32_e32 v16, v16
	v_dot4c_i32_i8 v31, v37, v26
	s_waitcnt vmcnt(4)
	v_dot4c_i32_i8 v33, v19, v17
	v_dot4c_i32_i8 v34, v21, v17
	v_mul_lo_u32 v17, v38, v29
	v_dot4c_i32_i8 v32, v28, v26
	v_cvt_f32_i32_e32 v15, v15
	v_cvt_f32_i32_e32 v20, v30
	v_fma_mix_f32 v16, v23, v16, 0 op_sel_hi:[1,0,0]
	v_mul_lo_u32 v19, v40, v31
	v_cvt_f32_i32_e32 v21, v32
	v_fma_mix_f32 v15, v23, v15, 0 op_sel_hi:[1,0,0]
	v_cvt_f32_i32_e32 v17, v17
	s_waitcnt vmcnt(3)
	v_fma_mix_f32 v16, v18, v20, v16 op_sel_hi:[1,0,0]
	v_mul_lo_u32 v20, v41, v33
	v_cvt_f32_i32_e32 v23, v34
	v_cvt_f32_i32_e32 v19, v19
	v_fma_mix_f32 v15, v18, v17, v15 op_sel_hi:[1,0,0]
	s_waitcnt vmcnt(2)
	v_fma_mix_f32 v16, v22, v21, v16 op_sel_hi:[1,0,0]
	s_waitcnt vmcnt(0)
	v_cvt_f32_f16_sdwa v17, v14 dst_sel:DWORD dst_unused:UNUSED_PAD src0_sel:WORD_1
	v_cvt_f32_i32_e32 v18, v20
	v_fma_mix_f32 v15, v22, v19, v15 op_sel_hi:[1,0,0]
	v_fma_mix_f32 v16, v13, v23, v16 op_sel_hi:[1,0,0]
	;; [unrolled: 1-line block ×3, first 2 shown]
	v_mul_f32_e32 v15, v16, v17
	v_fma_mix_f32 v13, v13, v14, -v15 op_sel_hi:[0,1,0]
	v_add_f32_e32 v3, v3, v13
	s_andn2_b32 exec_lo, exec_lo, s9
	s_cbranch_execnz .LBB242_3
; %bb.4:
	s_or_b32 exec_lo, exec_lo, s9
.LBB242_5:
	s_or_b32 exec_lo, exec_lo, s1
	v_mbcnt_lo_u32_b32 v2, -1, 0
	v_xor_b32_e32 v4, 16, v2
	v_xor_b32_e32 v5, 8, v2
	v_cmp_gt_i32_e32 vcc_lo, 32, v4
	v_cndmask_b32_e32 v4, v2, v4, vcc_lo
	v_cmp_gt_i32_e32 vcc_lo, 32, v5
	v_lshlrev_b32_e32 v4, 2, v4
	v_cndmask_b32_e32 v5, v2, v5, vcc_lo
	ds_bpermute_b32 v4, v4, v3
	v_lshlrev_b32_e32 v5, 2, v5
	s_waitcnt lgkmcnt(0)
	v_add_f32_e32 v3, v3, v4
	ds_bpermute_b32 v4, v5, v3
	v_xor_b32_e32 v5, 4, v2
	v_cmp_gt_i32_e32 vcc_lo, 32, v5
	v_cndmask_b32_e32 v5, v2, v5, vcc_lo
	v_lshlrev_b32_e32 v5, 2, v5
	s_waitcnt lgkmcnt(0)
	v_add_f32_e32 v3, v3, v4
	ds_bpermute_b32 v4, v5, v3
	v_xor_b32_e32 v5, 2, v2
	v_cmp_gt_i32_e32 vcc_lo, 32, v5
	v_cndmask_b32_e32 v5, v2, v5, vcc_lo
	;; [unrolled: 7-line block ×3, first 2 shown]
	v_cmp_eq_u32_e32 vcc_lo, 0, v0
	s_waitcnt lgkmcnt(0)
	v_add_f32_e32 v2, v3, v4
	v_lshlrev_b32_e32 v3, 2, v5
	ds_bpermute_b32 v3, v3, v2
	s_and_b32 exec_lo, exec_lo, vcc_lo
	s_cbranch_execz .LBB242_7
; %bb.6:
	v_mad_u64_u32 v[0:1], null, s2, s8, v[1:2]
	v_mov_b32_e32 v1, 0
	s_waitcnt lgkmcnt(0)
	v_add_f32_e32 v2, v2, v3
	v_lshlrev_b64 v[0:1], 2, v[0:1]
	v_add_co_u32 v0, vcc_lo, s10, v0
	v_add_co_ci_u32_e64 v1, null, s11, v1, vcc_lo
	global_store_dword v[0:1], v2, off
.LBB242_7:
	s_endpgm
	.section	.rodata,"a",@progbits
	.p2align	6, 0x0
	.amdhsa_kernel _ZL9moe_vec_qIfLi256ELi16E10block_q2_KLi1EXadL_ZL17vec_dot_q2_K_q8_1PKvPK10block_q8_1RKiEEEvS2_S2_PT_PS6_iiii
		.amdhsa_group_segment_fixed_size 0
		.amdhsa_private_segment_fixed_size 0
		.amdhsa_kernarg_size 304
		.amdhsa_user_sgpr_count 6
		.amdhsa_user_sgpr_private_segment_buffer 1
		.amdhsa_user_sgpr_dispatch_ptr 0
		.amdhsa_user_sgpr_queue_ptr 0
		.amdhsa_user_sgpr_kernarg_segment_ptr 1
		.amdhsa_user_sgpr_dispatch_id 0
		.amdhsa_user_sgpr_flat_scratch_init 0
		.amdhsa_user_sgpr_private_segment_size 0
		.amdhsa_wavefront_size32 1
		.amdhsa_uses_dynamic_stack 0
		.amdhsa_system_sgpr_private_segment_wavefront_offset 0
		.amdhsa_system_sgpr_workgroup_id_x 1
		.amdhsa_system_sgpr_workgroup_id_y 0
		.amdhsa_system_sgpr_workgroup_id_z 1
		.amdhsa_system_sgpr_workgroup_info 0
		.amdhsa_system_vgpr_workitem_id 1
		.amdhsa_next_free_vgpr 42
		.amdhsa_next_free_sgpr 17
		.amdhsa_reserve_vcc 1
		.amdhsa_reserve_flat_scratch 0
		.amdhsa_float_round_mode_32 0
		.amdhsa_float_round_mode_16_64 0
		.amdhsa_float_denorm_mode_32 3
		.amdhsa_float_denorm_mode_16_64 3
		.amdhsa_dx10_clamp 1
		.amdhsa_ieee_mode 1
		.amdhsa_fp16_overflow 0
		.amdhsa_workgroup_processor_mode 1
		.amdhsa_memory_ordered 1
		.amdhsa_forward_progress 1
		.amdhsa_shared_vgpr_count 0
		.amdhsa_exception_fp_ieee_invalid_op 0
		.amdhsa_exception_fp_denorm_src 0
		.amdhsa_exception_fp_ieee_div_zero 0
		.amdhsa_exception_fp_ieee_overflow 0
		.amdhsa_exception_fp_ieee_underflow 0
		.amdhsa_exception_fp_ieee_inexact 0
		.amdhsa_exception_int_div_zero 0
	.end_amdhsa_kernel
	.section	.text._ZL9moe_vec_qIfLi256ELi16E10block_q2_KLi1EXadL_ZL17vec_dot_q2_K_q8_1PKvPK10block_q8_1RKiEEEvS2_S2_PT_PS6_iiii,"axG",@progbits,_ZL9moe_vec_qIfLi256ELi16E10block_q2_KLi1EXadL_ZL17vec_dot_q2_K_q8_1PKvPK10block_q8_1RKiEEEvS2_S2_PT_PS6_iiii,comdat
.Lfunc_end242:
	.size	_ZL9moe_vec_qIfLi256ELi16E10block_q2_KLi1EXadL_ZL17vec_dot_q2_K_q8_1PKvPK10block_q8_1RKiEEEvS2_S2_PT_PS6_iiii, .Lfunc_end242-_ZL9moe_vec_qIfLi256ELi16E10block_q2_KLi1EXadL_ZL17vec_dot_q2_K_q8_1PKvPK10block_q8_1RKiEEEvS2_S2_PT_PS6_iiii
                                        ; -- End function
	.set _ZL9moe_vec_qIfLi256ELi16E10block_q2_KLi1EXadL_ZL17vec_dot_q2_K_q8_1PKvPK10block_q8_1RKiEEEvS2_S2_PT_PS6_iiii.num_vgpr, 42
	.set _ZL9moe_vec_qIfLi256ELi16E10block_q2_KLi1EXadL_ZL17vec_dot_q2_K_q8_1PKvPK10block_q8_1RKiEEEvS2_S2_PT_PS6_iiii.num_agpr, 0
	.set _ZL9moe_vec_qIfLi256ELi16E10block_q2_KLi1EXadL_ZL17vec_dot_q2_K_q8_1PKvPK10block_q8_1RKiEEEvS2_S2_PT_PS6_iiii.numbered_sgpr, 17
	.set _ZL9moe_vec_qIfLi256ELi16E10block_q2_KLi1EXadL_ZL17vec_dot_q2_K_q8_1PKvPK10block_q8_1RKiEEEvS2_S2_PT_PS6_iiii.num_named_barrier, 0
	.set _ZL9moe_vec_qIfLi256ELi16E10block_q2_KLi1EXadL_ZL17vec_dot_q2_K_q8_1PKvPK10block_q8_1RKiEEEvS2_S2_PT_PS6_iiii.private_seg_size, 0
	.set _ZL9moe_vec_qIfLi256ELi16E10block_q2_KLi1EXadL_ZL17vec_dot_q2_K_q8_1PKvPK10block_q8_1RKiEEEvS2_S2_PT_PS6_iiii.uses_vcc, 1
	.set _ZL9moe_vec_qIfLi256ELi16E10block_q2_KLi1EXadL_ZL17vec_dot_q2_K_q8_1PKvPK10block_q8_1RKiEEEvS2_S2_PT_PS6_iiii.uses_flat_scratch, 0
	.set _ZL9moe_vec_qIfLi256ELi16E10block_q2_KLi1EXadL_ZL17vec_dot_q2_K_q8_1PKvPK10block_q8_1RKiEEEvS2_S2_PT_PS6_iiii.has_dyn_sized_stack, 0
	.set _ZL9moe_vec_qIfLi256ELi16E10block_q2_KLi1EXadL_ZL17vec_dot_q2_K_q8_1PKvPK10block_q8_1RKiEEEvS2_S2_PT_PS6_iiii.has_recursion, 0
	.set _ZL9moe_vec_qIfLi256ELi16E10block_q2_KLi1EXadL_ZL17vec_dot_q2_K_q8_1PKvPK10block_q8_1RKiEEEvS2_S2_PT_PS6_iiii.has_indirect_call, 0
	.section	.AMDGPU.csdata,"",@progbits
; Kernel info:
; codeLenInByte = 1196
; TotalNumSgprs: 19
; NumVgprs: 42
; ScratchSize: 0
; MemoryBound: 0
; FloatMode: 240
; IeeeMode: 1
; LDSByteSize: 0 bytes/workgroup (compile time only)
; SGPRBlocks: 0
; VGPRBlocks: 5
; NumSGPRsForWavesPerEU: 19
; NumVGPRsForWavesPerEU: 42
; Occupancy: 16
; WaveLimiterHint : 1
; COMPUTE_PGM_RSRC2:SCRATCH_EN: 0
; COMPUTE_PGM_RSRC2:USER_SGPR: 6
; COMPUTE_PGM_RSRC2:TRAP_HANDLER: 0
; COMPUTE_PGM_RSRC2:TGID_X_EN: 1
; COMPUTE_PGM_RSRC2:TGID_Y_EN: 0
; COMPUTE_PGM_RSRC2:TGID_Z_EN: 1
; COMPUTE_PGM_RSRC2:TIDIG_COMP_CNT: 1
	.section	.text._ZL9moe_vec_qIfLi256ELi16E10block_q3_KLi1EXadL_ZL17vec_dot_q3_K_q8_1PKvPK10block_q8_1RKiEEEvS2_S2_PT_PS6_iiii,"axG",@progbits,_ZL9moe_vec_qIfLi256ELi16E10block_q3_KLi1EXadL_ZL17vec_dot_q3_K_q8_1PKvPK10block_q8_1RKiEEEvS2_S2_PT_PS6_iiii,comdat
	.globl	_ZL9moe_vec_qIfLi256ELi16E10block_q3_KLi1EXadL_ZL17vec_dot_q3_K_q8_1PKvPK10block_q8_1RKiEEEvS2_S2_PT_PS6_iiii ; -- Begin function _ZL9moe_vec_qIfLi256ELi16E10block_q3_KLi1EXadL_ZL17vec_dot_q3_K_q8_1PKvPK10block_q8_1RKiEEEvS2_S2_PT_PS6_iiii
	.p2align	8
	.type	_ZL9moe_vec_qIfLi256ELi16E10block_q3_KLi1EXadL_ZL17vec_dot_q3_K_q8_1PKvPK10block_q8_1RKiEEEvS2_S2_PT_PS6_iiii,@function
_ZL9moe_vec_qIfLi256ELi16E10block_q3_KLi1EXadL_ZL17vec_dot_q3_K_q8_1PKvPK10block_q8_1RKiEEEvS2_S2_PT_PS6_iiii: ; @_ZL9moe_vec_qIfLi256ELi16E10block_q3_KLi1EXadL_ZL17vec_dot_q3_K_q8_1PKvPK10block_q8_1RKiEEEvS2_S2_PT_PS6_iiii
; %bb.0:
	s_mov_b32 s8, s7
	s_clause 0x1
	s_load_dword s7, s[4:5], 0x3c
	s_load_dwordx4 s[0:3], s[4:5], 0x20
	s_waitcnt lgkmcnt(0)
	s_lshr_b32 s7, s7, 16
	v_mad_u64_u32 v[1:2], null, s6, s7, v[1:2]
	s_mov_b32 s6, exec_lo
	v_cmpx_gt_u32_e64 s2, v1
	s_cbranch_execz .LBB243_7
; %bb.1:
	s_load_dwordx2 s[10:11], s[4:5], 0x10
	s_ashr_i32 s6, s1, 31
	v_lshrrev_b32_e32 v10, 4, v0
	s_lshr_b32 s6, s6, 24
	v_mov_b32_e32 v3, 0
	s_add_i32 s1, s1, s6
	s_mov_b32 s12, exec_lo
	s_ashr_i32 s13, s1, 8
	v_cmpx_gt_u32_e64 s13, v10
	s_cbranch_execz .LBB243_5
; %bb.2:
	v_and_b32_e32 v4, 15, v0
	v_cvt_f32_u32_e32 v5, s0
	s_load_dwordx2 s[14:15], s[4:5], 0x18
	v_lshrrev_b32_e32 v7, 1, v0
	v_mov_b32_e32 v3, 0
	v_sub_co_u32 v2, vcc_lo, v4, 8
	v_rcp_iflag_f32_e32 v5, v5
	v_and_b32_e32 v11, 4, v7
	v_lshlrev_b32_e32 v12, 2, v4
	v_cndmask_b32_e32 v2, v2, v4, vcc_lo
	s_mov_b32 s9, 0
	s_load_dwordx4 s[4:7], s[4:5], 0x0
	s_lshl_b64 s[16:17], s[8:9], 2
	v_mov_b32_e32 v32, 1
	v_sub_nc_u32_e32 v6, v4, v2
	v_cmp_lt_u32_e32 vcc_lo, 3, v2
	v_mul_f32_e32 v7, 0x4f7ffffe, v5
	v_lshlrev_b64 v[4:5], 2, v[2:3]
	v_mov_b32_e32 v9, 2
	s_mul_i32 s18, s13, s2
	v_add_co_ci_u32_e64 v8, null, 0, v6, vcc_lo
	v_cvt_u32_f32_e32 v2, v7
	s_waitcnt lgkmcnt(0)
	s_add_u32 s14, s14, s16
	s_addc_u32 s15, s15, s17
	v_bfe_i32 v6, v8, 0, 8
	v_add_nc_u16 v18, v8, 2
	v_add_nc_u16 v25, v8, 4
	s_load_dword s14, s[14:15], 0x0
	v_readfirstlane_b32 s15, v2
	v_lshrrev_b16 v6, 7, v6
	v_bfe_i32 v13, v18, 0, 8
	v_bfe_i32 v15, v25, 0, 8
	s_mov_b32 s1, s9
	v_lshlrev_b32_e32 v34, 3, v10
	v_and_b32_e32 v6, 0xff, v6
	v_lshrrev_b16 v7, 7, v13
	v_lshrrev_b16 v13, 5, v6
	;; [unrolled: 1-line block ×3, first 2 shown]
	v_and_b32_e32 v14, 0xff, v7
	v_add_nc_u16 v2, v8, v13
	v_add_nc_u16 v6, v8, v6
	v_lshrrev_b16 v7, 5, v14
	v_lshrrev_b16 v21, 6, v14
	s_waitcnt lgkmcnt(0)
	s_mul_i32 s14, s18, s14
	v_bfe_i32 v13, v2, 0, 8
	v_bfe_i32 v16, v6, 0, 8
	v_add_nc_u16 v17, v18, v7
	v_and_b32_e32 v2, 0xf8, v2
	v_and_b32_e32 v6, 0xfc, v6
	v_add_nc_u16 v21, v18, v21
	v_ashrrev_i16 v16, 2, v16
	v_bfe_i32 v20, v17, 0, 8
	v_sub_nc_u16 v2, v8, v2
	v_sub_nc_u16 v19, v8, v6
	v_add_nc_u16 v8, v8, 6
	v_lshlrev_b32_sdwa v14, v32, sext(v16) dst_sel:DWORD dst_unused:UNUSED_PAD src0_sel:DWORD src1_sel:WORD_0
	v_lshrrev_b16 v16, 7, v15
	v_lshrrev_b16 v20, 3, v20
	v_bfe_i32 v15, v19, 0, 8
	v_bfe_i32 v19, v21, 0, 8
	v_and_b32_e32 v21, 0xfc, v21
	v_and_b32_e32 v22, 0xff, v16
	v_lshlrev_b32_sdwa v16, v9, v20 dst_sel:DWORD dst_unused:UNUSED_PAD src0_sel:DWORD src1_sel:BYTE_0
	v_bfe_i32 v23, v8, 0, 8
	s_mul_i32 s16, s14, 0x6e
	s_mul_hi_i32 s14, s14, 0x6e
	v_lshrrev_b16 v20, 5, v22
	s_add_u32 s4, s4, s16
	s_addc_u32 s5, s5, s14
	s_sub_i32 s14, 0, s0
	v_lshrrev_b16 v22, 6, v22
	v_add_nc_u16 v24, v25, v20
	v_sub_nc_u16 v20, v18, v21
	v_lshrrev_b16 v21, 7, v23
	s_mul_i32 s14, s14, s15
	v_add_nc_u16 v27, v25, v22
	s_mul_hi_u32 s14, s15, s14
	v_and_b32_e32 v17, 0xf8, v17
	v_and_b32_e32 v26, 0xff, v21
	s_add_i32 s15, s15, s14
	v_bfe_i32 v29, v27, 0, 8
	s_mul_hi_u32 s14, s8, s15
	v_bfe_i32 v23, v24, 0, 8
	v_lshrrev_b16 v28, 5, v26
	v_lshrrev_b16 v26, 6, v26
	s_mul_i32 s15, s14, s0
	s_add_i32 s16, s14, 1
	s_sub_i32 s15, s8, s15
	v_add_nc_u16 v28, v8, v28
	s_sub_i32 s17, s15, s0
	v_add_nc_u16 v26, v8, v26
	s_cmp_ge_u32 s15, s0
	v_and_b32_e32 v24, 0xf8, v24
	s_cselect_b32 s14, s16, s14
	s_cselect_b32 s15, s17, s15
	s_add_i32 s16, s14, 1
	v_and_b32_e32 v27, 0xfc, v27
	v_lshrrev_b16 v29, 2, v29
	v_and_b32_e32 v30, 0xf8, v28
	v_and_b32_e32 v31, 0xfc, v26
	s_cmp_ge_u32 s15, s0
	v_sub_nc_u16 v17, v18, v17
	s_cselect_b32 s0, s16, s14
	v_lshrrev_b16 v23, 3, v23
	s_mul_i32 s0, s0, s3
	v_sub_nc_u16 v24, v25, v24
	v_sub_nc_u16 v27, v25, v27
	v_lshlrev_b32_sdwa v25, v32, v29 dst_sel:DWORD dst_unused:UNUSED_PAD src0_sel:DWORD src1_sel:BYTE_0
	v_bfe_i32 v28, v28, 0, 8
	v_sub_nc_u16 v29, v8, v30
	v_bfe_i32 v30, v26, 0, 8
	v_sub_nc_u16 v8, v8, v31
	v_lshrrev_b16 v7, 3, v13
	s_lshl_b64 s[0:1], s[0:1], 2
	v_bfe_i32 v17, v17, 0, 8
	s_add_u32 s0, s6, s0
	s_addc_u32 s1, s7, s1
	v_ashrrev_i16 v19, 2, v19
	v_bfe_i32 v20, v20, 0, 8
	v_lshlrev_b32_sdwa v22, v9, v23 dst_sel:DWORD dst_unused:UNUSED_PAD src0_sel:DWORD src1_sel:BYTE_0
	v_bfe_i32 v23, v24, 0, 8
	v_bfe_i32 v26, v27, 0, 8
	v_lshrrev_b16 v31, 3, v28
	v_bfe_i32 v27, v29, 0, 8
	v_lshrrev_b16 v33, 2, v30
	v_bfe_i32 v28, v8, 0, 8
	v_lshlrev_b32_sdwa v13, v9, v7 dst_sel:DWORD dst_unused:UNUSED_PAD src0_sel:DWORD src1_sel:BYTE_0
	v_mad_u64_u32 v[6:7], null, v11, 36, s[0:1]
	v_bfe_i32 v2, v2, 0, 8
	v_ashrrev_i32_e32 v18, 31, v17
	v_lshlrev_b32_sdwa v19, v32, sext(v19) dst_sel:DWORD dst_unused:UNUSED_PAD src0_sel:DWORD src1_sel:WORD_0
	v_ashrrev_i32_e32 v21, 31, v20
	v_ashrrev_i32_e32 v24, 31, v23
	;; [unrolled: 1-line block ×3, first 2 shown]
	v_lshlrev_b32_sdwa v30, v9, v31 dst_sel:DWORD dst_unused:UNUSED_PAD src0_sel:DWORD src1_sel:BYTE_0
	v_ashrrev_i32_e32 v31, 31, v27
	v_lshlrev_b32_sdwa v32, v32, v33 dst_sel:DWORD dst_unused:UNUSED_PAD src0_sel:DWORD src1_sel:BYTE_0
	v_ashrrev_i32_e32 v33, 31, v28
.LBB243_3:                              ; =>This Inner Loop Header: Depth=1
	v_mul_lo_u32 v35, v1, s13
	v_ashrrev_i32_e32 v42, 31, v2
	v_ashrrev_i32_e32 v44, 31, v15
	v_mad_i64_i32 v[8:9], null, v34, 36, v[6:7]
	v_add_nc_u32_e32 v34, 16, v34
	v_add_nc_u32_e32 v35, v35, v10
	;; [unrolled: 1-line block ×3, first 2 shown]
	v_mad_i64_i32 v[35:36], null, 0x6e, v35, s[4:5]
	v_add_co_u32 v37, vcc_lo, v35, v4
	v_add_co_ci_u32_e64 v38, null, v36, v5, vcc_lo
	v_add_co_u32 v39, vcc_lo, v35, v12
	v_add_co_ci_u32_e64 v40, null, 0, v36, vcc_lo
	;; [unrolled: 2-line block ×10, first 2 shown]
	s_clause 0x9
	global_load_dword v57, v[37:38], off
	global_load_dword v39, v[39:40], off offset:32
	global_load_ubyte v40, v[43:44], off offset:104
	global_load_ubyte v43, v[49:50], off offset:96
	;; [unrolled: 1-line block ×8, first 2 shown]
	v_add_co_u32 v37, vcc_lo, v8, v4
	v_add_co_ci_u32_e64 v38, null, v9, v5, vcc_lo
	s_clause 0x7
	global_load_dword v47, v[37:38], off offset:4
	global_load_dword v48, v[37:38], off offset:40
	global_load_dword v50, v[37:38], off offset:76
	global_load_dword v37, v[37:38], off offset:112
	global_load_dword v38, v[8:9], off
	global_load_dword v51, v[8:9], off offset:36
	global_load_dword v52, v[8:9], off offset:72
	;; [unrolled: 1-line block ×3, first 2 shown]
	global_load_ushort v9, v[35:36], off offset:108
	v_cmp_le_u32_e32 vcc_lo, s13, v10
	s_or_b32 s9, vcc_lo, s9
	s_waitcnt vmcnt(18)
	v_ashrrev_i32_e32 v35, v11, v57
	s_waitcnt vmcnt(17)
	v_lshrrev_b32_e32 v55, 4, v39
	s_waitcnt vmcnt(16)
	v_lshrrev_b32_e32 v40, v14, v40
	s_waitcnt vmcnt(15)
	v_bfe_u32 v43, v43, v22, 4
	s_waitcnt vmcnt(14)
	v_lshrrev_b32_e32 v44, v25, v44
	v_not_b32_e32 v35, v35
	s_waitcnt vmcnt(12)
	v_bfe_u32 v45, v45, v16, 4
	s_waitcnt vmcnt(11)
	v_bfe_u32 v41, v41, v13, 4
	s_waitcnt vmcnt(10)
	v_lshrrev_b32_e32 v42, v19, v42
	s_waitcnt vmcnt(9)
	v_lshrrev_b32_e32 v46, v32, v46
	v_lshlrev_b32_e32 v40, 4, v40
	v_bfe_u32 v49, v49, v30, 4
	v_lshlrev_b32_e32 v44, 4, v44
	v_lshlrev_b32_e32 v42, 4, v42
	;; [unrolled: 1-line block ×3, first 2 shown]
	v_and_b32_e32 v57, 0x3030303, v55
	v_and_or_b32 v40, v40, 48, v41
	v_and_or_b32 v43, v44, 48, v43
	;; [unrolled: 1-line block ×3, first 2 shown]
	v_and_b32_e32 v42, 0x4040404, v35
	v_and_or_b32 v44, v46, 48, v49
	v_lshrrev_b16 v46, 8, v57
	v_bfe_u32 v55, v55, 24, 2
	v_lshlrev_b32_e32 v45, 2, v35
	v_lshrrev_b16 v49, 8, v42
	v_and_b32_e32 v36, 0x3030303, v39
	v_bfe_u32 v53, v39, 24, 2
	v_lshrrev_b32_e32 v54, 2, v39
	v_and_b32_e32 v45, 0x4040404, v45
	v_sub_nc_u16 v46, v46, v49
	v_lshrrev_b32_e32 v49, 24, v42
	v_lshrrev_b16 v56, 8, v36
	v_lshrrev_b32_e32 v58, 16, v36
	v_sub_nc_u16 v36, v36, v45
	v_lshlrev_b16 v46, 8, v46
	v_sub_nc_u16 v49, v55, v49
	v_lshrrev_b32_e32 v55, 16, v57
	v_sub_nc_u16 v57, v57, v42
	v_lshrrev_b32_e32 v42, 16, v42
	v_subrev_nc_u32_e32 v40, 32, v40
	v_lshlrev_b16 v49, 8, v49
	v_subrev_nc_u32_e32 v41, 32, v41
	v_or_b32_sdwa v46, v57, v46 dst_sel:DWORD dst_unused:UNUSED_PAD src0_sel:BYTE_0 src1_sel:DWORD
	v_sub_nc_u16 v42, v55, v42
	v_lshrrev_b16 v55, 8, v45
	v_or_b32_sdwa v42, v42, v49 dst_sel:WORD_1 dst_unused:UNUSED_PAD src0_sel:BYTE_0 src1_sel:DWORD
	v_sub_nc_u16 v55, v56, v55
	v_lshrrev_b32_e32 v56, 24, v45
	v_lshrrev_b32_e32 v45, 16, v45
	v_lshlrev_b16 v49, 8, v55
	v_sub_nc_u16 v53, v53, v56
	v_sub_nc_u16 v45, v58, v45
	v_lshlrev_b32_e32 v58, 1, v35
	v_and_b32_e32 v56, 0x3030303, v54
	v_bfe_u32 v54, v54, 24, 2
	v_lshrrev_b32_e32 v35, 1, v35
	v_or_b32_sdwa v36, v36, v49 dst_sel:DWORD dst_unused:UNUSED_PAD src0_sel:BYTE_0 src1_sel:DWORD
	v_and_b32_e32 v58, 0x4040404, v58
	v_lshrrev_b16 v59, 8, v56
	v_lshlrev_b16 v49, 8, v53
	v_and_b32_e32 v35, 0x4040404, v35
	v_mov_b32_e32 v55, 0
	v_lshrrev_b16 v60, 8, v58
	v_or_b32_sdwa v45, v45, v49 dst_sel:WORD_1 dst_unused:UNUSED_PAD src0_sel:BYTE_0 src1_sel:DWORD
	v_lshrrev_b16 v62, 8, v35
	v_mov_b32_e32 v49, 0
	v_sub_nc_u16 v59, v59, v60
	v_lshrrev_b32_e32 v60, 24, v58
	v_or_b32_sdwa v36, v36, v45 dst_sel:DWORD dst_unused:UNUSED_PAD src0_sel:WORD_0 src1_sel:DWORD
	v_mov_b32_e32 v45, 0
	v_lshlrev_b16 v53, 8, v59
	v_sub_nc_u16 v54, v54, v60
	v_lshrrev_b32_e32 v60, 16, v56
	v_sub_nc_u16 v56, v56, v58
	v_lshrrev_b32_e32 v58, 16, v58
	s_waitcnt vmcnt(8)
	v_dot4c_i32_i8 v49, v36, v47
	v_lshlrev_b16 v54, 8, v54
	v_or_b32_sdwa v36, v46, v42 dst_sel:DWORD dst_unused:UNUSED_PAD src0_sel:WORD_0 src1_sel:DWORD
	v_or_b32_sdwa v53, v56, v53 dst_sel:DWORD dst_unused:UNUSED_PAD src0_sel:BYTE_0 src1_sel:DWORD
	v_sub_nc_u16 v58, v60, v58
	v_lshrrev_b32_e32 v60, 6, v39
	v_lshrrev_b32_e32 v39, 30, v39
	v_mov_b32_e32 v56, 0
	v_or_b32_sdwa v54, v58, v54 dst_sel:WORD_1 dst_unused:UNUSED_PAD src0_sel:BYTE_0 src1_sel:DWORD
	v_and_b32_e32 v60, 0x3030303, v60
	s_waitcnt vmcnt(6)
	v_dot4c_i32_i8 v56, v36, v50
	v_or_b32_sdwa v53, v53, v54 dst_sel:DWORD dst_unused:UNUSED_PAD src0_sel:WORD_0 src1_sel:DWORD
	v_lshrrev_b16 v61, 8, v60
	v_dot4c_i32_i8 v55, v53, v48
	v_sub_nc_u16 v61, v61, v62
	v_lshrrev_b32_e32 v62, 24, v35
	v_mul_lo_u32 v36, v41, v55
	v_lshlrev_b16 v57, 8, v61
	v_sub_nc_u16 v39, v39, v62
	v_lshrrev_b32_e32 v62, 16, v60
	v_sub_nc_u16 v60, v60, v35
	v_lshrrev_b32_e32 v35, 16, v35
	v_subrev_nc_u32_e32 v41, 32, v44
	v_lshlrev_b16 v39, 8, v39
	v_or_b32_sdwa v42, v60, v57 dst_sel:DWORD dst_unused:UNUSED_PAD src0_sel:BYTE_0 src1_sel:DWORD
	v_sub_nc_u16 v35, v62, v35
	v_or_b32_sdwa v35, v35, v39 dst_sel:WORD_1 dst_unused:UNUSED_PAD src0_sel:BYTE_0 src1_sel:DWORD
	v_mul_lo_u32 v39, v40, v49
	v_subrev_nc_u32_e32 v40, 32, v43
	v_or_b32_sdwa v35, v42, v35 dst_sel:DWORD dst_unused:UNUSED_PAD src0_sel:WORD_0 src1_sel:DWORD
	v_mul_lo_u32 v40, v40, v56
	v_cvt_f32_i32_e32 v39, v39
	s_waitcnt vmcnt(5)
	v_dot4c_i32_i8 v45, v35, v37
	v_cvt_f32_i32_e32 v35, v36
	s_waitcnt vmcnt(4)
	v_fma_mix_f32 v36, v38, v39, 0 op_sel_hi:[1,0,0]
	v_mul_lo_u32 v37, v41, v45
	v_cvt_f32_i32_e32 v38, v40
	s_waitcnt vmcnt(3)
	v_fma_mix_f32 v35, v51, v35, v36 op_sel_hi:[1,0,0]
	v_cvt_f32_i32_e32 v36, v37
	s_waitcnt vmcnt(2)
	v_fma_mix_f32 v35, v52, v38, v35 op_sel_hi:[1,0,0]
	s_waitcnt vmcnt(1)
	v_fma_mix_f32 v8, v8, v36, v35 op_sel_hi:[1,0,0]
	;; [unrolled: 2-line block ×3, first 2 shown]
	s_andn2_b32 exec_lo, exec_lo, s9
	s_cbranch_execnz .LBB243_3
; %bb.4:
	s_or_b32 exec_lo, exec_lo, s9
.LBB243_5:
	s_or_b32 exec_lo, exec_lo, s12
	v_mbcnt_lo_u32_b32 v2, -1, 0
	v_xor_b32_e32 v4, 16, v2
	v_xor_b32_e32 v5, 8, v2
	v_cmp_gt_i32_e32 vcc_lo, 32, v4
	v_cndmask_b32_e32 v4, v2, v4, vcc_lo
	v_cmp_gt_i32_e32 vcc_lo, 32, v5
	v_lshlrev_b32_e32 v4, 2, v4
	v_cndmask_b32_e32 v5, v2, v5, vcc_lo
	ds_bpermute_b32 v4, v4, v3
	v_lshlrev_b32_e32 v5, 2, v5
	s_waitcnt lgkmcnt(0)
	v_add_f32_e32 v3, v3, v4
	ds_bpermute_b32 v4, v5, v3
	v_xor_b32_e32 v5, 4, v2
	v_cmp_gt_i32_e32 vcc_lo, 32, v5
	v_cndmask_b32_e32 v5, v2, v5, vcc_lo
	v_lshlrev_b32_e32 v5, 2, v5
	s_waitcnt lgkmcnt(0)
	v_add_f32_e32 v3, v3, v4
	ds_bpermute_b32 v4, v5, v3
	v_xor_b32_e32 v5, 2, v2
	v_cmp_gt_i32_e32 vcc_lo, 32, v5
	v_cndmask_b32_e32 v5, v2, v5, vcc_lo
	;; [unrolled: 7-line block ×3, first 2 shown]
	v_cmp_eq_u32_e32 vcc_lo, 0, v0
	s_waitcnt lgkmcnt(0)
	v_add_f32_e32 v2, v3, v4
	v_lshlrev_b32_e32 v3, 2, v5
	ds_bpermute_b32 v3, v3, v2
	s_and_b32 exec_lo, exec_lo, vcc_lo
	s_cbranch_execz .LBB243_7
; %bb.6:
	v_mad_u64_u32 v[0:1], null, s2, s8, v[1:2]
	v_mov_b32_e32 v1, 0
	s_waitcnt lgkmcnt(0)
	v_add_f32_e32 v2, v2, v3
	v_lshlrev_b64 v[0:1], 2, v[0:1]
	v_add_co_u32 v0, vcc_lo, s10, v0
	v_add_co_ci_u32_e64 v1, null, s11, v1, vcc_lo
	global_store_dword v[0:1], v2, off
.LBB243_7:
	s_endpgm
	.section	.rodata,"a",@progbits
	.p2align	6, 0x0
	.amdhsa_kernel _ZL9moe_vec_qIfLi256ELi16E10block_q3_KLi1EXadL_ZL17vec_dot_q3_K_q8_1PKvPK10block_q8_1RKiEEEvS2_S2_PT_PS6_iiii
		.amdhsa_group_segment_fixed_size 0
		.amdhsa_private_segment_fixed_size 0
		.amdhsa_kernarg_size 304
		.amdhsa_user_sgpr_count 6
		.amdhsa_user_sgpr_private_segment_buffer 1
		.amdhsa_user_sgpr_dispatch_ptr 0
		.amdhsa_user_sgpr_queue_ptr 0
		.amdhsa_user_sgpr_kernarg_segment_ptr 1
		.amdhsa_user_sgpr_dispatch_id 0
		.amdhsa_user_sgpr_flat_scratch_init 0
		.amdhsa_user_sgpr_private_segment_size 0
		.amdhsa_wavefront_size32 1
		.amdhsa_uses_dynamic_stack 0
		.amdhsa_system_sgpr_private_segment_wavefront_offset 0
		.amdhsa_system_sgpr_workgroup_id_x 1
		.amdhsa_system_sgpr_workgroup_id_y 0
		.amdhsa_system_sgpr_workgroup_id_z 1
		.amdhsa_system_sgpr_workgroup_info 0
		.amdhsa_system_vgpr_workitem_id 1
		.amdhsa_next_free_vgpr 63
		.amdhsa_next_free_sgpr 19
		.amdhsa_reserve_vcc 1
		.amdhsa_reserve_flat_scratch 0
		.amdhsa_float_round_mode_32 0
		.amdhsa_float_round_mode_16_64 0
		.amdhsa_float_denorm_mode_32 3
		.amdhsa_float_denorm_mode_16_64 3
		.amdhsa_dx10_clamp 1
		.amdhsa_ieee_mode 1
		.amdhsa_fp16_overflow 0
		.amdhsa_workgroup_processor_mode 1
		.amdhsa_memory_ordered 1
		.amdhsa_forward_progress 1
		.amdhsa_shared_vgpr_count 0
		.amdhsa_exception_fp_ieee_invalid_op 0
		.amdhsa_exception_fp_denorm_src 0
		.amdhsa_exception_fp_ieee_div_zero 0
		.amdhsa_exception_fp_ieee_overflow 0
		.amdhsa_exception_fp_ieee_underflow 0
		.amdhsa_exception_fp_ieee_inexact 0
		.amdhsa_exception_int_div_zero 0
	.end_amdhsa_kernel
	.section	.text._ZL9moe_vec_qIfLi256ELi16E10block_q3_KLi1EXadL_ZL17vec_dot_q3_K_q8_1PKvPK10block_q8_1RKiEEEvS2_S2_PT_PS6_iiii,"axG",@progbits,_ZL9moe_vec_qIfLi256ELi16E10block_q3_KLi1EXadL_ZL17vec_dot_q3_K_q8_1PKvPK10block_q8_1RKiEEEvS2_S2_PT_PS6_iiii,comdat
.Lfunc_end243:
	.size	_ZL9moe_vec_qIfLi256ELi16E10block_q3_KLi1EXadL_ZL17vec_dot_q3_K_q8_1PKvPK10block_q8_1RKiEEEvS2_S2_PT_PS6_iiii, .Lfunc_end243-_ZL9moe_vec_qIfLi256ELi16E10block_q3_KLi1EXadL_ZL17vec_dot_q3_K_q8_1PKvPK10block_q8_1RKiEEEvS2_S2_PT_PS6_iiii
                                        ; -- End function
	.set _ZL9moe_vec_qIfLi256ELi16E10block_q3_KLi1EXadL_ZL17vec_dot_q3_K_q8_1PKvPK10block_q8_1RKiEEEvS2_S2_PT_PS6_iiii.num_vgpr, 63
	.set _ZL9moe_vec_qIfLi256ELi16E10block_q3_KLi1EXadL_ZL17vec_dot_q3_K_q8_1PKvPK10block_q8_1RKiEEEvS2_S2_PT_PS6_iiii.num_agpr, 0
	.set _ZL9moe_vec_qIfLi256ELi16E10block_q3_KLi1EXadL_ZL17vec_dot_q3_K_q8_1PKvPK10block_q8_1RKiEEEvS2_S2_PT_PS6_iiii.numbered_sgpr, 19
	.set _ZL9moe_vec_qIfLi256ELi16E10block_q3_KLi1EXadL_ZL17vec_dot_q3_K_q8_1PKvPK10block_q8_1RKiEEEvS2_S2_PT_PS6_iiii.num_named_barrier, 0
	.set _ZL9moe_vec_qIfLi256ELi16E10block_q3_KLi1EXadL_ZL17vec_dot_q3_K_q8_1PKvPK10block_q8_1RKiEEEvS2_S2_PT_PS6_iiii.private_seg_size, 0
	.set _ZL9moe_vec_qIfLi256ELi16E10block_q3_KLi1EXadL_ZL17vec_dot_q3_K_q8_1PKvPK10block_q8_1RKiEEEvS2_S2_PT_PS6_iiii.uses_vcc, 1
	.set _ZL9moe_vec_qIfLi256ELi16E10block_q3_KLi1EXadL_ZL17vec_dot_q3_K_q8_1PKvPK10block_q8_1RKiEEEvS2_S2_PT_PS6_iiii.uses_flat_scratch, 0
	.set _ZL9moe_vec_qIfLi256ELi16E10block_q3_KLi1EXadL_ZL17vec_dot_q3_K_q8_1PKvPK10block_q8_1RKiEEEvS2_S2_PT_PS6_iiii.has_dyn_sized_stack, 0
	.set _ZL9moe_vec_qIfLi256ELi16E10block_q3_KLi1EXadL_ZL17vec_dot_q3_K_q8_1PKvPK10block_q8_1RKiEEEvS2_S2_PT_PS6_iiii.has_recursion, 0
	.set _ZL9moe_vec_qIfLi256ELi16E10block_q3_KLi1EXadL_ZL17vec_dot_q3_K_q8_1PKvPK10block_q8_1RKiEEEvS2_S2_PT_PS6_iiii.has_indirect_call, 0
	.section	.AMDGPU.csdata,"",@progbits
; Kernel info:
; codeLenInByte = 2480
; TotalNumSgprs: 21
; NumVgprs: 63
; ScratchSize: 0
; MemoryBound: 0
; FloatMode: 240
; IeeeMode: 1
; LDSByteSize: 0 bytes/workgroup (compile time only)
; SGPRBlocks: 0
; VGPRBlocks: 7
; NumSGPRsForWavesPerEU: 21
; NumVGPRsForWavesPerEU: 63
; Occupancy: 16
; WaveLimiterHint : 1
; COMPUTE_PGM_RSRC2:SCRATCH_EN: 0
; COMPUTE_PGM_RSRC2:USER_SGPR: 6
; COMPUTE_PGM_RSRC2:TRAP_HANDLER: 0
; COMPUTE_PGM_RSRC2:TGID_X_EN: 1
; COMPUTE_PGM_RSRC2:TGID_Y_EN: 0
; COMPUTE_PGM_RSRC2:TGID_Z_EN: 1
; COMPUTE_PGM_RSRC2:TIDIG_COMP_CNT: 1
	.section	.text._ZL9moe_vec_qIfLi256ELi32E10block_q4_KLi2EXadL_ZL17vec_dot_q4_K_q8_1PKvPK10block_q8_1RKiEEEvS2_S2_PT_PS6_iiii,"axG",@progbits,_ZL9moe_vec_qIfLi256ELi32E10block_q4_KLi2EXadL_ZL17vec_dot_q4_K_q8_1PKvPK10block_q8_1RKiEEEvS2_S2_PT_PS6_iiii,comdat
	.globl	_ZL9moe_vec_qIfLi256ELi32E10block_q4_KLi2EXadL_ZL17vec_dot_q4_K_q8_1PKvPK10block_q8_1RKiEEEvS2_S2_PT_PS6_iiii ; -- Begin function _ZL9moe_vec_qIfLi256ELi32E10block_q4_KLi2EXadL_ZL17vec_dot_q4_K_q8_1PKvPK10block_q8_1RKiEEEvS2_S2_PT_PS6_iiii
	.p2align	8
	.type	_ZL9moe_vec_qIfLi256ELi32E10block_q4_KLi2EXadL_ZL17vec_dot_q4_K_q8_1PKvPK10block_q8_1RKiEEEvS2_S2_PT_PS6_iiii,@function
_ZL9moe_vec_qIfLi256ELi32E10block_q4_KLi2EXadL_ZL17vec_dot_q4_K_q8_1PKvPK10block_q8_1RKiEEEvS2_S2_PT_PS6_iiii: ; @_ZL9moe_vec_qIfLi256ELi32E10block_q4_KLi2EXadL_ZL17vec_dot_q4_K_q8_1PKvPK10block_q8_1RKiEEEvS2_S2_PT_PS6_iiii
; %bb.0:
	s_mov_b32 s8, s7
	s_clause 0x1
	s_load_dword s7, s[4:5], 0x3c
	s_load_dwordx4 s[0:3], s[4:5], 0x20
	s_waitcnt lgkmcnt(0)
	s_lshr_b32 s7, s7, 16
	v_mad_u64_u32 v[1:2], null, s6, s7, v[1:2]
	s_mov_b32 s6, exec_lo
	v_cmpx_gt_u32_e64 s2, v1
	s_cbranch_execz .LBB244_11
; %bb.1:
	s_load_dwordx2 s[10:11], s[4:5], 0x10
	s_ashr_i32 s6, s1, 31
	v_lshrrev_b32_e32 v8, 4, v0
	s_lshr_b32 s6, s6, 24
	v_mov_b32_e32 v9, 0
	s_add_i32 s1, s1, s6
	s_ashr_i32 s12, s1, 8
	s_mov_b32 s1, exec_lo
	v_cmpx_gt_u32_e64 s12, v8
	s_cbranch_execz .LBB244_9
; %bb.2:
	s_load_dwordx2 s[6:7], s[4:5], 0x18
	s_mov_b32 s9, 0
	v_cvt_f32_u32_e32 v2, s0
	s_lshl_b64 s[14:15], s[8:9], 2
	v_and_b32_e32 v4, 3, v0
	v_mul_lo_u32 v10, v1, s12
	v_mov_b32_e32 v9, 0
	v_rcp_iflag_f32_e32 v2, v2
	v_lshlrev_b32_e32 v13, 3, v8
	v_lshlrev_b32_e32 v11, 2, v4
	;; [unrolled: 1-line block ×3, first 2 shown]
	v_mov_b32_e32 v16, 0xffff
	v_mul_f32_e32 v2, 0x4f7ffffe, v2
	s_waitcnt lgkmcnt(0)
	s_add_u32 s6, s6, s14
	s_addc_u32 s7, s7, s15
	v_cvt_u32_f32_e32 v2, v2
	s_load_dword s13, s[6:7], 0x0
	s_load_dwordx4 s[4:7], s[4:5], 0x0
	s_mul_i32 s14, s12, s2
	s_waitcnt lgkmcnt(0)
	s_mul_i32 s13, s14, s13
	v_readfirstlane_b32 s14, v2
	s_mul_i32 s15, s13, 0x90
	s_mul_hi_i32 s13, s13, 0x90
	s_add_u32 s4, s4, s15
	s_addc_u32 s5, s5, s13
	s_sub_i32 s13, 0, s0
	v_lshlrev_b32_e32 v2, 1, v0
	s_mul_i32 s13, s13, s14
	s_mov_b32 s15, s9
	s_mul_hi_u32 s13, s14, s13
	s_add_i32 s14, s14, s13
	v_bfe_u32 v5, v2, 3, 2
	s_mul_hi_u32 s13, s8, s14
	v_and_b32_e32 v3, 30, v2
	s_mul_i32 s14, s13, s0
	s_add_i32 s16, s13, 1
	s_sub_i32 s14, s8, s14
	v_lshlrev_b32_e32 v2, 1, v5
	s_sub_i32 s17, s14, s0
	s_cmp_ge_u32 s14, s0
	v_cmp_lt_u32_e32 vcc_lo, 15, v3
	s_cselect_b32 s13, s16, s13
	s_cselect_b32 s14, s17, s14
	s_add_i32 s16, s13, 1
	s_cmp_ge_u32 s14, s0
	v_lshlrev_b32_e32 v12, 5, v5
	s_cselect_b32 s0, s16, s13
	v_lshlrev_b32_e32 v14, 1, v5
	s_mul_i32 s14, s0, s3
	s_lshl_b64 s[14:15], s[14:15], 2
	s_add_u32 s6, s6, s14
	s_addc_u32 s7, s7, s15
	v_mad_u64_u32 v[2:3], null, v2, 36, s[6:7]
	s_branch .LBB244_4
.LBB244_3:                              ;   in Loop: Header=BB244_4 Depth=1
	s_or_b32 exec_lo, exec_lo, s0
	v_mad_i64_i32 v[6:7], null, v13, 36, v[2:3]
	v_mov_b32_e32 v27, 0
	v_mov_b32_e32 v26, 0
	;; [unrolled: 1-line block ×3, first 2 shown]
	s_waitcnt vmcnt(0)
	v_and_b32_e32 v25, 0xf0f0f0f, v17
	v_and_b32_e32 v28, 0xff, v18
	v_lshrrev_b32_e32 v17, 4, v17
	v_add_co_u32 v20, s0, v6, v15
	v_add_co_ci_u32_e64 v21, null, 0, v7, s0
	v_mov_b32_e32 v29, 0
	v_bfe_u32 v31, v18, 16, 8
	v_add_nc_u32_e32 v8, 2, v8
	s_clause 0x4
	global_load_dword v22, v[20:21], off offset:4
	global_load_dword v23, v[20:21], off offset:40
	;; [unrolled: 1-line block ×4, first 2 shown]
	global_load_dword v21, v[6:7], off
	global_load_dword v4, v[4:5], off
	global_load_dword v5, v[6:7], off offset:36
	v_and_b32_e32 v7, 0xf0f0f0f, v19
	v_lshrrev_b32_e32 v19, 4, v19
	v_and_b32_sdwa v6, v16, v18 dst_sel:DWORD dst_unused:UNUSED_PAD src0_sel:DWORD src1_sel:BYTE_1
	v_lshrrev_b32_e32 v18, 24, v18
	v_cmp_le_u32_e64 s0, s12, v8
	v_add_nc_u32_e32 v13, 16, v13
	v_and_b32_e32 v19, 0xf0f0f0f, v19
	s_or_b32 s9, s0, s9
	s_waitcnt vmcnt(6)
	v_dot4c_i32_i8 v27, 0x1010101, v22
	v_dot4c_i32_i8 v26, v7, v22
	s_waitcnt vmcnt(5)
	v_dot4c_i32_i8 v30, 0x1010101, v23
	v_and_b32_e32 v7, 0xf0f0f0f, v17
	v_dot4c_i32_i8 v29, v19, v23
	s_waitcnt vmcnt(4)
	v_dot4c_i32_i8 v27, 0x1010101, v24
	v_dot4c_i32_i8 v26, v25, v24
	s_waitcnt vmcnt(3)
	v_dot4c_i32_i8 v30, 0x1010101, v20
	s_waitcnt vmcnt(1)
	v_cvt_f32_f16_sdwa v19, v4 dst_sel:DWORD dst_unused:UNUSED_PAD src0_sel:WORD_1
	v_dot4c_i32_i8 v29, v7, v20
	v_mul_lo_u32 v17, v27, v28
	v_mul_lo_u32 v7, v26, v31
	;; [unrolled: 1-line block ×4, first 2 shown]
	v_cvt_f32_i32_e32 v17, v17
	v_cvt_f32_i32_e32 v7, v7
	;; [unrolled: 1-line block ×4, first 2 shown]
	v_fma_mix_f32 v17, v21, v17, 0 op_sel_hi:[1,0,0]
	v_fma_mix_f32 v7, v21, v7, 0 op_sel_hi:[1,0,0]
	s_waitcnt vmcnt(0)
	v_fma_mix_f32 v6, v5, v6, v17 op_sel_hi:[1,0,0]
	v_fma_mix_f32 v5, v5, v18, v7 op_sel_hi:[1,0,0]
	v_mul_f32_e32 v6, v6, v19
	v_fma_mix_f32 v4, v5, v4, -v6 op_sel_hi:[0,1,0]
	v_add_f32_e32 v9, v9, v4
	s_andn2_b32 exec_lo, exec_lo, s9
	s_cbranch_execz .LBB244_8
.LBB244_4:                              ; =>This Inner Loop Header: Depth=1
	v_add_nc_u32_e32 v4, v10, v8
                                        ; implicit-def: $vgpr18
	v_mad_i64_i32 v[4:5], null, 0x90, v4, s[4:5]
	v_add_co_u32 v6, s0, v4, v12
	v_add_co_ci_u32_e64 v7, null, 0, v5, s0
	v_add_co_u32 v6, s0, v6, v11
	v_add_co_ci_u32_e64 v7, null, 0, v7, s0
	s_clause 0x1
	global_load_dword v19, v[6:7], off offset:16
	global_load_dword v17, v[6:7], off offset:32
	v_add_co_u32 v6, s0, v4, v14
	v_add_co_ci_u32_e64 v7, null, 0, v5, s0
	s_and_saveexec_b32 s0, vcc_lo
	s_xor_b32 s0, exec_lo, s0
	s_cbranch_execz .LBB244_6
; %bb.5:                                ;   in Loop: Header=BB244_4 Depth=1
	s_clause 0x1
	global_load_ushort v18, v[6:7], off offset:8
	global_load_ushort v20, v[6:7], off offset:4
	s_waitcnt vmcnt(1)
	v_mov_b32_e32 v21, v18
	global_load_short_d16_hi v21, v[6:7], off
	s_waitcnt vmcnt(1)
	v_perm_b32 v6, v18, v20, 0x5040100
	v_pk_lshrrev_b16 v6, 2, v6
	v_and_b32_e32 v6, 0xf0f3030, v6
	s_waitcnt vmcnt(0)
	v_pk_lshrrev_b16 v7, 0x20004, v21
	v_and_or_b32 v18, 0x30300f0f, v7, v6
                                        ; implicit-def: $vgpr6_vgpr7
.LBB244_6:                              ;   in Loop: Header=BB244_4 Depth=1
	s_andn2_saveexec_b32 s0, s0
	s_cbranch_execz .LBB244_3
; %bb.7:                                ;   in Loop: Header=BB244_4 Depth=1
	s_clause 0x1
	global_load_ushort v18, v[6:7], off offset:8
	global_load_short_d16_hi v18, v[6:7], off offset:4
	s_waitcnt vmcnt(0)
	v_and_b32_e32 v18, 0x3f3f3f3f, v18
	s_branch .LBB244_3
.LBB244_8:
	s_or_b32 exec_lo, exec_lo, s9
.LBB244_9:
	s_or_b32 exec_lo, exec_lo, s1
	v_mbcnt_lo_u32_b32 v2, -1, 0
	v_xor_b32_e32 v3, 16, v2
	v_xor_b32_e32 v4, 8, v2
	;; [unrolled: 1-line block ×3, first 2 shown]
	v_cmp_gt_i32_e32 vcc_lo, 32, v3
	v_cndmask_b32_e32 v3, v2, v3, vcc_lo
	v_cmp_gt_i32_e32 vcc_lo, 32, v4
	v_lshlrev_b32_e32 v3, 2, v3
	v_cndmask_b32_e32 v4, v2, v4, vcc_lo
	v_cmp_gt_i32_e32 vcc_lo, 32, v5
	ds_bpermute_b32 v3, v3, v9
	v_lshlrev_b32_e32 v4, 2, v4
	v_cndmask_b32_e32 v5, v2, v5, vcc_lo
	v_lshlrev_b32_e32 v5, 2, v5
	s_waitcnt lgkmcnt(0)
	v_add_f32_e32 v3, v9, v3
	ds_bpermute_b32 v4, v4, v3
	s_waitcnt lgkmcnt(0)
	v_add_f32_e32 v3, v3, v4
	ds_bpermute_b32 v4, v5, v3
	v_xor_b32_e32 v5, 2, v2
	v_cmp_gt_i32_e32 vcc_lo, 32, v5
	v_cndmask_b32_e32 v5, v2, v5, vcc_lo
	v_lshlrev_b32_e32 v5, 2, v5
	s_waitcnt lgkmcnt(0)
	v_add_f32_e32 v3, v3, v4
	ds_bpermute_b32 v4, v5, v3
	v_xor_b32_e32 v5, 1, v2
	v_cmp_gt_i32_e32 vcc_lo, 32, v5
	v_cndmask_b32_e32 v5, v2, v5, vcc_lo
	v_cmp_eq_u32_e32 vcc_lo, 0, v0
	s_waitcnt lgkmcnt(0)
	v_add_f32_e32 v2, v3, v4
	v_lshlrev_b32_e32 v3, 2, v5
	ds_bpermute_b32 v3, v3, v2
	s_and_b32 exec_lo, exec_lo, vcc_lo
	s_cbranch_execz .LBB244_11
; %bb.10:
	v_mad_u64_u32 v[0:1], null, s2, s8, v[1:2]
	v_mov_b32_e32 v1, 0
	s_waitcnt lgkmcnt(0)
	v_add_f32_e32 v2, v2, v3
	v_lshlrev_b64 v[0:1], 2, v[0:1]
	v_add_co_u32 v0, vcc_lo, s10, v0
	v_add_co_ci_u32_e64 v1, null, s11, v1, vcc_lo
	global_store_dword v[0:1], v2, off
.LBB244_11:
	s_endpgm
	.section	.rodata,"a",@progbits
	.p2align	6, 0x0
	.amdhsa_kernel _ZL9moe_vec_qIfLi256ELi32E10block_q4_KLi2EXadL_ZL17vec_dot_q4_K_q8_1PKvPK10block_q8_1RKiEEEvS2_S2_PT_PS6_iiii
		.amdhsa_group_segment_fixed_size 0
		.amdhsa_private_segment_fixed_size 0
		.amdhsa_kernarg_size 304
		.amdhsa_user_sgpr_count 6
		.amdhsa_user_sgpr_private_segment_buffer 1
		.amdhsa_user_sgpr_dispatch_ptr 0
		.amdhsa_user_sgpr_queue_ptr 0
		.amdhsa_user_sgpr_kernarg_segment_ptr 1
		.amdhsa_user_sgpr_dispatch_id 0
		.amdhsa_user_sgpr_flat_scratch_init 0
		.amdhsa_user_sgpr_private_segment_size 0
		.amdhsa_wavefront_size32 1
		.amdhsa_uses_dynamic_stack 0
		.amdhsa_system_sgpr_private_segment_wavefront_offset 0
		.amdhsa_system_sgpr_workgroup_id_x 1
		.amdhsa_system_sgpr_workgroup_id_y 0
		.amdhsa_system_sgpr_workgroup_id_z 1
		.amdhsa_system_sgpr_workgroup_info 0
		.amdhsa_system_vgpr_workitem_id 1
		.amdhsa_next_free_vgpr 32
		.amdhsa_next_free_sgpr 18
		.amdhsa_reserve_vcc 1
		.amdhsa_reserve_flat_scratch 0
		.amdhsa_float_round_mode_32 0
		.amdhsa_float_round_mode_16_64 0
		.amdhsa_float_denorm_mode_32 3
		.amdhsa_float_denorm_mode_16_64 3
		.amdhsa_dx10_clamp 1
		.amdhsa_ieee_mode 1
		.amdhsa_fp16_overflow 0
		.amdhsa_workgroup_processor_mode 1
		.amdhsa_memory_ordered 1
		.amdhsa_forward_progress 1
		.amdhsa_shared_vgpr_count 0
		.amdhsa_exception_fp_ieee_invalid_op 0
		.amdhsa_exception_fp_denorm_src 0
		.amdhsa_exception_fp_ieee_div_zero 0
		.amdhsa_exception_fp_ieee_overflow 0
		.amdhsa_exception_fp_ieee_underflow 0
		.amdhsa_exception_fp_ieee_inexact 0
		.amdhsa_exception_int_div_zero 0
	.end_amdhsa_kernel
	.section	.text._ZL9moe_vec_qIfLi256ELi32E10block_q4_KLi2EXadL_ZL17vec_dot_q4_K_q8_1PKvPK10block_q8_1RKiEEEvS2_S2_PT_PS6_iiii,"axG",@progbits,_ZL9moe_vec_qIfLi256ELi32E10block_q4_KLi2EXadL_ZL17vec_dot_q4_K_q8_1PKvPK10block_q8_1RKiEEEvS2_S2_PT_PS6_iiii,comdat
.Lfunc_end244:
	.size	_ZL9moe_vec_qIfLi256ELi32E10block_q4_KLi2EXadL_ZL17vec_dot_q4_K_q8_1PKvPK10block_q8_1RKiEEEvS2_S2_PT_PS6_iiii, .Lfunc_end244-_ZL9moe_vec_qIfLi256ELi32E10block_q4_KLi2EXadL_ZL17vec_dot_q4_K_q8_1PKvPK10block_q8_1RKiEEEvS2_S2_PT_PS6_iiii
                                        ; -- End function
	.set _ZL9moe_vec_qIfLi256ELi32E10block_q4_KLi2EXadL_ZL17vec_dot_q4_K_q8_1PKvPK10block_q8_1RKiEEEvS2_S2_PT_PS6_iiii.num_vgpr, 32
	.set _ZL9moe_vec_qIfLi256ELi32E10block_q4_KLi2EXadL_ZL17vec_dot_q4_K_q8_1PKvPK10block_q8_1RKiEEEvS2_S2_PT_PS6_iiii.num_agpr, 0
	.set _ZL9moe_vec_qIfLi256ELi32E10block_q4_KLi2EXadL_ZL17vec_dot_q4_K_q8_1PKvPK10block_q8_1RKiEEEvS2_S2_PT_PS6_iiii.numbered_sgpr, 18
	.set _ZL9moe_vec_qIfLi256ELi32E10block_q4_KLi2EXadL_ZL17vec_dot_q4_K_q8_1PKvPK10block_q8_1RKiEEEvS2_S2_PT_PS6_iiii.num_named_barrier, 0
	.set _ZL9moe_vec_qIfLi256ELi32E10block_q4_KLi2EXadL_ZL17vec_dot_q4_K_q8_1PKvPK10block_q8_1RKiEEEvS2_S2_PT_PS6_iiii.private_seg_size, 0
	.set _ZL9moe_vec_qIfLi256ELi32E10block_q4_KLi2EXadL_ZL17vec_dot_q4_K_q8_1PKvPK10block_q8_1RKiEEEvS2_S2_PT_PS6_iiii.uses_vcc, 1
	.set _ZL9moe_vec_qIfLi256ELi32E10block_q4_KLi2EXadL_ZL17vec_dot_q4_K_q8_1PKvPK10block_q8_1RKiEEEvS2_S2_PT_PS6_iiii.uses_flat_scratch, 0
	.set _ZL9moe_vec_qIfLi256ELi32E10block_q4_KLi2EXadL_ZL17vec_dot_q4_K_q8_1PKvPK10block_q8_1RKiEEEvS2_S2_PT_PS6_iiii.has_dyn_sized_stack, 0
	.set _ZL9moe_vec_qIfLi256ELi32E10block_q4_KLi2EXadL_ZL17vec_dot_q4_K_q8_1PKvPK10block_q8_1RKiEEEvS2_S2_PT_PS6_iiii.has_recursion, 0
	.set _ZL9moe_vec_qIfLi256ELi32E10block_q4_KLi2EXadL_ZL17vec_dot_q4_K_q8_1PKvPK10block_q8_1RKiEEEvS2_S2_PT_PS6_iiii.has_indirect_call, 0
	.section	.AMDGPU.csdata,"",@progbits
; Kernel info:
; codeLenInByte = 1220
; TotalNumSgprs: 20
; NumVgprs: 32
; ScratchSize: 0
; MemoryBound: 0
; FloatMode: 240
; IeeeMode: 1
; LDSByteSize: 0 bytes/workgroup (compile time only)
; SGPRBlocks: 0
; VGPRBlocks: 3
; NumSGPRsForWavesPerEU: 20
; NumVGPRsForWavesPerEU: 32
; Occupancy: 16
; WaveLimiterHint : 1
; COMPUTE_PGM_RSRC2:SCRATCH_EN: 0
; COMPUTE_PGM_RSRC2:USER_SGPR: 6
; COMPUTE_PGM_RSRC2:TRAP_HANDLER: 0
; COMPUTE_PGM_RSRC2:TGID_X_EN: 1
; COMPUTE_PGM_RSRC2:TGID_Y_EN: 0
; COMPUTE_PGM_RSRC2:TGID_Z_EN: 1
; COMPUTE_PGM_RSRC2:TIDIG_COMP_CNT: 1
	.section	.text._ZL9moe_vec_qIfLi256ELi32E10block_q5_KLi2EXadL_ZL17vec_dot_q5_K_q8_1PKvPK10block_q8_1RKiEEEvS2_S2_PT_PS6_iiii,"axG",@progbits,_ZL9moe_vec_qIfLi256ELi32E10block_q5_KLi2EXadL_ZL17vec_dot_q5_K_q8_1PKvPK10block_q8_1RKiEEEvS2_S2_PT_PS6_iiii,comdat
	.globl	_ZL9moe_vec_qIfLi256ELi32E10block_q5_KLi2EXadL_ZL17vec_dot_q5_K_q8_1PKvPK10block_q8_1RKiEEEvS2_S2_PT_PS6_iiii ; -- Begin function _ZL9moe_vec_qIfLi256ELi32E10block_q5_KLi2EXadL_ZL17vec_dot_q5_K_q8_1PKvPK10block_q8_1RKiEEEvS2_S2_PT_PS6_iiii
	.p2align	8
	.type	_ZL9moe_vec_qIfLi256ELi32E10block_q5_KLi2EXadL_ZL17vec_dot_q5_K_q8_1PKvPK10block_q8_1RKiEEEvS2_S2_PT_PS6_iiii,@function
_ZL9moe_vec_qIfLi256ELi32E10block_q5_KLi2EXadL_ZL17vec_dot_q5_K_q8_1PKvPK10block_q8_1RKiEEEvS2_S2_PT_PS6_iiii: ; @_ZL9moe_vec_qIfLi256ELi32E10block_q5_KLi2EXadL_ZL17vec_dot_q5_K_q8_1PKvPK10block_q8_1RKiEEEvS2_S2_PT_PS6_iiii
; %bb.0:
	s_mov_b32 s8, s7
	s_clause 0x1
	s_load_dword s7, s[4:5], 0x3c
	s_load_dwordx4 s[0:3], s[4:5], 0x20
	s_waitcnt lgkmcnt(0)
	s_lshr_b32 s7, s7, 16
	v_mad_u64_u32 v[1:2], null, s6, s7, v[1:2]
	s_mov_b32 s6, exec_lo
	v_cmpx_gt_u32_e64 s2, v1
	s_cbranch_execz .LBB245_11
; %bb.1:
	s_load_dwordx2 s[10:11], s[4:5], 0x10
	s_ashr_i32 s6, s1, 31
	v_lshrrev_b32_e32 v8, 4, v0
	s_lshr_b32 s6, s6, 24
	v_mov_b32_e32 v9, 0
	s_add_i32 s1, s1, s6
	s_ashr_i32 s12, s1, 8
	s_mov_b32 s1, exec_lo
	v_cmpx_gt_u32_e64 s12, v8
	s_cbranch_execz .LBB245_9
; %bb.2:
	s_load_dwordx2 s[6:7], s[4:5], 0x18
	s_mov_b32 s9, 0
	v_cvt_f32_u32_e32 v2, s0
	s_lshl_b64 s[14:15], s[8:9], 2
	v_and_b32_e32 v4, 3, v0
	v_mul_lo_u32 v10, v1, s12
	v_mov_b32_e32 v9, 0
	v_rcp_iflag_f32_e32 v2, v2
	v_lshlrev_b32_e32 v14, 3, v8
	v_lshlrev_b32_e32 v11, 2, v4
	;; [unrolled: 1-line block ×3, first 2 shown]
	v_mov_b32_e32 v17, 0xffff
	v_mul_f32_e32 v2, 0x4f7ffffe, v2
	s_waitcnt lgkmcnt(0)
	s_add_u32 s6, s6, s14
	s_addc_u32 s7, s7, s15
	v_cvt_u32_f32_e32 v2, v2
	s_load_dword s13, s[6:7], 0x0
	s_load_dwordx4 s[4:7], s[4:5], 0x0
	s_mul_i32 s14, s12, s2
	s_waitcnt lgkmcnt(0)
	s_mul_i32 s13, s14, s13
	v_readfirstlane_b32 s14, v2
	s_mul_i32 s15, s13, 0xb0
	s_mul_hi_i32 s13, s13, 0xb0
	s_add_u32 s4, s4, s15
	s_addc_u32 s5, s5, s13
	s_sub_i32 s13, 0, s0
	v_lshlrev_b32_e32 v2, 1, v0
	s_mul_i32 s13, s13, s14
	s_mov_b32 s15, s9
	s_mul_hi_u32 s13, s14, s13
	s_add_i32 s14, s14, s13
	v_bfe_u32 v5, v2, 3, 2
	s_mul_hi_u32 s13, s8, s14
	v_and_b32_e32 v3, 30, v2
	s_mul_i32 s14, s13, s0
	s_add_i32 s16, s13, 1
	s_sub_i32 s14, s8, s14
	v_lshlrev_b32_e32 v13, 1, v5
	s_sub_i32 s17, s14, s0
	s_cmp_ge_u32 s14, s0
	v_cmp_lt_u32_e32 vcc_lo, 15, v3
	s_cselect_b32 s13, s16, s13
	s_cselect_b32 s14, s17, s14
	s_add_i32 s16, s13, 1
	s_cmp_ge_u32 s14, s0
	v_lshlrev_b32_e32 v12, 5, v5
	s_cselect_b32 s0, s16, s13
	v_lshlrev_b32_e32 v15, 1, v5
	s_mul_i32 s14, s0, s3
	s_lshl_b64 s[14:15], s[14:15], 2
	s_add_u32 s6, s6, s14
	s_addc_u32 s7, s7, s15
	v_mad_u64_u32 v[2:3], null, v13, 36, s[6:7]
	s_branch .LBB245_4
.LBB245_3:                              ;   in Loop: Header=BB245_4 Depth=1
	s_or_b32 exec_lo, exec_lo, s0
	v_mad_i64_i32 v[6:7], null, v14, 36, v[2:3]
	s_waitcnt vmcnt(1)
	v_ashrrev_i32_e32 v21, v13, v21
	v_and_b32_e32 v28, 0xf0f0f0f, v19
	v_mov_b32_e32 v30, 0
	v_lshrrev_b32_e32 v19, 4, v19
	v_mov_b32_e32 v29, 0
	v_mov_b32_e32 v33, 0
	v_add_co_u32 v23, s0, v6, v16
	v_add_co_ci_u32_e64 v24, null, 0, v7, s0
	v_lshlrev_b32_e32 v36, 4, v21
	v_and_b32_e32 v19, 0xf0f0f0f, v19
	v_and_b32_e32 v31, 0xff, v18
	s_clause 0x4
	global_load_dword v25, v[23:24], off offset:20
	global_load_dword v26, v[23:24], off offset:56
	;; [unrolled: 1-line block ×4, first 2 shown]
	global_load_dword v24, v[6:7], off
	global_load_dword v4, v[4:5], off
	global_load_dword v5, v[6:7], off offset:36
	s_waitcnt vmcnt(7)
	v_ashrrev_i32_e32 v7, v13, v22
	v_and_b32_e32 v22, 0xf0f0f0f, v20
	v_lshrrev_b32_e32 v20, 4, v20
	v_mov_b32_e32 v32, 0
	v_lshlrev_b32_e32 v21, 3, v21
	v_lshlrev_b32_e32 v35, 4, v7
	v_lshlrev_b32_e32 v7, 3, v7
	v_and_b32_e32 v20, 0xf0f0f0f, v20
	v_and_or_b32 v22, 0x10101010, v36, v22
	v_and_b32_sdwa v6, v17, v18 dst_sel:DWORD dst_unused:UNUSED_PAD src0_sel:DWORD src1_sel:BYTE_1
	v_and_or_b32 v28, 0x10101010, v35, v28
	v_and_or_b32 v7, 0x10101010, v7, v19
	v_bfe_u32 v34, v18, 16, 8
	v_and_or_b32 v19, 0x10101010, v21, v20
	v_lshrrev_b32_e32 v18, 24, v18
	v_add_nc_u32_e32 v8, 2, v8
	v_add_nc_u32_e32 v14, 16, v14
	v_cmp_le_u32_e64 s0, s12, v8
	s_or_b32 s9, s0, s9
	s_waitcnt vmcnt(6)
	v_dot4c_i32_i8 v30, 0x1010101, v25
	v_dot4c_i32_i8 v29, v28, v25
	s_waitcnt vmcnt(5)
	v_dot4c_i32_i8 v33, 0x1010101, v26
	v_dot4c_i32_i8 v32, v7, v26
	;; [unrolled: 3-line block ×4, first 2 shown]
	s_waitcnt vmcnt(1)
	v_cvt_f32_f16_sdwa v20, v4 dst_sel:DWORD dst_unused:UNUSED_PAD src0_sel:WORD_1
	v_mul_lo_u32 v7, v30, v31
	v_mul_lo_u32 v19, v29, v34
	;; [unrolled: 1-line block ×4, first 2 shown]
	v_cvt_f32_i32_e32 v7, v7
	v_cvt_f32_i32_e32 v19, v19
	;; [unrolled: 1-line block ×4, first 2 shown]
	v_fma_mix_f32 v7, v24, v7, 0 op_sel_hi:[1,0,0]
	v_fma_mix_f32 v19, v24, v19, 0 op_sel_hi:[1,0,0]
	s_waitcnt vmcnt(0)
	v_fma_mix_f32 v6, v5, v6, v7 op_sel_hi:[1,0,0]
	v_fma_mix_f32 v5, v5, v18, v19 op_sel_hi:[1,0,0]
	v_mul_f32_e32 v6, v6, v20
	v_fma_mix_f32 v4, v5, v4, -v6 op_sel_hi:[0,1,0]
	v_add_f32_e32 v9, v9, v4
	s_andn2_b32 exec_lo, exec_lo, s9
	s_cbranch_execz .LBB245_8
.LBB245_4:                              ; =>This Inner Loop Header: Depth=1
	v_add_nc_u32_e32 v4, v10, v8
                                        ; implicit-def: $vgpr18
	v_mad_i64_i32 v[4:5], null, 0xb0, v4, s[4:5]
	v_add_co_u32 v6, s0, v4, v12
	v_add_co_ci_u32_e64 v7, null, 0, v5, s0
	v_add_co_u32 v6, s0, v6, v11
	v_add_co_ci_u32_e64 v7, null, 0, v7, s0
	;; [unrolled: 2-line block ×3, first 2 shown]
	s_clause 0x3
	global_load_dword v20, v[6:7], off offset:48
	global_load_dword v19, v[6:7], off offset:64
	;; [unrolled: 1-line block ×4, first 2 shown]
	v_add_co_u32 v6, s0, v4, v15
	v_add_co_ci_u32_e64 v7, null, 0, v5, s0
	s_and_saveexec_b32 s0, vcc_lo
	s_xor_b32 s0, exec_lo, s0
	s_cbranch_execz .LBB245_6
; %bb.5:                                ;   in Loop: Header=BB245_4 Depth=1
	s_clause 0x1
	global_load_ushort v18, v[6:7], off offset:8
	global_load_ushort v23, v[6:7], off offset:4
	s_waitcnt vmcnt(1)
	v_mov_b32_e32 v24, v18
	global_load_short_d16_hi v24, v[6:7], off
	s_waitcnt vmcnt(1)
	v_perm_b32 v6, v18, v23, 0x5040100
	v_pk_lshrrev_b16 v6, 2, v6
	v_and_b32_e32 v6, 0xf0f3030, v6
	s_waitcnt vmcnt(0)
	v_pk_lshrrev_b16 v7, 0x20004, v24
	v_and_or_b32 v18, 0x30300f0f, v7, v6
                                        ; implicit-def: $vgpr6_vgpr7
.LBB245_6:                              ;   in Loop: Header=BB245_4 Depth=1
	s_andn2_saveexec_b32 s0, s0
	s_cbranch_execz .LBB245_3
; %bb.7:                                ;   in Loop: Header=BB245_4 Depth=1
	s_clause 0x1
	global_load_ushort v18, v[6:7], off offset:8
	global_load_short_d16_hi v18, v[6:7], off offset:4
	s_waitcnt vmcnt(0)
	v_and_b32_e32 v18, 0x3f3f3f3f, v18
	s_branch .LBB245_3
.LBB245_8:
	s_or_b32 exec_lo, exec_lo, s9
.LBB245_9:
	s_or_b32 exec_lo, exec_lo, s1
	v_mbcnt_lo_u32_b32 v2, -1, 0
	v_xor_b32_e32 v3, 16, v2
	v_xor_b32_e32 v4, 8, v2
	;; [unrolled: 1-line block ×3, first 2 shown]
	v_cmp_gt_i32_e32 vcc_lo, 32, v3
	v_cndmask_b32_e32 v3, v2, v3, vcc_lo
	v_cmp_gt_i32_e32 vcc_lo, 32, v4
	v_lshlrev_b32_e32 v3, 2, v3
	v_cndmask_b32_e32 v4, v2, v4, vcc_lo
	v_cmp_gt_i32_e32 vcc_lo, 32, v5
	ds_bpermute_b32 v3, v3, v9
	v_lshlrev_b32_e32 v4, 2, v4
	v_cndmask_b32_e32 v5, v2, v5, vcc_lo
	v_lshlrev_b32_e32 v5, 2, v5
	s_waitcnt lgkmcnt(0)
	v_add_f32_e32 v3, v9, v3
	ds_bpermute_b32 v4, v4, v3
	s_waitcnt lgkmcnt(0)
	v_add_f32_e32 v3, v3, v4
	ds_bpermute_b32 v4, v5, v3
	v_xor_b32_e32 v5, 2, v2
	v_cmp_gt_i32_e32 vcc_lo, 32, v5
	v_cndmask_b32_e32 v5, v2, v5, vcc_lo
	v_lshlrev_b32_e32 v5, 2, v5
	s_waitcnt lgkmcnt(0)
	v_add_f32_e32 v3, v3, v4
	ds_bpermute_b32 v4, v5, v3
	v_xor_b32_e32 v5, 1, v2
	v_cmp_gt_i32_e32 vcc_lo, 32, v5
	v_cndmask_b32_e32 v5, v2, v5, vcc_lo
	v_cmp_eq_u32_e32 vcc_lo, 0, v0
	s_waitcnt lgkmcnt(0)
	v_add_f32_e32 v2, v3, v4
	v_lshlrev_b32_e32 v3, 2, v5
	ds_bpermute_b32 v3, v3, v2
	s_and_b32 exec_lo, exec_lo, vcc_lo
	s_cbranch_execz .LBB245_11
; %bb.10:
	v_mad_u64_u32 v[0:1], null, s2, s8, v[1:2]
	v_mov_b32_e32 v1, 0
	s_waitcnt lgkmcnt(0)
	v_add_f32_e32 v2, v2, v3
	v_lshlrev_b64 v[0:1], 2, v[0:1]
	v_add_co_u32 v0, vcc_lo, s10, v0
	v_add_co_ci_u32_e64 v1, null, s11, v1, vcc_lo
	global_store_dword v[0:1], v2, off
.LBB245_11:
	s_endpgm
	.section	.rodata,"a",@progbits
	.p2align	6, 0x0
	.amdhsa_kernel _ZL9moe_vec_qIfLi256ELi32E10block_q5_KLi2EXadL_ZL17vec_dot_q5_K_q8_1PKvPK10block_q8_1RKiEEEvS2_S2_PT_PS6_iiii
		.amdhsa_group_segment_fixed_size 0
		.amdhsa_private_segment_fixed_size 0
		.amdhsa_kernarg_size 304
		.amdhsa_user_sgpr_count 6
		.amdhsa_user_sgpr_private_segment_buffer 1
		.amdhsa_user_sgpr_dispatch_ptr 0
		.amdhsa_user_sgpr_queue_ptr 0
		.amdhsa_user_sgpr_kernarg_segment_ptr 1
		.amdhsa_user_sgpr_dispatch_id 0
		.amdhsa_user_sgpr_flat_scratch_init 0
		.amdhsa_user_sgpr_private_segment_size 0
		.amdhsa_wavefront_size32 1
		.amdhsa_uses_dynamic_stack 0
		.amdhsa_system_sgpr_private_segment_wavefront_offset 0
		.amdhsa_system_sgpr_workgroup_id_x 1
		.amdhsa_system_sgpr_workgroup_id_y 0
		.amdhsa_system_sgpr_workgroup_id_z 1
		.amdhsa_system_sgpr_workgroup_info 0
		.amdhsa_system_vgpr_workitem_id 1
		.amdhsa_next_free_vgpr 37
		.amdhsa_next_free_sgpr 18
		.amdhsa_reserve_vcc 1
		.amdhsa_reserve_flat_scratch 0
		.amdhsa_float_round_mode_32 0
		.amdhsa_float_round_mode_16_64 0
		.amdhsa_float_denorm_mode_32 3
		.amdhsa_float_denorm_mode_16_64 3
		.amdhsa_dx10_clamp 1
		.amdhsa_ieee_mode 1
		.amdhsa_fp16_overflow 0
		.amdhsa_workgroup_processor_mode 1
		.amdhsa_memory_ordered 1
		.amdhsa_forward_progress 1
		.amdhsa_shared_vgpr_count 0
		.amdhsa_exception_fp_ieee_invalid_op 0
		.amdhsa_exception_fp_denorm_src 0
		.amdhsa_exception_fp_ieee_div_zero 0
		.amdhsa_exception_fp_ieee_overflow 0
		.amdhsa_exception_fp_ieee_underflow 0
		.amdhsa_exception_fp_ieee_inexact 0
		.amdhsa_exception_int_div_zero 0
	.end_amdhsa_kernel
	.section	.text._ZL9moe_vec_qIfLi256ELi32E10block_q5_KLi2EXadL_ZL17vec_dot_q5_K_q8_1PKvPK10block_q8_1RKiEEEvS2_S2_PT_PS6_iiii,"axG",@progbits,_ZL9moe_vec_qIfLi256ELi32E10block_q5_KLi2EXadL_ZL17vec_dot_q5_K_q8_1PKvPK10block_q8_1RKiEEEvS2_S2_PT_PS6_iiii,comdat
.Lfunc_end245:
	.size	_ZL9moe_vec_qIfLi256ELi32E10block_q5_KLi2EXadL_ZL17vec_dot_q5_K_q8_1PKvPK10block_q8_1RKiEEEvS2_S2_PT_PS6_iiii, .Lfunc_end245-_ZL9moe_vec_qIfLi256ELi32E10block_q5_KLi2EXadL_ZL17vec_dot_q5_K_q8_1PKvPK10block_q8_1RKiEEEvS2_S2_PT_PS6_iiii
                                        ; -- End function
	.set _ZL9moe_vec_qIfLi256ELi32E10block_q5_KLi2EXadL_ZL17vec_dot_q5_K_q8_1PKvPK10block_q8_1RKiEEEvS2_S2_PT_PS6_iiii.num_vgpr, 37
	.set _ZL9moe_vec_qIfLi256ELi32E10block_q5_KLi2EXadL_ZL17vec_dot_q5_K_q8_1PKvPK10block_q8_1RKiEEEvS2_S2_PT_PS6_iiii.num_agpr, 0
	.set _ZL9moe_vec_qIfLi256ELi32E10block_q5_KLi2EXadL_ZL17vec_dot_q5_K_q8_1PKvPK10block_q8_1RKiEEEvS2_S2_PT_PS6_iiii.numbered_sgpr, 18
	.set _ZL9moe_vec_qIfLi256ELi32E10block_q5_KLi2EXadL_ZL17vec_dot_q5_K_q8_1PKvPK10block_q8_1RKiEEEvS2_S2_PT_PS6_iiii.num_named_barrier, 0
	.set _ZL9moe_vec_qIfLi256ELi32E10block_q5_KLi2EXadL_ZL17vec_dot_q5_K_q8_1PKvPK10block_q8_1RKiEEEvS2_S2_PT_PS6_iiii.private_seg_size, 0
	.set _ZL9moe_vec_qIfLi256ELi32E10block_q5_KLi2EXadL_ZL17vec_dot_q5_K_q8_1PKvPK10block_q8_1RKiEEEvS2_S2_PT_PS6_iiii.uses_vcc, 1
	.set _ZL9moe_vec_qIfLi256ELi32E10block_q5_KLi2EXadL_ZL17vec_dot_q5_K_q8_1PKvPK10block_q8_1RKiEEEvS2_S2_PT_PS6_iiii.uses_flat_scratch, 0
	.set _ZL9moe_vec_qIfLi256ELi32E10block_q5_KLi2EXadL_ZL17vec_dot_q5_K_q8_1PKvPK10block_q8_1RKiEEEvS2_S2_PT_PS6_iiii.has_dyn_sized_stack, 0
	.set _ZL9moe_vec_qIfLi256ELi32E10block_q5_KLi2EXadL_ZL17vec_dot_q5_K_q8_1PKvPK10block_q8_1RKiEEEvS2_S2_PT_PS6_iiii.has_recursion, 0
	.set _ZL9moe_vec_qIfLi256ELi32E10block_q5_KLi2EXadL_ZL17vec_dot_q5_K_q8_1PKvPK10block_q8_1RKiEEEvS2_S2_PT_PS6_iiii.has_indirect_call, 0
	.section	.AMDGPU.csdata,"",@progbits
; Kernel info:
; codeLenInByte = 1328
; TotalNumSgprs: 20
; NumVgprs: 37
; ScratchSize: 0
; MemoryBound: 0
; FloatMode: 240
; IeeeMode: 1
; LDSByteSize: 0 bytes/workgroup (compile time only)
; SGPRBlocks: 0
; VGPRBlocks: 4
; NumSGPRsForWavesPerEU: 20
; NumVGPRsForWavesPerEU: 37
; Occupancy: 16
; WaveLimiterHint : 1
; COMPUTE_PGM_RSRC2:SCRATCH_EN: 0
; COMPUTE_PGM_RSRC2:USER_SGPR: 6
; COMPUTE_PGM_RSRC2:TRAP_HANDLER: 0
; COMPUTE_PGM_RSRC2:TGID_X_EN: 1
; COMPUTE_PGM_RSRC2:TGID_Y_EN: 0
; COMPUTE_PGM_RSRC2:TGID_Z_EN: 1
; COMPUTE_PGM_RSRC2:TIDIG_COMP_CNT: 1
	.section	.text._ZL9moe_vec_qIfLi256ELi32E10block_q6_KLi1EXadL_ZL17vec_dot_q6_K_q8_1PKvPK10block_q8_1RKiEEEvS2_S2_PT_PS6_iiii,"axG",@progbits,_ZL9moe_vec_qIfLi256ELi32E10block_q6_KLi1EXadL_ZL17vec_dot_q6_K_q8_1PKvPK10block_q8_1RKiEEEvS2_S2_PT_PS6_iiii,comdat
	.globl	_ZL9moe_vec_qIfLi256ELi32E10block_q6_KLi1EXadL_ZL17vec_dot_q6_K_q8_1PKvPK10block_q8_1RKiEEEvS2_S2_PT_PS6_iiii ; -- Begin function _ZL9moe_vec_qIfLi256ELi32E10block_q6_KLi1EXadL_ZL17vec_dot_q6_K_q8_1PKvPK10block_q8_1RKiEEEvS2_S2_PT_PS6_iiii
	.p2align	8
	.type	_ZL9moe_vec_qIfLi256ELi32E10block_q6_KLi1EXadL_ZL17vec_dot_q6_K_q8_1PKvPK10block_q8_1RKiEEEvS2_S2_PT_PS6_iiii,@function
_ZL9moe_vec_qIfLi256ELi32E10block_q6_KLi1EXadL_ZL17vec_dot_q6_K_q8_1PKvPK10block_q8_1RKiEEEvS2_S2_PT_PS6_iiii: ; @_ZL9moe_vec_qIfLi256ELi32E10block_q6_KLi1EXadL_ZL17vec_dot_q6_K_q8_1PKvPK10block_q8_1RKiEEEvS2_S2_PT_PS6_iiii
; %bb.0:
	s_mov_b32 s8, s7
	s_clause 0x1
	s_load_dword s7, s[4:5], 0x3c
	s_load_dwordx4 s[0:3], s[4:5], 0x20
	s_waitcnt lgkmcnt(0)
	s_lshr_b32 s7, s7, 16
	v_mad_u64_u32 v[1:2], null, s6, s7, v[1:2]
	s_mov_b32 s6, exec_lo
	v_cmpx_gt_u32_e64 s2, v1
	s_cbranch_execz .LBB246_7
; %bb.1:
	s_load_dwordx2 s[10:11], s[4:5], 0x10
	s_ashr_i32 s6, s1, 31
	v_lshrrev_b32_e32 v4, 5, v0
	s_lshr_b32 s6, s6, 24
	v_mov_b32_e32 v6, 0
	s_add_i32 s1, s1, s6
	s_ashr_i32 s12, s1, 8
	s_mov_b32 s1, exec_lo
	v_cmpx_gt_u32_e64 s12, v4
	s_cbranch_execz .LBB246_5
; %bb.2:
	s_load_dwordx2 s[6:7], s[4:5], 0x18
	s_mov_b32 s9, 0
	v_cvt_f32_u32_e32 v2, s0
	s_lshl_b64 s[14:15], s[8:9], 2
	v_and_b32_e32 v9, 7, v0
	v_mul_lo_u32 v5, v1, s12
	v_mov_b32_e32 v6, 0
	v_rcp_iflag_f32_e32 v2, v2
	v_mul_f32_e32 v2, 0x4f7ffffe, v2
	s_waitcnt lgkmcnt(0)
	s_add_u32 s6, s6, s14
	s_addc_u32 s7, s7, s15
	v_cvt_u32_f32_e32 v2, v2
	s_load_dword s13, s[6:7], 0x0
	s_load_dwordx4 s[4:7], s[4:5], 0x0
	s_mul_i32 s14, s12, s2
	s_waitcnt lgkmcnt(0)
	s_mul_i32 s13, s14, s13
	v_readfirstlane_b32 s14, v2
	s_mul_i32 s15, s13, 0xd2
	s_mul_hi_i32 s13, s13, 0xd2
	s_add_u32 s4, s4, s15
	s_addc_u32 s5, s5, s13
	s_sub_i32 s13, 0, s0
	v_and_b32_e32 v2, 31, v0
	s_mul_i32 s13, s13, s14
	s_mov_b32 s15, s9
	s_mul_hi_u32 s13, s14, s13
	s_add_i32 s14, s14, s13
	v_add_nc_u32_e32 v3, 0xf0, v2
	s_mul_hi_u32 s13, s8, s14
	v_cmp_lt_u32_e32 vcc_lo, 15, v2
	s_mul_i32 s14, s13, s0
	s_add_i32 s16, s13, 1
	s_sub_i32 s14, s8, s14
	v_lshlrev_b32_e32 v7, 2, v2
	s_sub_i32 s17, s14, s0
	s_cmp_ge_u32 s14, s0
	v_cndmask_b32_e64 v11, 0, 8, vcc_lo
	s_cselect_b32 s13, s16, s13
	s_cselect_b32 s14, s17, s14
	s_add_i32 s16, s13, 1
	s_cmp_ge_u32 s14, s0
	v_cmp_gt_u32_e64 s0, 16, v2
	v_or_b32_e32 v12, v11, v9
	v_lshlrev_b32_e32 v9, 2, v9
	v_cndmask_b32_e64 v10, v3, v2, s0
	s_cselect_b32 s0, s16, s13
	v_cndmask_b32_e64 v2, 0, 4, vcc_lo
	s_mul_i32 s14, s0, s3
	v_and_b32_e32 v8, 0xf8, v10
	s_lshl_b64 s[14:15], s[14:15], 2
	s_add_u32 s6, s6, s14
	s_addc_u32 s7, s7, s15
	v_cmp_ne_u32_e32 vcc_lo, 0, v8
	v_mad_u64_u32 v[2:3], null, v2, 36, s[6:7]
	v_lshlrev_b32_e32 v8, 2, v12
	v_bfe_u32 v12, v10, 2, 6
	v_cndmask_b32_e64 v13, 0, 1, vcc_lo
	v_cndmask_b32_e64 v10, 0, 2, vcc_lo
	v_add_nc_u32_e32 v11, v12, v11
	v_mad_u64_u32 v[2:3], null, v13, 36, v[2:3]
	v_lshlrev_b32_e32 v12, 3, v4
.LBB246_3:                              ; =>This Inner Loop Header: Depth=1
	v_add_nc_u32_e32 v13, v5, v4
	v_add_nc_u32_e32 v4, 1, v4
	v_mad_i64_i32 v[13:14], null, 0xd2, v13, s[4:5]
	v_add_co_u32 v15, vcc_lo, v13, v8
	v_add_co_ci_u32_e64 v16, null, 0, v14, vcc_lo
	v_add_co_u32 v17, vcc_lo, v13, v7
	v_add_co_ci_u32_e64 v18, null, 0, v14, vcc_lo
	s_clause 0x1
	global_load_dword v21, v[15:16], off offset:128
	global_load_dword v22, v[17:18], off
	v_mad_i64_i32 v[15:16], null, v12, 36, v[2:3]
	v_add_nc_u32_e32 v12, 8, v12
	v_add_co_u32 v17, vcc_lo, v15, v9
	v_add_co_ci_u32_e64 v18, null, 0, v16, vcc_lo
	v_add_co_u32 v19, vcc_lo, v13, v11
	v_add_co_ci_u32_e64 v20, null, 0, v14, vcc_lo
	s_clause 0x1
	global_load_dword v23, v[17:18], off offset:4
	global_load_dword v17, v[17:18], off offset:76
	s_clause 0x1
	global_load_sbyte v18, v[19:20], off offset:192
	global_load_sbyte v19, v[19:20], off offset:196
	s_clause 0x1
	global_load_dword v20, v[15:16], off
	global_load_dword v15, v[15:16], off offset:72
	global_load_ushort v13, v[13:14], off offset:208
	v_cmp_le_u32_e32 vcc_lo, s12, v4
	s_or_b32 s9, vcc_lo, s9
	s_waitcnt vmcnt(8)
	v_ashrrev_i32_e32 v14, v10, v21
	s_waitcnt vmcnt(7)
	v_and_b32_e32 v16, 0xf0f0f0f, v22
	v_lshrrev_b32_e32 v21, 4, v22
	v_lshlrev_b32_e32 v22, 4, v14
	v_and_b32_e32 v21, 0xf0f0f0f, v21
	v_and_or_b32 v16, 0x30303030, v22, v16
	v_and_or_b32 v14, 0x30303030, v14, v21
	v_lshrrev_b32_e32 v21, 16, v16
	v_and_b32_e32 v25, 0x3f00, v16
	v_lshrrev_b32_e32 v22, 16, v14
	v_lshlrev_b16 v16, 8, v16
	v_lshlrev_b16 v27, 8, v14
	;; [unrolled: 1-line block ×3, first 2 shown]
	v_and_b32_e32 v21, 0x3f00, v21
	v_lshlrev_b16 v26, 8, v22
	v_add_nc_u16 v16, 0xe000, v16
	v_and_b32_e32 v22, 0x3f00, v22
	v_add_nc_u16 v24, 0xe000, v24
	v_and_b32_e32 v14, 0x3f00, v14
	v_add_nc_u16 v26, 0xe000, v26
	v_or_b32_sdwa v16, v25, v16 dst_sel:DWORD dst_unused:UNUSED_PAD src0_sel:DWORD src1_sel:BYTE_1
	v_or_b32_sdwa v21, v21, v24 dst_sel:DWORD dst_unused:UNUSED_PAD src0_sel:DWORD src1_sel:BYTE_1
	v_add_nc_u16 v24, 0xe000, v27
	v_or_b32_sdwa v22, v22, v26 dst_sel:DWORD dst_unused:UNUSED_PAD src0_sel:DWORD src1_sel:BYTE_1
	v_add_nc_u16 v16, 0xe000, v16
	v_add_nc_u16 v21, 0xe000, v21
	v_or_b32_sdwa v14, v14, v24 dst_sel:DWORD dst_unused:UNUSED_PAD src0_sel:DWORD src1_sel:BYTE_1
	v_add_nc_u16 v22, 0xe000, v22
	v_mov_b32_e32 v24, 0
	v_lshlrev_b32_e32 v21, 16, v21
	v_add_nc_u16 v14, 0xe000, v14
	v_lshlrev_b32_e32 v22, 16, v22
	v_or_b32_sdwa v16, v16, v21 dst_sel:DWORD dst_unused:UNUSED_PAD src0_sel:WORD_0 src1_sel:DWORD
	v_mov_b32_e32 v21, 0
	v_or_b32_sdwa v14, v14, v22 dst_sel:DWORD dst_unused:UNUSED_PAD src0_sel:WORD_0 src1_sel:DWORD
	s_waitcnt vmcnt(6)
	v_dot4c_i32_i8 v24, v16, v23
	s_waitcnt vmcnt(5)
	v_dot4c_i32_i8 v21, v14, v17
	s_waitcnt vmcnt(4)
	v_mul_lo_u32 v14, v24, v18
	s_waitcnt vmcnt(3)
	v_mul_lo_u32 v16, v21, v19
	v_cvt_f32_i32_e32 v14, v14
	v_cvt_f32_i32_e32 v16, v16
	s_waitcnt vmcnt(2)
	v_fma_mix_f32 v14, v20, v14, 0 op_sel_hi:[1,0,0]
	s_waitcnt vmcnt(1)
	v_fma_mix_f32 v14, v15, v16, v14 op_sel_hi:[1,0,0]
	;; [unrolled: 2-line block ×3, first 2 shown]
	s_andn2_b32 exec_lo, exec_lo, s9
	s_cbranch_execnz .LBB246_3
; %bb.4:
	s_or_b32 exec_lo, exec_lo, s9
.LBB246_5:
	s_or_b32 exec_lo, exec_lo, s1
	v_mbcnt_lo_u32_b32 v2, -1, 0
	v_xor_b32_e32 v3, 16, v2
	v_xor_b32_e32 v4, 8, v2
	;; [unrolled: 1-line block ×3, first 2 shown]
	v_cmp_gt_i32_e32 vcc_lo, 32, v3
	v_cndmask_b32_e32 v3, v2, v3, vcc_lo
	v_cmp_gt_i32_e32 vcc_lo, 32, v4
	v_lshlrev_b32_e32 v3, 2, v3
	v_cndmask_b32_e32 v4, v2, v4, vcc_lo
	v_cmp_gt_i32_e32 vcc_lo, 32, v5
	ds_bpermute_b32 v3, v3, v6
	v_lshlrev_b32_e32 v4, 2, v4
	v_cndmask_b32_e32 v5, v2, v5, vcc_lo
	v_lshlrev_b32_e32 v5, 2, v5
	s_waitcnt lgkmcnt(0)
	v_add_f32_e32 v3, v6, v3
	ds_bpermute_b32 v4, v4, v3
	s_waitcnt lgkmcnt(0)
	v_add_f32_e32 v3, v3, v4
	ds_bpermute_b32 v4, v5, v3
	v_xor_b32_e32 v5, 2, v2
	v_cmp_gt_i32_e32 vcc_lo, 32, v5
	v_cndmask_b32_e32 v5, v2, v5, vcc_lo
	v_lshlrev_b32_e32 v5, 2, v5
	s_waitcnt lgkmcnt(0)
	v_add_f32_e32 v3, v3, v4
	ds_bpermute_b32 v4, v5, v3
	v_xor_b32_e32 v5, 1, v2
	v_cmp_gt_i32_e32 vcc_lo, 32, v5
	v_cndmask_b32_e32 v5, v2, v5, vcc_lo
	v_cmp_eq_u32_e32 vcc_lo, 0, v0
	s_waitcnt lgkmcnt(0)
	v_add_f32_e32 v2, v3, v4
	v_lshlrev_b32_e32 v3, 2, v5
	ds_bpermute_b32 v3, v3, v2
	s_and_b32 exec_lo, exec_lo, vcc_lo
	s_cbranch_execz .LBB246_7
; %bb.6:
	v_mad_u64_u32 v[0:1], null, s2, s8, v[1:2]
	v_mov_b32_e32 v1, 0
	s_waitcnt lgkmcnt(0)
	v_add_f32_e32 v2, v2, v3
	v_lshlrev_b64 v[0:1], 2, v[0:1]
	v_add_co_u32 v0, vcc_lo, s10, v0
	v_add_co_ci_u32_e64 v1, null, s11, v1, vcc_lo
	global_store_dword v[0:1], v2, off
.LBB246_7:
	s_endpgm
	.section	.rodata,"a",@progbits
	.p2align	6, 0x0
	.amdhsa_kernel _ZL9moe_vec_qIfLi256ELi32E10block_q6_KLi1EXadL_ZL17vec_dot_q6_K_q8_1PKvPK10block_q8_1RKiEEEvS2_S2_PT_PS6_iiii
		.amdhsa_group_segment_fixed_size 0
		.amdhsa_private_segment_fixed_size 0
		.amdhsa_kernarg_size 304
		.amdhsa_user_sgpr_count 6
		.amdhsa_user_sgpr_private_segment_buffer 1
		.amdhsa_user_sgpr_dispatch_ptr 0
		.amdhsa_user_sgpr_queue_ptr 0
		.amdhsa_user_sgpr_kernarg_segment_ptr 1
		.amdhsa_user_sgpr_dispatch_id 0
		.amdhsa_user_sgpr_flat_scratch_init 0
		.amdhsa_user_sgpr_private_segment_size 0
		.amdhsa_wavefront_size32 1
		.amdhsa_uses_dynamic_stack 0
		.amdhsa_system_sgpr_private_segment_wavefront_offset 0
		.amdhsa_system_sgpr_workgroup_id_x 1
		.amdhsa_system_sgpr_workgroup_id_y 0
		.amdhsa_system_sgpr_workgroup_id_z 1
		.amdhsa_system_sgpr_workgroup_info 0
		.amdhsa_system_vgpr_workitem_id 1
		.amdhsa_next_free_vgpr 28
		.amdhsa_next_free_sgpr 18
		.amdhsa_reserve_vcc 1
		.amdhsa_reserve_flat_scratch 0
		.amdhsa_float_round_mode_32 0
		.amdhsa_float_round_mode_16_64 0
		.amdhsa_float_denorm_mode_32 3
		.amdhsa_float_denorm_mode_16_64 3
		.amdhsa_dx10_clamp 1
		.amdhsa_ieee_mode 1
		.amdhsa_fp16_overflow 0
		.amdhsa_workgroup_processor_mode 1
		.amdhsa_memory_ordered 1
		.amdhsa_forward_progress 1
		.amdhsa_shared_vgpr_count 0
		.amdhsa_exception_fp_ieee_invalid_op 0
		.amdhsa_exception_fp_denorm_src 0
		.amdhsa_exception_fp_ieee_div_zero 0
		.amdhsa_exception_fp_ieee_overflow 0
		.amdhsa_exception_fp_ieee_underflow 0
		.amdhsa_exception_fp_ieee_inexact 0
		.amdhsa_exception_int_div_zero 0
	.end_amdhsa_kernel
	.section	.text._ZL9moe_vec_qIfLi256ELi32E10block_q6_KLi1EXadL_ZL17vec_dot_q6_K_q8_1PKvPK10block_q8_1RKiEEEvS2_S2_PT_PS6_iiii,"axG",@progbits,_ZL9moe_vec_qIfLi256ELi32E10block_q6_KLi1EXadL_ZL17vec_dot_q6_K_q8_1PKvPK10block_q8_1RKiEEEvS2_S2_PT_PS6_iiii,comdat
.Lfunc_end246:
	.size	_ZL9moe_vec_qIfLi256ELi32E10block_q6_KLi1EXadL_ZL17vec_dot_q6_K_q8_1PKvPK10block_q8_1RKiEEEvS2_S2_PT_PS6_iiii, .Lfunc_end246-_ZL9moe_vec_qIfLi256ELi32E10block_q6_KLi1EXadL_ZL17vec_dot_q6_K_q8_1PKvPK10block_q8_1RKiEEEvS2_S2_PT_PS6_iiii
                                        ; -- End function
	.set _ZL9moe_vec_qIfLi256ELi32E10block_q6_KLi1EXadL_ZL17vec_dot_q6_K_q8_1PKvPK10block_q8_1RKiEEEvS2_S2_PT_PS6_iiii.num_vgpr, 28
	.set _ZL9moe_vec_qIfLi256ELi32E10block_q6_KLi1EXadL_ZL17vec_dot_q6_K_q8_1PKvPK10block_q8_1RKiEEEvS2_S2_PT_PS6_iiii.num_agpr, 0
	.set _ZL9moe_vec_qIfLi256ELi32E10block_q6_KLi1EXadL_ZL17vec_dot_q6_K_q8_1PKvPK10block_q8_1RKiEEEvS2_S2_PT_PS6_iiii.numbered_sgpr, 18
	.set _ZL9moe_vec_qIfLi256ELi32E10block_q6_KLi1EXadL_ZL17vec_dot_q6_K_q8_1PKvPK10block_q8_1RKiEEEvS2_S2_PT_PS6_iiii.num_named_barrier, 0
	.set _ZL9moe_vec_qIfLi256ELi32E10block_q6_KLi1EXadL_ZL17vec_dot_q6_K_q8_1PKvPK10block_q8_1RKiEEEvS2_S2_PT_PS6_iiii.private_seg_size, 0
	.set _ZL9moe_vec_qIfLi256ELi32E10block_q6_KLi1EXadL_ZL17vec_dot_q6_K_q8_1PKvPK10block_q8_1RKiEEEvS2_S2_PT_PS6_iiii.uses_vcc, 1
	.set _ZL9moe_vec_qIfLi256ELi32E10block_q6_KLi1EXadL_ZL17vec_dot_q6_K_q8_1PKvPK10block_q8_1RKiEEEvS2_S2_PT_PS6_iiii.uses_flat_scratch, 0
	.set _ZL9moe_vec_qIfLi256ELi32E10block_q6_KLi1EXadL_ZL17vec_dot_q6_K_q8_1PKvPK10block_q8_1RKiEEEvS2_S2_PT_PS6_iiii.has_dyn_sized_stack, 0
	.set _ZL9moe_vec_qIfLi256ELi32E10block_q6_KLi1EXadL_ZL17vec_dot_q6_K_q8_1PKvPK10block_q8_1RKiEEEvS2_S2_PT_PS6_iiii.has_recursion, 0
	.set _ZL9moe_vec_qIfLi256ELi32E10block_q6_KLi1EXadL_ZL17vec_dot_q6_K_q8_1PKvPK10block_q8_1RKiEEEvS2_S2_PT_PS6_iiii.has_indirect_call, 0
	.section	.AMDGPU.csdata,"",@progbits
; Kernel info:
; codeLenInByte = 1240
; TotalNumSgprs: 20
; NumVgprs: 28
; ScratchSize: 0
; MemoryBound: 0
; FloatMode: 240
; IeeeMode: 1
; LDSByteSize: 0 bytes/workgroup (compile time only)
; SGPRBlocks: 0
; VGPRBlocks: 3
; NumSGPRsForWavesPerEU: 20
; NumVGPRsForWavesPerEU: 28
; Occupancy: 16
; WaveLimiterHint : 1
; COMPUTE_PGM_RSRC2:SCRATCH_EN: 0
; COMPUTE_PGM_RSRC2:USER_SGPR: 6
; COMPUTE_PGM_RSRC2:TRAP_HANDLER: 0
; COMPUTE_PGM_RSRC2:TGID_X_EN: 1
; COMPUTE_PGM_RSRC2:TGID_Y_EN: 0
; COMPUTE_PGM_RSRC2:TGID_Z_EN: 1
; COMPUTE_PGM_RSRC2:TIDIG_COMP_CNT: 1
	.section	.text._ZL9moe_vec_qIfLi256ELi8E13block_iq2_xxsLi1EXadL_ZL20vec_dot_iq2_xxs_q8_1PKvPK10block_q8_1RKiEEEvS2_S2_PT_PS6_iiii,"axG",@progbits,_ZL9moe_vec_qIfLi256ELi8E13block_iq2_xxsLi1EXadL_ZL20vec_dot_iq2_xxs_q8_1PKvPK10block_q8_1RKiEEEvS2_S2_PT_PS6_iiii,comdat
	.globl	_ZL9moe_vec_qIfLi256ELi8E13block_iq2_xxsLi1EXadL_ZL20vec_dot_iq2_xxs_q8_1PKvPK10block_q8_1RKiEEEvS2_S2_PT_PS6_iiii ; -- Begin function _ZL9moe_vec_qIfLi256ELi8E13block_iq2_xxsLi1EXadL_ZL20vec_dot_iq2_xxs_q8_1PKvPK10block_q8_1RKiEEEvS2_S2_PT_PS6_iiii
	.p2align	8
	.type	_ZL9moe_vec_qIfLi256ELi8E13block_iq2_xxsLi1EXadL_ZL20vec_dot_iq2_xxs_q8_1PKvPK10block_q8_1RKiEEEvS2_S2_PT_PS6_iiii,@function
_ZL9moe_vec_qIfLi256ELi8E13block_iq2_xxsLi1EXadL_ZL20vec_dot_iq2_xxs_q8_1PKvPK10block_q8_1RKiEEEvS2_S2_PT_PS6_iiii: ; @_ZL9moe_vec_qIfLi256ELi8E13block_iq2_xxsLi1EXadL_ZL20vec_dot_iq2_xxs_q8_1PKvPK10block_q8_1RKiEEEvS2_S2_PT_PS6_iiii
; %bb.0:
	s_clause 0x1
	s_load_dword s0, s[4:5], 0x3c
	s_load_dwordx4 s[8:11], s[4:5], 0x20
	s_waitcnt lgkmcnt(0)
	s_lshr_b32 s0, s0, 16
	v_mad_u64_u32 v[1:2], null, s6, s0, v[1:2]
	s_mov_b32 s0, exec_lo
	v_cmpx_gt_u32_e64 s10, v1
	s_cbranch_execz .LBB247_7
; %bb.1:
	s_load_dwordx2 s[14:15], s[4:5], 0x10
	s_ashr_i32 s0, s9, 31
	v_lshrrev_b32_e32 v4, 3, v0
	s_lshr_b32 s0, s0, 24
	v_mov_b32_e32 v5, 0
	s_add_i32 s0, s9, s0
	s_mov_b32 s12, s7
	s_ashr_i32 s18, s0, 8
	s_mov_b32 s9, exec_lo
	v_cmpx_gt_u32_e64 s18, v4
	s_cbranch_execz .LBB247_5
; %bb.2:
	s_load_dwordx2 s[0:1], s[4:5], 0x18
	s_mov_b32 s13, 0
	v_cvt_f32_u32_e32 v2, s8
	s_lshl_b64 s[2:3], s[12:13], 2
	v_mul_lo_u32 v6, v1, s18
	v_mov_b32_e32 v5, 0
	v_lshlrev_b32_e32 v7, 3, v4
	v_rcp_iflag_f32_e32 v2, v2
	v_mov_b32_e32 v9, 3
	v_mul_f32_e32 v2, 0x4f7ffffe, v2
	s_waitcnt lgkmcnt(0)
	s_add_u32 s0, s0, s2
	s_addc_u32 s1, s1, s3
	v_cvt_u32_f32_e32 v2, v2
	s_load_dword s6, s[0:1], 0x0
	s_load_dwordx4 s[0:3], s[4:5], 0x0
	s_mul_i32 s4, s18, s10
	v_readfirstlane_b32 s5, v2
	v_and_b32_e32 v2, 7, v0
	v_lshlrev_b32_e32 v8, 2, v2
	v_lshlrev_b32_e32 v8, 1, v8
	s_waitcnt lgkmcnt(0)
	s_mul_i32 s4, s4, s6
	s_mul_i32 s6, s4, 0x42
	s_mul_hi_i32 s4, s4, 0x42
	s_add_u32 s16, s0, s6
	s_addc_u32 s17, s1, s4
	s_sub_i32 s0, 0, s8
	s_mul_i32 s0, s0, s5
	s_mul_hi_u32 s0, s5, s0
	s_add_i32 s5, s5, s0
	s_mul_hi_u32 s0, s12, s5
	s_mul_i32 s1, s0, s8
	s_add_i32 s4, s0, 1
	s_sub_i32 s1, s12, s1
	s_sub_i32 s5, s1, s8
	s_cmp_ge_u32 s1, s8
	s_cselect_b32 s0, s4, s0
	s_cselect_b32 s1, s5, s1
	s_add_i32 s4, s0, 1
	s_cmp_ge_u32 s1, s8
	s_mov_b32 s1, s13
	s_cselect_b32 s0, s4, s0
	s_mul_i32 s0, s0, s11
	s_lshl_b64 s[0:1], s[0:1], 2
	s_add_u32 s0, s2, s0
	s_addc_u32 s1, s3, s1
	v_mad_u64_u32 v[2:3], null, v2, 36, s[0:1]
.LBB247_3:                              ; =>This Inner Loop Header: Depth=1
	v_add_nc_u32_e32 v10, v6, v4
	v_mad_i64_i32 v[20:21], null, v7, 36, v[2:3]
	s_getpc_b64 s[0:1]
	s_add_u32 s0, s0, _ZL11iq2xxs_grid@rel32@lo+4
	s_addc_u32 s1, s1, _ZL11iq2xxs_grid@rel32@hi+12
	s_getpc_b64 s[2:3]
	s_add_u32 s2, s2, _ZL12ksigns_iq2xs@rel32@lo+4
	s_addc_u32 s3, s3, _ZL12ksigns_iq2xs@rel32@hi+12
	v_mad_i64_i32 v[18:19], null, 0x42, v10, s[16:17]
	v_add_nc_u32_e32 v4, 4, v4
	v_add_nc_u32_e32 v7, 32, v7
	v_add_co_u32 v10, vcc_lo, v18, v8
	v_add_co_ci_u32_e64 v11, null, 0, v19, vcc_lo
	s_clause 0x1
	global_load_dword v22, v[10:11], off offset:2
	global_load_dword v28, v[10:11], off offset:6
	s_clause 0x1
	global_load_dwordx4 v[10:13], v[20:21], off offset:4
	global_load_dwordx4 v[14:17], v[20:21], off offset:20
	global_load_ushort v29, v[18:19], off
	s_waitcnt vmcnt(4)
	v_lshlrev_b32_sdwa v18, v9, v22 dst_sel:DWORD dst_unused:UNUSED_PAD src0_sel:DWORD src1_sel:BYTE_0
	s_waitcnt vmcnt(3)
	v_and_b32_e32 v30, 0x7f, v28
	v_bfe_u32 v31, v28, 7, 7
	v_lshlrev_b32_sdwa v23, v9, v22 dst_sel:DWORD dst_unused:UNUSED_PAD src0_sel:DWORD src1_sel:BYTE_1
	v_lshlrev_b32_sdwa v24, v9, v22 dst_sel:DWORD dst_unused:UNUSED_PAD src0_sel:DWORD src1_sel:BYTE_2
	v_bfe_u32 v32, v28, 14, 7
	v_lshlrev_b32_sdwa v26, v9, v22 dst_sel:DWORD dst_unused:UNUSED_PAD src0_sel:DWORD src1_sel:BYTE_3
	v_bfe_u32 v33, v28, 21, 7
	global_load_sbyte v34, v30, s[2:3]
	global_load_dwordx2 v[18:19], v18, s[0:1]
	global_load_sbyte v35, v31, s[2:3]
	global_load_dwordx2 v[22:23], v23, s[0:1]
	;; [unrolled: 2-line block ×4, first 2 shown]
	global_load_ushort v20, v[20:21], off
	v_lshrrev_b32_e32 v21, 28, v28
	s_waitcnt vmcnt(9)
	v_cvt_f32_f16_e32 v28, v29
	v_cvt_f32_ubyte0_e32 v21, v21
	v_add_f32_e32 v21, 0.5, v21
	v_mul_f32_e32 v21, v21, v28
	s_waitcnt vmcnt(8)
	v_and_b32_e32 v29, 1, v34
	s_waitcnt vmcnt(7)
	v_mul_i32_i24_sdwa v28, v18, sext(v10) dst_sel:DWORD dst_unused:UNUSED_PAD src0_sel:BYTE_0 src1_sel:BYTE_0
	v_mul_i32_i24_sdwa v38, v18, sext(v10) dst_sel:DWORD dst_unused:UNUSED_PAD src0_sel:BYTE_1 src1_sel:BYTE_1
	v_and_b32_e32 v39, 2, v34
	v_mul_i32_i24_sdwa v40, v18, sext(v10) dst_sel:DWORD dst_unused:UNUSED_PAD src0_sel:BYTE_2 src1_sel:BYTE_2
	v_and_b32_e32 v41, 4, v34
	v_mul_i32_i24_sdwa v10, v18, sext(v10) dst_sel:DWORD dst_unused:UNUSED_PAD src0_sel:BYTE_3 src1_sel:BYTE_3
	v_and_b32_e32 v18, 8, v34
	v_sub_nc_u32_e32 v61, 0, v28
	v_cmp_eq_u16_e32 vcc_lo, 0, v29
	v_sub_nc_u32_e32 v29, 0, v38
	v_cmp_eq_u16_e64 s0, 0, v39
	v_sub_nc_u32_e32 v39, 0, v40
	v_cmp_eq_u16_e64 s1, 0, v41
	;; [unrolled: 2-line block ×3, first 2 shown]
	v_cndmask_b32_e32 v28, v61, v28, vcc_lo
	v_cndmask_b32_e64 v29, v29, v38, s0
	v_mul_i32_i24_sdwa v42, v19, sext(v11) dst_sel:DWORD dst_unused:UNUSED_PAD src0_sel:BYTE_0 src1_sel:BYTE_0
	v_and_b32_e32 v43, 16, v34
	v_mul_i32_i24_sdwa v44, v19, sext(v11) dst_sel:DWORD dst_unused:UNUSED_PAD src0_sel:BYTE_1 src1_sel:BYTE_1
	v_mul_i32_i24_sdwa v45, v19, sext(v11) dst_sel:DWORD dst_unused:UNUSED_PAD src0_sel:BYTE_2 src1_sel:BYTE_2
	v_mul_i32_i24_sdwa v11, v19, sext(v11) dst_sel:DWORD dst_unused:UNUSED_PAD src0_sel:BYTE_3 src1_sel:BYTE_3
	s_waitcnt vmcnt(5)
	v_mul_i32_i24_sdwa v19, v22, sext(v12) dst_sel:DWORD dst_unused:UNUSED_PAD src0_sel:BYTE_0 src1_sel:BYTE_0
	v_mul_i32_i24_sdwa v46, v22, sext(v12) dst_sel:DWORD dst_unused:UNUSED_PAD src0_sel:BYTE_1 src1_sel:BYTE_1
	v_mul_i32_i24_sdwa v47, v22, sext(v12) dst_sel:DWORD dst_unused:UNUSED_PAD src0_sel:BYTE_2 src1_sel:BYTE_2
	v_mul_i32_i24_sdwa v12, v22, sext(v12) dst_sel:DWORD dst_unused:UNUSED_PAD src0_sel:BYTE_3 src1_sel:BYTE_3
	v_mul_i32_i24_sdwa v22, v23, sext(v13) dst_sel:DWORD dst_unused:UNUSED_PAD src0_sel:BYTE_0 src1_sel:BYTE_0
	v_mul_i32_i24_sdwa v48, v23, sext(v13) dst_sel:DWORD dst_unused:UNUSED_PAD src0_sel:BYTE_1 src1_sel:BYTE_1
	v_mul_i32_i24_sdwa v49, v23, sext(v13) dst_sel:DWORD dst_unused:UNUSED_PAD src0_sel:BYTE_2 src1_sel:BYTE_2
	v_mul_i32_i24_sdwa v13, v23, sext(v13) dst_sel:DWORD dst_unused:UNUSED_PAD src0_sel:BYTE_3 src1_sel:BYTE_3
	s_waitcnt vmcnt(3)
	v_mul_i32_i24_sdwa v23, v24, sext(v14) dst_sel:DWORD dst_unused:UNUSED_PAD src0_sel:BYTE_0 src1_sel:BYTE_0
	v_mul_i32_i24_sdwa v50, v24, sext(v14) dst_sel:DWORD dst_unused:UNUSED_PAD src0_sel:BYTE_1 src1_sel:BYTE_1
	v_mul_i32_i24_sdwa v51, v24, sext(v14) dst_sel:DWORD dst_unused:UNUSED_PAD src0_sel:BYTE_2 src1_sel:BYTE_2
	v_mul_i32_i24_sdwa v14, v24, sext(v14) dst_sel:DWORD dst_unused:UNUSED_PAD src0_sel:BYTE_3 src1_sel:BYTE_3
	v_mul_i32_i24_sdwa v24, v25, sext(v15) dst_sel:DWORD dst_unused:UNUSED_PAD src0_sel:BYTE_0 src1_sel:BYTE_0
	;; [unrolled: 9-line block ×3, first 2 shown]
	v_mul_i32_i24_sdwa v56, v27, sext(v17) dst_sel:DWORD dst_unused:UNUSED_PAD src0_sel:BYTE_1 src1_sel:BYTE_1
	v_mul_i32_i24_sdwa v57, v27, sext(v17) dst_sel:DWORD dst_unused:UNUSED_PAD src0_sel:BYTE_2 src1_sel:BYTE_2
	v_mul_i32_i24_sdwa v17, v27, sext(v17) dst_sel:DWORD dst_unused:UNUSED_PAD src0_sel:BYTE_3 src1_sel:BYTE_3
	v_and_b32_e32 v27, 32, v34
	v_cndmask_b32_e64 v39, v39, v40, s1
	v_cndmask_b32_e64 v10, v41, v10, s2
	v_add_nc_u32_e32 v28, v29, v28
	v_cmp_eq_u16_e32 vcc_lo, 0, v43
	v_sub_nc_u32_e32 v43, 0, v44
	v_cmp_eq_u16_e64 s0, 0, v27
	v_and_b32_e32 v58, 1, v35
	v_add3_u32 v10, v28, v39, v10
	v_sub_nc_u32_e32 v39, 0, v42
	v_and_b32_e32 v59, 2, v35
	v_cndmask_b32_e64 v43, v43, v44, s0
	v_cmp_gt_i16_e64 s0, 0, v34
	v_and_b32_e32 v60, 4, v35
	v_cndmask_b32_e32 v39, v39, v42, vcc_lo
	v_cmp_gt_u32_e32 vcc_lo, 64, v30
	v_sub_nc_u32_e32 v30, 0, v11
	v_and_b32_e32 v18, 8, v35
	v_and_b32_e32 v61, 16, v35
	v_add3_u32 v10, v10, v39, v43
	v_sub_nc_u32_e32 v43, 0, v45
	v_cndmask_b32_e64 v11, v11, v30, s0
	v_cmp_eq_u16_e64 s0, 0, v59
	v_and_b32_e32 v38, 32, v35
	v_and_b32_e32 v41, 2, v36
	v_cndmask_b32_e32 v43, v43, v45, vcc_lo
	v_cmp_eq_u16_e32 vcc_lo, 0, v58
	v_sub_nc_u32_e32 v58, 0, v46
	v_sub_nc_u32_e32 v59, 0, v47
	v_cmp_eq_u16_e64 s1, 0, v60
	v_add3_u32 v10, v10, v43, v11
	v_sub_nc_u32_e32 v43, 0, v19
	v_sub_nc_u32_e32 v60, 0, v12
	v_cmp_eq_u16_e64 s2, 0, v18
	v_cndmask_b32_e64 v46, v58, v46, s0
	v_sub_nc_u32_e32 v18, 0, v48
	v_cndmask_b32_e32 v19, v43, v19, vcc_lo
	v_cmp_eq_u16_e64 s3, 0, v38
	v_cmp_eq_u16_e64 s5, 0, v41
	v_sub_nc_u32_e32 v41, 0, v22
	v_cndmask_b32_e64 v47, v59, v47, s1
	v_add3_u32 v10, v10, v19, v46
	v_cndmask_b32_e64 v12, v60, v12, s2
	v_cmp_eq_u16_e64 s1, 0, v61
	v_and_b32_e32 v40, 1, v36
	v_sub_nc_u32_e32 v38, 0, v13
	v_cmp_gt_i16_e64 s4, 0, v35
	v_sub_nc_u32_e32 v43, 0, v49
	v_cndmask_b32_e64 v22, v41, v22, s1
	v_cndmask_b32_e64 v18, v18, v48, s3
	v_add3_u32 v10, v10, v47, v12
	v_cmp_gt_u32_e64 s1, 64, v31
	v_and_b32_e32 v29, 4, v36
	v_and_b32_e32 v28, 8, v36
	v_sub_nc_u32_e32 v35, 0, v50
	v_sub_nc_u32_e32 v58, 0, v23
	v_cndmask_b32_e64 v31, v43, v49, s1
	v_cndmask_b32_e64 v13, v13, v38, s4
	v_add3_u32 v10, v10, v22, v18
	v_cmp_eq_u16_e64 s1, 0, v40
	v_and_b32_e32 v27, 16, v36
	v_and_b32_e32 v42, 32, v36
	;; [unrolled: 1-line block ×3, first 2 shown]
	v_sub_nc_u32_e32 v19, 0, v51
	v_sub_nc_u32_e32 v46, 0, v14
	v_cmp_eq_u16_e32 vcc_lo, 0, v28
	v_cndmask_b32_e64 v22, v58, v23, s1
	v_cndmask_b32_e64 v23, v35, v50, s5
	v_add3_u32 v10, v10, v31, v13
	v_cmp_eq_u16_e64 s2, 0, v29
	v_sub_nc_u32_e32 v28, 0, v52
	v_cmp_eq_u16_e64 s0, 0, v42
	v_cmp_eq_u16_e64 s7, 0, v39
	v_sub_nc_u32_e32 v39, 0, v24
	v_cndmask_b32_e64 v13, v19, v51, s2
	v_cndmask_b32_e32 v14, v46, v14, vcc_lo
	v_add3_u32 v10, v10, v22, v23
	v_cmp_eq_u16_e32 vcc_lo, 0, v27
	v_and_b32_e32 v44, 1, v37
	v_sub_nc_u32_e32 v42, 0, v15
	v_cmp_gt_i16_e64 s6, 0, v36
	v_sub_nc_u32_e32 v59, 0, v53
	v_cndmask_b32_e32 v22, v39, v24, vcc_lo
	v_cndmask_b32_e64 v23, v28, v52, s0
	v_add3_u32 v10, v10, v13, v14
	v_cmp_gt_u32_e32 vcc_lo, 64, v32
	v_and_b32_e32 v34, 4, v37
	v_and_b32_e32 v45, 8, v37
	v_and_b32_e32 v11, 32, v37
	v_sub_nc_u32_e32 v36, 0, v54
	v_sub_nc_u32_e32 v60, 0, v25
	v_cndmask_b32_e32 v14, v59, v53, vcc_lo
	v_cndmask_b32_e64 v15, v15, v42, s6
	v_add3_u32 v10, v10, v22, v23
	v_cmp_eq_u16_e64 s0, 0, v44
	v_and_b32_e32 v30, 16, v37
	v_sub_nc_u32_e32 v12, 0, v55
	v_sub_nc_u32_e32 v18, 0, v16
	v_cmp_eq_u16_e64 s1, 0, v45
	v_cmp_eq_u16_e32 vcc_lo, 0, v11
	v_cndmask_b32_e64 v11, v60, v25, s0
	v_cndmask_b32_e64 v22, v36, v54, s7
	v_add3_u32 v10, v10, v14, v15
	v_cmp_eq_u16_e64 s0, 0, v34
	v_sub_nc_u32_e32 v19, 0, v26
	v_sub_nc_u32_e32 v13, 0, v56
	v_cndmask_b32_e64 v15, v18, v16, s1
	v_add3_u32 v10, v10, v11, v22
	v_cndmask_b32_e64 v12, v12, v55, s0
	v_cmp_eq_u16_e64 s0, 0, v30
	v_sub_nc_u32_e32 v14, 0, v57
	v_sub_nc_u32_e32 v11, 0, v17
	v_cndmask_b32_e32 v13, v13, v56, vcc_lo
	v_add3_u32 v10, v10, v12, v15
	v_cndmask_b32_e64 v16, v19, v26, s0
	v_cmp_gt_i16_e32 vcc_lo, 0, v37
	v_cmp_gt_u32_e64 s0, 64, v33
	s_waitcnt vmcnt(0)
	v_cvt_f32_f16_e32 v20, v20
	v_add3_u32 v10, v10, v16, v13
	v_cndmask_b32_e32 v11, v17, v11, vcc_lo
	v_cndmask_b32_e64 v12, v14, v57, s0
	v_mul_f32_e32 v13, v21, v20
	v_cmp_le_u32_e32 vcc_lo, s18, v4
	v_add3_u32 v10, v10, v12, v11
	v_mul_f32_e32 v11, 0x3e800000, v13
	s_or_b32 s13, vcc_lo, s13
	v_cvt_f32_i32_e32 v10, v10
	v_fmac_f32_e32 v5, v11, v10
	s_andn2_b32 exec_lo, exec_lo, s13
	s_cbranch_execnz .LBB247_3
; %bb.4:
	s_or_b32 exec_lo, exec_lo, s13
.LBB247_5:
	s_or_b32 exec_lo, exec_lo, s9
	v_mbcnt_lo_u32_b32 v2, -1, 0
	v_xor_b32_e32 v3, 16, v2
	v_xor_b32_e32 v4, 8, v2
	v_cmp_gt_i32_e32 vcc_lo, 32, v3
	v_cndmask_b32_e32 v3, v2, v3, vcc_lo
	v_cmp_gt_i32_e32 vcc_lo, 32, v4
	v_lshlrev_b32_e32 v3, 2, v3
	v_cndmask_b32_e32 v4, v2, v4, vcc_lo
	ds_bpermute_b32 v3, v3, v5
	v_lshlrev_b32_e32 v4, 2, v4
	s_waitcnt lgkmcnt(0)
	v_add_f32_e32 v3, v5, v3
	v_xor_b32_e32 v5, 4, v2
	ds_bpermute_b32 v4, v4, v3
	v_cmp_gt_i32_e32 vcc_lo, 32, v5
	v_cndmask_b32_e32 v5, v2, v5, vcc_lo
	v_lshlrev_b32_e32 v5, 2, v5
	s_waitcnt lgkmcnt(0)
	v_add_f32_e32 v3, v3, v4
	ds_bpermute_b32 v4, v5, v3
	v_xor_b32_e32 v5, 2, v2
	v_cmp_gt_i32_e32 vcc_lo, 32, v5
	v_cndmask_b32_e32 v5, v2, v5, vcc_lo
	v_lshlrev_b32_e32 v5, 2, v5
	s_waitcnt lgkmcnt(0)
	v_add_f32_e32 v3, v3, v4
	ds_bpermute_b32 v4, v5, v3
	v_xor_b32_e32 v5, 1, v2
	v_cmp_gt_i32_e32 vcc_lo, 32, v5
	v_cndmask_b32_e32 v5, v2, v5, vcc_lo
	v_cmp_eq_u32_e32 vcc_lo, 0, v0
	s_waitcnt lgkmcnt(0)
	v_add_f32_e32 v2, v3, v4
	v_lshlrev_b32_e32 v3, 2, v5
	ds_bpermute_b32 v3, v3, v2
	s_and_b32 exec_lo, exec_lo, vcc_lo
	s_cbranch_execz .LBB247_7
; %bb.6:
	v_mad_u64_u32 v[0:1], null, s10, s12, v[1:2]
	v_mov_b32_e32 v1, 0
	s_waitcnt lgkmcnt(0)
	v_add_f32_e32 v2, v2, v3
	v_lshlrev_b64 v[0:1], 2, v[0:1]
	v_add_co_u32 v0, vcc_lo, s14, v0
	v_add_co_ci_u32_e64 v1, null, s15, v1, vcc_lo
	global_store_dword v[0:1], v2, off
.LBB247_7:
	s_endpgm
	.section	.rodata,"a",@progbits
	.p2align	6, 0x0
	.amdhsa_kernel _ZL9moe_vec_qIfLi256ELi8E13block_iq2_xxsLi1EXadL_ZL20vec_dot_iq2_xxs_q8_1PKvPK10block_q8_1RKiEEEvS2_S2_PT_PS6_iiii
		.amdhsa_group_segment_fixed_size 0
		.amdhsa_private_segment_fixed_size 0
		.amdhsa_kernarg_size 304
		.amdhsa_user_sgpr_count 6
		.amdhsa_user_sgpr_private_segment_buffer 1
		.amdhsa_user_sgpr_dispatch_ptr 0
		.amdhsa_user_sgpr_queue_ptr 0
		.amdhsa_user_sgpr_kernarg_segment_ptr 1
		.amdhsa_user_sgpr_dispatch_id 0
		.amdhsa_user_sgpr_flat_scratch_init 0
		.amdhsa_user_sgpr_private_segment_size 0
		.amdhsa_wavefront_size32 1
		.amdhsa_uses_dynamic_stack 0
		.amdhsa_system_sgpr_private_segment_wavefront_offset 0
		.amdhsa_system_sgpr_workgroup_id_x 1
		.amdhsa_system_sgpr_workgroup_id_y 0
		.amdhsa_system_sgpr_workgroup_id_z 1
		.amdhsa_system_sgpr_workgroup_info 0
		.amdhsa_system_vgpr_workitem_id 1
		.amdhsa_next_free_vgpr 62
		.amdhsa_next_free_sgpr 19
		.amdhsa_reserve_vcc 1
		.amdhsa_reserve_flat_scratch 0
		.amdhsa_float_round_mode_32 0
		.amdhsa_float_round_mode_16_64 0
		.amdhsa_float_denorm_mode_32 3
		.amdhsa_float_denorm_mode_16_64 3
		.amdhsa_dx10_clamp 1
		.amdhsa_ieee_mode 1
		.amdhsa_fp16_overflow 0
		.amdhsa_workgroup_processor_mode 1
		.amdhsa_memory_ordered 1
		.amdhsa_forward_progress 1
		.amdhsa_shared_vgpr_count 0
		.amdhsa_exception_fp_ieee_invalid_op 0
		.amdhsa_exception_fp_denorm_src 0
		.amdhsa_exception_fp_ieee_div_zero 0
		.amdhsa_exception_fp_ieee_overflow 0
		.amdhsa_exception_fp_ieee_underflow 0
		.amdhsa_exception_fp_ieee_inexact 0
		.amdhsa_exception_int_div_zero 0
	.end_amdhsa_kernel
	.section	.text._ZL9moe_vec_qIfLi256ELi8E13block_iq2_xxsLi1EXadL_ZL20vec_dot_iq2_xxs_q8_1PKvPK10block_q8_1RKiEEEvS2_S2_PT_PS6_iiii,"axG",@progbits,_ZL9moe_vec_qIfLi256ELi8E13block_iq2_xxsLi1EXadL_ZL20vec_dot_iq2_xxs_q8_1PKvPK10block_q8_1RKiEEEvS2_S2_PT_PS6_iiii,comdat
.Lfunc_end247:
	.size	_ZL9moe_vec_qIfLi256ELi8E13block_iq2_xxsLi1EXadL_ZL20vec_dot_iq2_xxs_q8_1PKvPK10block_q8_1RKiEEEvS2_S2_PT_PS6_iiii, .Lfunc_end247-_ZL9moe_vec_qIfLi256ELi8E13block_iq2_xxsLi1EXadL_ZL20vec_dot_iq2_xxs_q8_1PKvPK10block_q8_1RKiEEEvS2_S2_PT_PS6_iiii
                                        ; -- End function
	.set _ZL9moe_vec_qIfLi256ELi8E13block_iq2_xxsLi1EXadL_ZL20vec_dot_iq2_xxs_q8_1PKvPK10block_q8_1RKiEEEvS2_S2_PT_PS6_iiii.num_vgpr, 62
	.set _ZL9moe_vec_qIfLi256ELi8E13block_iq2_xxsLi1EXadL_ZL20vec_dot_iq2_xxs_q8_1PKvPK10block_q8_1RKiEEEvS2_S2_PT_PS6_iiii.num_agpr, 0
	.set _ZL9moe_vec_qIfLi256ELi8E13block_iq2_xxsLi1EXadL_ZL20vec_dot_iq2_xxs_q8_1PKvPK10block_q8_1RKiEEEvS2_S2_PT_PS6_iiii.numbered_sgpr, 19
	.set _ZL9moe_vec_qIfLi256ELi8E13block_iq2_xxsLi1EXadL_ZL20vec_dot_iq2_xxs_q8_1PKvPK10block_q8_1RKiEEEvS2_S2_PT_PS6_iiii.num_named_barrier, 0
	.set _ZL9moe_vec_qIfLi256ELi8E13block_iq2_xxsLi1EXadL_ZL20vec_dot_iq2_xxs_q8_1PKvPK10block_q8_1RKiEEEvS2_S2_PT_PS6_iiii.private_seg_size, 0
	.set _ZL9moe_vec_qIfLi256ELi8E13block_iq2_xxsLi1EXadL_ZL20vec_dot_iq2_xxs_q8_1PKvPK10block_q8_1RKiEEEvS2_S2_PT_PS6_iiii.uses_vcc, 1
	.set _ZL9moe_vec_qIfLi256ELi8E13block_iq2_xxsLi1EXadL_ZL20vec_dot_iq2_xxs_q8_1PKvPK10block_q8_1RKiEEEvS2_S2_PT_PS6_iiii.uses_flat_scratch, 0
	.set _ZL9moe_vec_qIfLi256ELi8E13block_iq2_xxsLi1EXadL_ZL20vec_dot_iq2_xxs_q8_1PKvPK10block_q8_1RKiEEEvS2_S2_PT_PS6_iiii.has_dyn_sized_stack, 0
	.set _ZL9moe_vec_qIfLi256ELi8E13block_iq2_xxsLi1EXadL_ZL20vec_dot_iq2_xxs_q8_1PKvPK10block_q8_1RKiEEEvS2_S2_PT_PS6_iiii.has_recursion, 0
	.set _ZL9moe_vec_qIfLi256ELi8E13block_iq2_xxsLi1EXadL_ZL20vec_dot_iq2_xxs_q8_1PKvPK10block_q8_1RKiEEEvS2_S2_PT_PS6_iiii.has_indirect_call, 0
	.section	.AMDGPU.csdata,"",@progbits
; Kernel info:
; codeLenInByte = 1976
; TotalNumSgprs: 21
; NumVgprs: 62
; ScratchSize: 0
; MemoryBound: 0
; FloatMode: 240
; IeeeMode: 1
; LDSByteSize: 0 bytes/workgroup (compile time only)
; SGPRBlocks: 0
; VGPRBlocks: 7
; NumSGPRsForWavesPerEU: 21
; NumVGPRsForWavesPerEU: 62
; Occupancy: 16
; WaveLimiterHint : 1
; COMPUTE_PGM_RSRC2:SCRATCH_EN: 0
; COMPUTE_PGM_RSRC2:USER_SGPR: 6
; COMPUTE_PGM_RSRC2:TRAP_HANDLER: 0
; COMPUTE_PGM_RSRC2:TGID_X_EN: 1
; COMPUTE_PGM_RSRC2:TGID_Y_EN: 0
; COMPUTE_PGM_RSRC2:TGID_Z_EN: 1
; COMPUTE_PGM_RSRC2:TIDIG_COMP_CNT: 1
	.section	.text._ZL9moe_vec_qIfLi256ELi8E12block_iq2_xsLi1EXadL_ZL19vec_dot_iq2_xs_q8_1PKvPK10block_q8_1RKiEEEvS2_S2_PT_PS6_iiii,"axG",@progbits,_ZL9moe_vec_qIfLi256ELi8E12block_iq2_xsLi1EXadL_ZL19vec_dot_iq2_xs_q8_1PKvPK10block_q8_1RKiEEEvS2_S2_PT_PS6_iiii,comdat
	.globl	_ZL9moe_vec_qIfLi256ELi8E12block_iq2_xsLi1EXadL_ZL19vec_dot_iq2_xs_q8_1PKvPK10block_q8_1RKiEEEvS2_S2_PT_PS6_iiii ; -- Begin function _ZL9moe_vec_qIfLi256ELi8E12block_iq2_xsLi1EXadL_ZL19vec_dot_iq2_xs_q8_1PKvPK10block_q8_1RKiEEEvS2_S2_PT_PS6_iiii
	.p2align	8
	.type	_ZL9moe_vec_qIfLi256ELi8E12block_iq2_xsLi1EXadL_ZL19vec_dot_iq2_xs_q8_1PKvPK10block_q8_1RKiEEEvS2_S2_PT_PS6_iiii,@function
_ZL9moe_vec_qIfLi256ELi8E12block_iq2_xsLi1EXadL_ZL19vec_dot_iq2_xs_q8_1PKvPK10block_q8_1RKiEEEvS2_S2_PT_PS6_iiii: ; @_ZL9moe_vec_qIfLi256ELi8E12block_iq2_xsLi1EXadL_ZL19vec_dot_iq2_xs_q8_1PKvPK10block_q8_1RKiEEEvS2_S2_PT_PS6_iiii
; %bb.0:
	s_clause 0x1
	s_load_dword s0, s[4:5], 0x3c
	s_load_dwordx4 s[24:27], s[4:5], 0x20
	s_waitcnt lgkmcnt(0)
	s_lshr_b32 s0, s0, 16
	v_mad_u64_u32 v[9:10], null, s6, s0, v[1:2]
	s_mov_b32 s0, exec_lo
	v_cmpx_gt_u32_e64 s26, v9
	s_cbranch_execz .LBB248_7
; %bb.1:
	s_load_dwordx2 s[30:31], s[4:5], 0x10
	s_ashr_i32 s0, s25, 31
	v_lshrrev_b32_e32 v16, 3, v0
	s_lshr_b32 s0, s0, 24
	v_mov_b32_e32 v17, 0
	s_add_i32 s0, s25, s0
	s_mov_b32 s28, s7
	s_ashr_i32 s25, s0, 8
	s_mov_b32 s23, exec_lo
	v_cmpx_gt_u32_e64 s25, v16
	s_cbranch_execz .LBB248_5
; %bb.2:
	s_load_dwordx2 s[0:1], s[4:5], 0x18
	s_mov_b32 s29, 0
	v_cvt_f32_u32_e32 v1, s24
	s_lshl_b64 s[2:3], s[28:29], 2
	v_and_b32_e32 v18, 7, v0
	v_mul_lo_u32 v19, v9, s25
	v_mov_b32_e32 v20, 0
	v_rcp_iflag_f32_e32 v1, v1
	v_lshlrev_b32_e32 v21, 3, v16
	v_mov_b32_e32 v17, 0
	v_mul_f32_e32 v1, 0x4f7ffffe, v1
	s_waitcnt lgkmcnt(0)
	s_add_u32 s0, s0, s2
	s_addc_u32 s1, s1, s3
	v_cvt_u32_f32_e32 v1, v1
	s_load_dword s6, s[0:1], 0x0
	s_load_dwordx4 s[0:3], s[4:5], 0x0
	s_mul_i32 s4, s25, s26
	v_readfirstlane_b32 s5, v1
	v_lshlrev_b32_e32 v1, 2, v18
	v_lshlrev_b32_e32 v22, 1, v1
	s_waitcnt lgkmcnt(0)
	s_mul_i32 s4, s4, s6
	s_mul_i32 s6, s4, 0x4a
	s_mul_hi_i32 s4, s4, 0x4a
	s_add_u32 s34, s0, s6
	s_addc_u32 s35, s1, s4
	s_sub_i32 s0, 0, s24
	s_mul_i32 s0, s0, s5
	s_mul_hi_u32 s0, s5, s0
	s_add_i32 s5, s5, s0
	s_mul_hi_u32 s0, s28, s5
	s_mul_i32 s1, s0, s24
	s_add_i32 s4, s0, 1
	s_sub_i32 s1, s28, s1
	s_sub_i32 s5, s1, s24
	s_cmp_ge_u32 s1, s24
	s_cselect_b32 s0, s4, s0
	s_cselect_b32 s1, s5, s1
	s_add_i32 s4, s0, 1
	s_cmp_ge_u32 s1, s24
	s_mov_b32 s1, s29
	s_cselect_b32 s0, s4, s0
	s_mul_i32 s0, s0, s27
	s_lshl_b64 s[0:1], s[0:1], 2
	s_add_u32 s0, s2, s0
	s_addc_u32 s1, s3, s1
	v_mad_u64_u32 v[10:11], null, v18, 36, s[0:1]
.LBB248_3:                              ; =>This Inner Loop Header: Depth=1
	v_add_nc_u32_e32 v1, v19, v16
	v_mad_i64_i32 v[12:13], null, v21, 36, v[10:11]
	s_getpc_b64 s[0:1]
	s_add_u32 s0, s0, _ZL10iq2xs_grid@rel32@lo+4
	s_addc_u32 s1, s1, _ZL10iq2xs_grid@rel32@hi+12
	s_getpc_b64 s[14:15]
	s_add_u32 s14, s14, _ZL12ksigns_iq2xs@rel32@lo+4
	s_addc_u32 s15, s15, _ZL12ksigns_iq2xs@rel32@hi+12
	v_mad_i64_i32 v[14:15], null, 0x4a, v1, s[34:35]
	v_add_nc_u32_e32 v16, 4, v16
	s_clause 0x2
	global_load_dwordx4 v[1:4], v[12:13], off offset:20
	global_load_dwordx4 v[5:8], v[12:13], off offset:4
	global_load_ushort v23, v[12:13], off
	v_add_nc_u32_e32 v21, 32, v21
	v_add_co_u32 v12, vcc_lo, v14, v22
	v_add_co_ci_u32_e64 v13, null, 0, v15, vcc_lo
	v_add_co_u32 v24, vcc_lo, v14, v18
	v_add_co_ci_u32_e64 v25, null, 0, v15, vcc_lo
	s_clause 0x2
	global_load_dwordx2 v[12:13], v[12:13], off offset:2
	global_load_ubyte v24, v[24:25], off offset:66
	global_load_ushort v14, v[14:15], off
	s_waitcnt vmcnt(3)
	v_cvt_f32_f16_e32 v23, v23
	s_waitcnt vmcnt(2)
	v_and_b32_e32 v15, 0x1ff, v12
	v_lshrrev_b32_e32 v25, 13, v12
	v_bfe_u32 v27, v13, 9, 7
	v_bfe_u32 v29, v12, 9, 7
	v_and_b32_e32 v26, 0x1ff, v13
	v_lshrrev_b32_e32 v28, 13, v13
	v_lshrrev_b32_e32 v30, 25, v12
	v_lshlrev_b32_e32 v31, 3, v15
	s_clause 0x1
	global_load_sbyte v33, v27, s[14:15]
	global_load_sbyte v15, v29, s[14:15]
	v_and_b32_e32 v27, 0xff8, v25
	v_lshlrev_b32_e32 v29, 3, v26
	v_and_b32_e32 v32, 0xff8, v28
	global_load_sbyte v34, v30, s[14:15]
	s_clause 0x3
	global_load_dwordx2 v[25:26], v31, s[0:1]
	global_load_dwordx2 v[27:28], v27, s[0:1]
	;; [unrolled: 1-line block ×4, first 2 shown]
	s_waitcnt vmcnt(6)
	v_and_b32_e32 v35, 1, v33
	v_and_b32_e32 v36, 2, v33
	s_waitcnt vmcnt(3)
	v_mul_i32_i24_sdwa v41, v25, sext(v5) dst_sel:DWORD dst_unused:UNUSED_PAD src0_sel:BYTE_0 src1_sel:BYTE_0
	v_mul_i32_i24_sdwa v42, v25, sext(v5) dst_sel:DWORD dst_unused:UNUSED_PAD src0_sel:BYTE_1 src1_sel:BYTE_1
	v_mul_i32_i24_sdwa v43, v25, sext(v5) dst_sel:DWORD dst_unused:UNUSED_PAD src0_sel:BYTE_2 src1_sel:BYTE_2
	v_mul_i32_i24_sdwa v5, v25, sext(v5) dst_sel:DWORD dst_unused:UNUSED_PAD src0_sel:BYTE_3 src1_sel:BYTE_3
	v_mul_i32_i24_sdwa v25, v26, sext(v6) dst_sel:DWORD dst_unused:UNUSED_PAD src0_sel:BYTE_0 src1_sel:BYTE_0
	v_mul_i32_i24_sdwa v44, v26, sext(v6) dst_sel:DWORD dst_unused:UNUSED_PAD src0_sel:BYTE_1 src1_sel:BYTE_1
	v_mul_i32_i24_sdwa v45, v26, sext(v6) dst_sel:DWORD dst_unused:UNUSED_PAD src0_sel:BYTE_2 src1_sel:BYTE_2
	v_mul_i32_i24_sdwa v6, v26, sext(v6) dst_sel:DWORD dst_unused:UNUSED_PAD src0_sel:BYTE_3 src1_sel:BYTE_3
	s_waitcnt vmcnt(2)
	v_mul_i32_i24_sdwa v26, v27, sext(v7) dst_sel:DWORD dst_unused:UNUSED_PAD src0_sel:BYTE_0 src1_sel:BYTE_0
	v_mul_i32_i24_sdwa v46, v27, sext(v7) dst_sel:DWORD dst_unused:UNUSED_PAD src0_sel:BYTE_1 src1_sel:BYTE_1
	v_mul_i32_i24_sdwa v47, v27, sext(v7) dst_sel:DWORD dst_unused:UNUSED_PAD src0_sel:BYTE_2 src1_sel:BYTE_2
	v_mul_i32_i24_sdwa v7, v27, sext(v7) dst_sel:DWORD dst_unused:UNUSED_PAD src0_sel:BYTE_3 src1_sel:BYTE_3
	v_mul_i32_i24_sdwa v27, v28, sext(v8) dst_sel:DWORD dst_unused:UNUSED_PAD src0_sel:BYTE_0 src1_sel:BYTE_0
	v_mul_i32_i24_sdwa v48, v28, sext(v8) dst_sel:DWORD dst_unused:UNUSED_PAD src0_sel:BYTE_1 src1_sel:BYTE_1
	v_mul_i32_i24_sdwa v49, v28, sext(v8) dst_sel:DWORD dst_unused:UNUSED_PAD src0_sel:BYTE_2 src1_sel:BYTE_2
	v_mul_i32_i24_sdwa v8, v28, sext(v8) dst_sel:DWORD dst_unused:UNUSED_PAD src0_sel:BYTE_3 src1_sel:BYTE_3
	s_waitcnt vmcnt(1)
	v_mul_i32_i24_sdwa v28, v29, sext(v1) dst_sel:DWORD dst_unused:UNUSED_PAD src0_sel:BYTE_0 src1_sel:BYTE_0
	v_mul_i32_i24_sdwa v50, v29, sext(v1) dst_sel:DWORD dst_unused:UNUSED_PAD src0_sel:BYTE_1 src1_sel:BYTE_1
	v_and_b32_e32 v38, 4, v33
	v_and_b32_e32 v39, 8, v33
	v_mul_i32_i24_sdwa v51, v29, sext(v1) dst_sel:DWORD dst_unused:UNUSED_PAD src0_sel:BYTE_2 src1_sel:BYTE_2
	v_mul_i32_i24_sdwa v1, v29, sext(v1) dst_sel:DWORD dst_unused:UNUSED_PAD src0_sel:BYTE_3 src1_sel:BYTE_3
	v_sub_nc_u32_e32 v61, 0, v28
	v_cmp_eq_u16_e32 vcc_lo, 0, v35
	v_sub_nc_u32_e32 v35, 0, v50
	v_cmp_eq_u16_e64 s0, 0, v36
	v_sub_nc_u32_e32 v36, 0, v51
	v_cmp_eq_u16_e64 s1, 0, v38
	;; [unrolled: 2-line block ×3, first 2 shown]
	v_cndmask_b32_e32 v28, v61, v28, vcc_lo
	v_cndmask_b32_e64 v35, v35, v50, s0
	v_cndmask_b32_e64 v36, v36, v51, s1
	v_and_b32_e32 v37, 2, v15
	v_cndmask_b32_e64 v1, v38, v1, s2
	v_and_b32_e32 v40, 4, v15
	v_add_nc_u32_e32 v28, v35, v28
	v_mul_i32_i24_sdwa v29, v30, sext(v2) dst_sel:DWORD dst_unused:UNUSED_PAD src0_sel:BYTE_0 src1_sel:BYTE_0
	v_mul_i32_i24_sdwa v52, v30, sext(v2) dst_sel:DWORD dst_unused:UNUSED_PAD src0_sel:BYTE_1 src1_sel:BYTE_1
	v_mul_i32_i24_sdwa v53, v30, sext(v2) dst_sel:DWORD dst_unused:UNUSED_PAD src0_sel:BYTE_2 src1_sel:BYTE_2
	v_mul_i32_i24_sdwa v2, v30, sext(v2) dst_sel:DWORD dst_unused:UNUSED_PAD src0_sel:BYTE_3 src1_sel:BYTE_3
	v_add3_u32 v1, v28, v36, v1
	v_and_b32_e32 v28, 32, v33
	s_waitcnt vmcnt(0)
	v_mul_i32_i24_sdwa v30, v31, sext(v3) dst_sel:DWORD dst_unused:UNUSED_PAD src0_sel:BYTE_0 src1_sel:BYTE_0
	v_mul_i32_i24_sdwa v54, v31, sext(v3) dst_sel:DWORD dst_unused:UNUSED_PAD src0_sel:BYTE_1 src1_sel:BYTE_1
	v_mul_i32_i24_sdwa v55, v31, sext(v3) dst_sel:DWORD dst_unused:UNUSED_PAD src0_sel:BYTE_2 src1_sel:BYTE_2
	v_mul_i32_i24_sdwa v3, v31, sext(v3) dst_sel:DWORD dst_unused:UNUSED_PAD src0_sel:BYTE_3 src1_sel:BYTE_3
	v_cmp_eq_u16_e64 s13, 0, v28
	v_lshrrev_b32_e32 v28, 25, v13
	v_mul_i32_i24_sdwa v31, v32, sext(v4) dst_sel:DWORD dst_unused:UNUSED_PAD src0_sel:BYTE_0 src1_sel:BYTE_0
	v_mul_i32_i24_sdwa v56, v32, sext(v4) dst_sel:DWORD dst_unused:UNUSED_PAD src0_sel:BYTE_1 src1_sel:BYTE_1
	v_mul_i32_i24_sdwa v57, v32, sext(v4) dst_sel:DWORD dst_unused:UNUSED_PAD src0_sel:BYTE_2 src1_sel:BYTE_2
	v_mul_i32_i24_sdwa v4, v32, sext(v4) dst_sel:DWORD dst_unused:UNUSED_PAD src0_sel:BYTE_3 src1_sel:BYTE_3
	global_load_sbyte v28, v28, s[14:15]
	v_and_b32_e32 v32, 8, v15
	v_and_b32_e32 v58, 16, v15
	;; [unrolled: 1-line block ×3, first 2 shown]
	v_cmp_gt_i16_e64 s21, 0, v15
	v_and_b32_e32 v15, 1, v15
	v_and_b32_e32 v38, 32, v34
	;; [unrolled: 1-line block ×3, first 2 shown]
	v_sub_nc_u32_e32 v36, 0, v42
	v_cmp_eq_u16_e32 vcc_lo, 0, v37
	v_cmp_eq_u16_e64 s0, 0, v40
	v_sub_nc_u32_e32 v40, 0, v5
	v_cmp_eq_u16_e64 s1, 0, v32
	v_sub_nc_u32_e32 v69, 0, v41
	v_cmp_eq_u16_e64 s22, 0, v15
	v_and_b32_e32 v39, 2, v34
	v_sub_nc_u32_e32 v37, 0, v43
	v_cmp_eq_u16_e64 s11, 0, v38
	v_sub_nc_u32_e32 v38, 0, v29
	v_cmp_eq_u16_e64 s12, 0, v35
	v_sub_nc_u32_e32 v35, 0, v52
	v_cndmask_b32_e64 v15, v69, v41, s22
	v_cndmask_b32_e32 v36, v36, v42, vcc_lo
	v_cndmask_b32_e64 v5, v40, v5, s1
	v_sub_nc_u32_e32 v40, 0, v45
	v_cmp_gt_i16_e32 vcc_lo, 0, v12
	v_sub_nc_u32_e32 v32, 0, v25
	v_cmp_eq_u16_e64 s2, 0, v58
	v_sub_nc_u32_e32 v58, 0, v44
	v_cmp_eq_u16_e64 s3, 0, v59
	v_cmp_eq_u16_e64 s6, 0, v39
	v_sub_nc_u32_e32 v39, 0, v2
	v_cmp_gt_i16_e64 s7, 0, v33
	v_cndmask_b32_e64 v37, v37, v43, s0
	v_cndmask_b32_e32 v40, v45, v40, vcc_lo
	v_cndmask_b32_e64 v29, v38, v29, s12
	v_sub_nc_u32_e32 v38, 0, v53
	v_cmp_gt_i16_e32 vcc_lo, 0, v13
	v_cndmask_b32_e64 v35, v35, v52, s13
	v_cmp_lt_i16_sdwa s0, v13, v20 src0_sel:WORD_1 src1_sel:DWORD
	v_add_nc_u32_e32 v13, v36, v15
	v_and_b32_e32 v60, 1, v34
	v_and_b32_e32 v61, 4, v34
	;; [unrolled: 1-line block ×3, first 2 shown]
	v_sub_nc_u32_e32 v63, 0, v30
	v_sub_nc_u32_e32 v64, 0, v54
	v_cndmask_b32_e64 v25, v32, v25, s2
	v_cndmask_b32_e64 v32, v58, v44, s3
	v_cndmask_b32_e32 v36, v53, v38, vcc_lo
	v_cndmask_b32_e64 v2, v2, v39, s7
	v_add3_u32 v5, v13, v37, v5
	v_add3_u32 v1, v1, v29, v35
	v_and_b32_e32 v51, 16, v34
	v_sub_nc_u32_e32 v59, 0, v26
	v_cmp_eq_u16_e64 s4, 0, v60
	v_cmp_gt_i16_e64 s5, 0, v34
	v_sub_nc_u32_e32 v34, 0, v46
	v_cmp_eq_u16_e64 s8, 0, v61
	v_sub_nc_u32_e32 v61, 0, v7
	v_cmp_eq_u16_e64 s9, 0, v50
	v_sub_nc_u32_e32 v65, 0, v55
	v_sub_nc_u32_e32 v66, 0, v3
	v_add3_u32 v5, v5, v25, v32
	v_add3_u32 v1, v1, v36, v2
	v_sub_nc_u32_e32 v33, 0, v47
	v_sub_nc_u32_e32 v50, 0, v27
	v_cmp_eq_u16_e64 s10, 0, v51
	v_sub_nc_u32_e32 v67, 0, v31
	v_sub_nc_u32_e32 v68, 0, v56
	v_cndmask_b32_e64 v26, v59, v26, s4
	v_cndmask_b32_e64 v34, v34, v46, s6
	;; [unrolled: 1-line block ×3, first 2 shown]
	v_sub_nc_u32_e32 v51, 0, v48
	v_sub_nc_u32_e32 v41, 0, v57
	v_cndmask_b32_e64 v13, v33, v47, s8
	v_sub_nc_u32_e32 v60, 0, v8
	v_sub_nc_u32_e32 v15, 0, v49
	v_cmp_lt_i16_sdwa vcc_lo, v12, v20 src0_sel:WORD_1 src1_sel:DWORD
	v_cndmask_b32_e64 v8, v8, v60, s5
	s_waitcnt vmcnt(0)
	v_and_b32_e32 v62, 1, v28
	v_cmp_gt_i16_e64 s19, 0, v28
	v_cmp_eq_u16_e64 s14, 0, v62
	v_and_b32_e32 v62, 2, v28
	v_cndmask_b32_e64 v29, v63, v30, s14
	v_cmp_eq_u16_e64 s15, 0, v62
	v_and_b32_e32 v62, 4, v28
	v_cndmask_b32_e64 v30, v64, v54, s15
	v_cmp_eq_u16_e64 s16, 0, v62
	v_and_b32_e32 v62, 8, v28
	v_add3_u32 v1, v1, v29, v30
	v_cndmask_b32_e64 v7, v65, v55, s16
	v_cmp_eq_u16_e64 s17, 0, v62
	v_and_b32_e32 v62, 16, v28
	v_and_b32_e32 v28, 32, v28
	v_cndmask_b32_e64 v3, v66, v3, s17
	v_cmp_eq_u16_e64 s18, 0, v62
	v_cmp_eq_u16_e64 s20, 0, v28
	v_sub_nc_u32_e32 v28, 0, v6
	v_sub_nc_u32_e32 v62, 0, v4
	v_add3_u32 v1, v1, v7, v3
	v_cndmask_b32_e64 v25, v67, v31, s18
	v_cndmask_b32_e64 v3, v51, v48, s11
	v_cndmask_b32_e64 v6, v6, v28, s21
	v_lshrrev_b16 v28, 4, v24
	v_cndmask_b32_e64 v7, v57, v41, s0
	v_cndmask_b32_e64 v4, v4, v62, s19
	v_and_b32_e32 v24, 15, v24
	v_add3_u32 v5, v5, v40, v6
	v_cndmask_b32_e64 v6, v50, v27, s10
	v_cndmask_b32_e64 v27, v68, v56, s20
	v_cvt_f32_ubyte0_e32 v28, v28
	v_add3_u32 v5, v5, v26, v34
	v_add3_u32 v1, v1, v25, v27
	;; [unrolled: 1-line block ×3, first 2 shown]
	v_cndmask_b32_e32 v5, v49, v15, vcc_lo
	v_add3_u32 v1, v1, v7, v4
	v_cvt_f32_ubyte0_e32 v4, v24
	v_cmp_le_u32_e32 vcc_lo, s25, v16
	v_add3_u32 v2, v2, v6, v3
	v_cvt_f32_f16_e32 v3, v14
	v_add_f32_e32 v6, 0.5, v28
	v_cvt_f32_i32_e32 v1, v1
	v_add_f32_e32 v4, 0.5, v4
	v_add3_u32 v2, v2, v5, v8
	v_mul_f32_e32 v3, v3, v23
	s_or_b32 s29, vcc_lo, s29
	v_mul_f32_e32 v1, v6, v1
	v_cvt_f32_i32_e32 v2, v2
	v_mul_f32_e32 v3, 0x3e800000, v3
	v_fmac_f32_e32 v1, v4, v2
	v_fmac_f32_e32 v17, v3, v1
	s_andn2_b32 exec_lo, exec_lo, s29
	s_cbranch_execnz .LBB248_3
; %bb.4:
	s_or_b32 exec_lo, exec_lo, s29
.LBB248_5:
	s_or_b32 exec_lo, exec_lo, s23
	v_mbcnt_lo_u32_b32 v1, -1, 0
	v_xor_b32_e32 v2, 16, v1
	v_xor_b32_e32 v3, 8, v1
	;; [unrolled: 1-line block ×3, first 2 shown]
	v_cmp_gt_i32_e32 vcc_lo, 32, v2
	v_cndmask_b32_e32 v2, v1, v2, vcc_lo
	v_cmp_gt_i32_e32 vcc_lo, 32, v3
	v_lshlrev_b32_e32 v2, 2, v2
	v_cndmask_b32_e32 v3, v1, v3, vcc_lo
	v_cmp_gt_i32_e32 vcc_lo, 32, v4
	ds_bpermute_b32 v2, v2, v17
	v_lshlrev_b32_e32 v3, 2, v3
	v_cndmask_b32_e32 v4, v1, v4, vcc_lo
	v_lshlrev_b32_e32 v4, 2, v4
	s_waitcnt lgkmcnt(0)
	v_add_f32_e32 v2, v17, v2
	ds_bpermute_b32 v3, v3, v2
	s_waitcnt lgkmcnt(0)
	v_add_f32_e32 v2, v2, v3
	ds_bpermute_b32 v3, v4, v2
	v_xor_b32_e32 v4, 2, v1
	v_cmp_gt_i32_e32 vcc_lo, 32, v4
	v_cndmask_b32_e32 v4, v1, v4, vcc_lo
	v_lshlrev_b32_e32 v4, 2, v4
	s_waitcnt lgkmcnt(0)
	v_add_f32_e32 v2, v2, v3
	ds_bpermute_b32 v3, v4, v2
	v_xor_b32_e32 v4, 1, v1
	v_cmp_gt_i32_e32 vcc_lo, 32, v4
	v_cndmask_b32_e32 v4, v1, v4, vcc_lo
	v_cmp_eq_u32_e32 vcc_lo, 0, v0
	s_waitcnt lgkmcnt(0)
	v_add_f32_e32 v1, v2, v3
	v_lshlrev_b32_e32 v2, 2, v4
	ds_bpermute_b32 v2, v2, v1
	s_and_b32 exec_lo, exec_lo, vcc_lo
	s_cbranch_execz .LBB248_7
; %bb.6:
	v_mad_u64_u32 v[3:4], null, s26, s28, v[9:10]
	v_mov_b32_e32 v4, 0
	s_waitcnt lgkmcnt(0)
	v_add_f32_e32 v2, v1, v2
	v_lshlrev_b64 v[3:4], 2, v[3:4]
	v_add_co_u32 v0, vcc_lo, s30, v3
	v_add_co_ci_u32_e64 v1, null, s31, v4, vcc_lo
	global_store_dword v[0:1], v2, off
.LBB248_7:
	s_endpgm
	.section	.rodata,"a",@progbits
	.p2align	6, 0x0
	.amdhsa_kernel _ZL9moe_vec_qIfLi256ELi8E12block_iq2_xsLi1EXadL_ZL19vec_dot_iq2_xs_q8_1PKvPK10block_q8_1RKiEEEvS2_S2_PT_PS6_iiii
		.amdhsa_group_segment_fixed_size 0
		.amdhsa_private_segment_fixed_size 0
		.amdhsa_kernarg_size 304
		.amdhsa_user_sgpr_count 6
		.amdhsa_user_sgpr_private_segment_buffer 1
		.amdhsa_user_sgpr_dispatch_ptr 0
		.amdhsa_user_sgpr_queue_ptr 0
		.amdhsa_user_sgpr_kernarg_segment_ptr 1
		.amdhsa_user_sgpr_dispatch_id 0
		.amdhsa_user_sgpr_flat_scratch_init 0
		.amdhsa_user_sgpr_private_segment_size 0
		.amdhsa_wavefront_size32 1
		.amdhsa_uses_dynamic_stack 0
		.amdhsa_system_sgpr_private_segment_wavefront_offset 0
		.amdhsa_system_sgpr_workgroup_id_x 1
		.amdhsa_system_sgpr_workgroup_id_y 0
		.amdhsa_system_sgpr_workgroup_id_z 1
		.amdhsa_system_sgpr_workgroup_info 0
		.amdhsa_system_vgpr_workitem_id 1
		.amdhsa_next_free_vgpr 70
		.amdhsa_next_free_sgpr 36
		.amdhsa_reserve_vcc 1
		.amdhsa_reserve_flat_scratch 0
		.amdhsa_float_round_mode_32 0
		.amdhsa_float_round_mode_16_64 0
		.amdhsa_float_denorm_mode_32 3
		.amdhsa_float_denorm_mode_16_64 3
		.amdhsa_dx10_clamp 1
		.amdhsa_ieee_mode 1
		.amdhsa_fp16_overflow 0
		.amdhsa_workgroup_processor_mode 1
		.amdhsa_memory_ordered 1
		.amdhsa_forward_progress 1
		.amdhsa_shared_vgpr_count 0
		.amdhsa_exception_fp_ieee_invalid_op 0
		.amdhsa_exception_fp_denorm_src 0
		.amdhsa_exception_fp_ieee_div_zero 0
		.amdhsa_exception_fp_ieee_overflow 0
		.amdhsa_exception_fp_ieee_underflow 0
		.amdhsa_exception_fp_ieee_inexact 0
		.amdhsa_exception_int_div_zero 0
	.end_amdhsa_kernel
	.section	.text._ZL9moe_vec_qIfLi256ELi8E12block_iq2_xsLi1EXadL_ZL19vec_dot_iq2_xs_q8_1PKvPK10block_q8_1RKiEEEvS2_S2_PT_PS6_iiii,"axG",@progbits,_ZL9moe_vec_qIfLi256ELi8E12block_iq2_xsLi1EXadL_ZL19vec_dot_iq2_xs_q8_1PKvPK10block_q8_1RKiEEEvS2_S2_PT_PS6_iiii,comdat
.Lfunc_end248:
	.size	_ZL9moe_vec_qIfLi256ELi8E12block_iq2_xsLi1EXadL_ZL19vec_dot_iq2_xs_q8_1PKvPK10block_q8_1RKiEEEvS2_S2_PT_PS6_iiii, .Lfunc_end248-_ZL9moe_vec_qIfLi256ELi8E12block_iq2_xsLi1EXadL_ZL19vec_dot_iq2_xs_q8_1PKvPK10block_q8_1RKiEEEvS2_S2_PT_PS6_iiii
                                        ; -- End function
	.set _ZL9moe_vec_qIfLi256ELi8E12block_iq2_xsLi1EXadL_ZL19vec_dot_iq2_xs_q8_1PKvPK10block_q8_1RKiEEEvS2_S2_PT_PS6_iiii.num_vgpr, 70
	.set _ZL9moe_vec_qIfLi256ELi8E12block_iq2_xsLi1EXadL_ZL19vec_dot_iq2_xs_q8_1PKvPK10block_q8_1RKiEEEvS2_S2_PT_PS6_iiii.num_agpr, 0
	.set _ZL9moe_vec_qIfLi256ELi8E12block_iq2_xsLi1EXadL_ZL19vec_dot_iq2_xs_q8_1PKvPK10block_q8_1RKiEEEvS2_S2_PT_PS6_iiii.numbered_sgpr, 36
	.set _ZL9moe_vec_qIfLi256ELi8E12block_iq2_xsLi1EXadL_ZL19vec_dot_iq2_xs_q8_1PKvPK10block_q8_1RKiEEEvS2_S2_PT_PS6_iiii.num_named_barrier, 0
	.set _ZL9moe_vec_qIfLi256ELi8E12block_iq2_xsLi1EXadL_ZL19vec_dot_iq2_xs_q8_1PKvPK10block_q8_1RKiEEEvS2_S2_PT_PS6_iiii.private_seg_size, 0
	.set _ZL9moe_vec_qIfLi256ELi8E12block_iq2_xsLi1EXadL_ZL19vec_dot_iq2_xs_q8_1PKvPK10block_q8_1RKiEEEvS2_S2_PT_PS6_iiii.uses_vcc, 1
	.set _ZL9moe_vec_qIfLi256ELi8E12block_iq2_xsLi1EXadL_ZL19vec_dot_iq2_xs_q8_1PKvPK10block_q8_1RKiEEEvS2_S2_PT_PS6_iiii.uses_flat_scratch, 0
	.set _ZL9moe_vec_qIfLi256ELi8E12block_iq2_xsLi1EXadL_ZL19vec_dot_iq2_xs_q8_1PKvPK10block_q8_1RKiEEEvS2_S2_PT_PS6_iiii.has_dyn_sized_stack, 0
	.set _ZL9moe_vec_qIfLi256ELi8E12block_iq2_xsLi1EXadL_ZL19vec_dot_iq2_xs_q8_1PKvPK10block_q8_1RKiEEEvS2_S2_PT_PS6_iiii.has_recursion, 0
	.set _ZL9moe_vec_qIfLi256ELi8E12block_iq2_xsLi1EXadL_ZL19vec_dot_iq2_xs_q8_1PKvPK10block_q8_1RKiEEEvS2_S2_PT_PS6_iiii.has_indirect_call, 0
	.section	.AMDGPU.csdata,"",@progbits
; Kernel info:
; codeLenInByte = 2060
; TotalNumSgprs: 38
; NumVgprs: 70
; ScratchSize: 0
; MemoryBound: 0
; FloatMode: 240
; IeeeMode: 1
; LDSByteSize: 0 bytes/workgroup (compile time only)
; SGPRBlocks: 0
; VGPRBlocks: 8
; NumSGPRsForWavesPerEU: 38
; NumVGPRsForWavesPerEU: 70
; Occupancy: 12
; WaveLimiterHint : 1
; COMPUTE_PGM_RSRC2:SCRATCH_EN: 0
; COMPUTE_PGM_RSRC2:USER_SGPR: 6
; COMPUTE_PGM_RSRC2:TRAP_HANDLER: 0
; COMPUTE_PGM_RSRC2:TGID_X_EN: 1
; COMPUTE_PGM_RSRC2:TGID_Y_EN: 0
; COMPUTE_PGM_RSRC2:TGID_Z_EN: 1
; COMPUTE_PGM_RSRC2:TIDIG_COMP_CNT: 1
	.section	.text._ZL9moe_vec_qIfLi256ELi8E13block_iq3_xxsLi1EXadL_ZL20vec_dot_iq3_xxs_q8_1PKvPK10block_q8_1RKiEEEvS2_S2_PT_PS6_iiii,"axG",@progbits,_ZL9moe_vec_qIfLi256ELi8E13block_iq3_xxsLi1EXadL_ZL20vec_dot_iq3_xxs_q8_1PKvPK10block_q8_1RKiEEEvS2_S2_PT_PS6_iiii,comdat
	.globl	_ZL9moe_vec_qIfLi256ELi8E13block_iq3_xxsLi1EXadL_ZL20vec_dot_iq3_xxs_q8_1PKvPK10block_q8_1RKiEEEvS2_S2_PT_PS6_iiii ; -- Begin function _ZL9moe_vec_qIfLi256ELi8E13block_iq3_xxsLi1EXadL_ZL20vec_dot_iq3_xxs_q8_1PKvPK10block_q8_1RKiEEEvS2_S2_PT_PS6_iiii
	.p2align	8
	.type	_ZL9moe_vec_qIfLi256ELi8E13block_iq3_xxsLi1EXadL_ZL20vec_dot_iq3_xxs_q8_1PKvPK10block_q8_1RKiEEEvS2_S2_PT_PS6_iiii,@function
_ZL9moe_vec_qIfLi256ELi8E13block_iq3_xxsLi1EXadL_ZL20vec_dot_iq3_xxs_q8_1PKvPK10block_q8_1RKiEEEvS2_S2_PT_PS6_iiii: ; @_ZL9moe_vec_qIfLi256ELi8E13block_iq3_xxsLi1EXadL_ZL20vec_dot_iq3_xxs_q8_1PKvPK10block_q8_1RKiEEEvS2_S2_PT_PS6_iiii
; %bb.0:
	s_mov_b32 s8, s7
	s_clause 0x1
	s_load_dword s7, s[4:5], 0x3c
	s_load_dwordx4 s[0:3], s[4:5], 0x20
	s_waitcnt lgkmcnt(0)
	s_lshr_b32 s7, s7, 16
	v_mad_u64_u32 v[5:6], null, s6, s7, v[1:2]
	s_mov_b32 s6, exec_lo
	v_cmpx_gt_u32_e64 s2, v5
	s_cbranch_execz .LBB249_7
; %bb.1:
	s_load_dwordx2 s[10:11], s[4:5], 0x10
	s_ashr_i32 s6, s1, 31
	v_lshrrev_b32_e32 v8, 3, v0
	s_lshr_b32 s6, s6, 24
	v_mov_b32_e32 v9, 0
	s_add_i32 s1, s1, s6
	s_mov_b32 s12, exec_lo
	s_ashr_i32 s13, s1, 8
	v_cmpx_gt_u32_e64 s13, v8
	s_cbranch_execz .LBB249_5
; %bb.2:
	s_load_dwordx2 s[6:7], s[4:5], 0x18
	s_mov_b32 s9, 0
	v_cvt_f32_u32_e32 v1, s0
	s_lshl_b64 s[14:15], s[8:9], 2
	v_mul_lo_u32 v10, v5, s13
	v_mov_b32_e32 v9, 0
	v_lshlrev_b32_e32 v12, 3, v8
	v_rcp_iflag_f32_e32 v1, v1
	v_mov_b32_e32 v14, 2
	v_mul_f32_e32 v1, 0x4f7ffffe, v1
	s_waitcnt lgkmcnt(0)
	s_add_u32 s6, s6, s14
	s_addc_u32 s7, s7, s15
	v_cvt_u32_f32_e32 v1, v1
	s_load_dword s1, s[6:7], 0x0
	s_load_dwordx4 s[4:7], s[4:5], 0x0
	s_mul_i32 s14, s13, s2
	s_waitcnt lgkmcnt(0)
	s_mul_i32 s1, s14, s1
	v_readfirstlane_b32 s14, v1
	s_mul_i32 s15, s1, 0x62
	s_mul_hi_i32 s1, s1, 0x62
	s_add_u32 s4, s4, s15
	s_addc_u32 s5, s5, s1
	s_sub_i32 s1, 0, s0
	v_and_b32_e32 v1, 7, v0
	s_mul_i32 s1, s1, s14
	s_mul_hi_u32 s1, s14, s1
	s_add_i32 s14, s14, s1
	v_lshlrev_b32_e32 v2, 1, v1
	s_mul_hi_u32 s1, s8, s14
	v_lshlrev_b32_e32 v11, 3, v1
	s_mul_i32 s14, s1, s0
	s_add_i32 s15, s1, 1
	s_sub_i32 s14, s8, s14
	v_lshlrev_b32_e32 v13, 1, v2
	s_sub_i32 s16, s14, s0
	s_cmp_ge_u32 s14, s0
	s_cselect_b32 s1, s15, s1
	s_cselect_b32 s14, s16, s14
	s_add_i32 s15, s1, 1
	s_cmp_ge_u32 s14, s0
	s_cselect_b32 s0, s15, s1
	s_mov_b32 s1, s9
	s_mul_i32 s0, s0, s3
	s_lshl_b64 s[0:1], s[0:1], 2
	s_add_u32 s0, s6, s0
	s_addc_u32 s1, s7, s1
	v_mad_u64_u32 v[6:7], null, v1, 36, s[0:1]
.LBB249_3:                              ; =>This Inner Loop Header: Depth=1
	v_add_nc_u32_e32 v1, v10, v8
	v_mad_i64_i32 v[23:24], null, v12, 36, v[6:7]
	s_getpc_b64 s[0:1]
	s_add_u32 s0, s0, _ZL11iq3xxs_grid@rel32@lo+4
	s_addc_u32 s1, s1, _ZL11iq3xxs_grid@rel32@hi+12
	s_getpc_b64 s[6:7]
	s_add_u32 s6, s6, _ZL8ksigns64@rel32@lo+4
	s_addc_u32 s7, s7, _ZL8ksigns64@rel32@hi+12
	v_mad_i64_i32 v[19:20], null, 0x62, v1, s[4:5]
	v_add_nc_u32_e32 v8, 4, v8
	v_add_nc_u32_e32 v12, 32, v12
	v_add_co_u32 v1, vcc_lo, v19, v13
	v_add_co_ci_u32_e64 v2, null, 0, v20, vcc_lo
	v_add_co_u32 v3, vcc_lo, v19, v11
	v_add_co_ci_u32_e64 v4, null, 0, v20, vcc_lo
	s_clause 0x1
	global_load_dword v29, v[1:2], off offset:66
	global_load_dwordx2 v[21:22], v[3:4], off offset:2
	s_clause 0x1
	global_load_dwordx4 v[15:18], v[23:24], off
	global_load_dwordx4 v[1:4], v[23:24], off offset:16
	global_load_ushort v30, v[19:20], off
	v_cmp_le_u32_e32 vcc_lo, s13, v8
	s_or_b32 s9, vcc_lo, s9
	s_waitcnt vmcnt(4)
	v_and_b32_e32 v25, 0x7f, v29
	s_waitcnt vmcnt(3)
	v_lshlrev_b32_sdwa v19, v14, v21 dst_sel:DWORD dst_unused:UNUSED_PAD src0_sel:DWORD src1_sel:BYTE_0
	v_lshlrev_b32_sdwa v20, v14, v21 dst_sel:DWORD dst_unused:UNUSED_PAD src0_sel:DWORD src1_sel:BYTE_1
	v_lshrrev_b32_e32 v27, 4, v29
	v_lshlrev_b32_sdwa v26, v14, v21 dst_sel:DWORD dst_unused:UNUSED_PAD src0_sel:DWORD src1_sel:BYTE_2
	v_lshrrev_b32_e32 v32, 11, v29
	v_lshlrev_b32_sdwa v21, v14, v21 dst_sel:DWORD dst_unused:UNUSED_PAD src0_sel:DWORD src1_sel:BYTE_3
	v_lshlrev_b32_sdwa v28, v14, v22 dst_sel:DWORD dst_unused:UNUSED_PAD src0_sel:DWORD src1_sel:BYTE_0
	v_lshlrev_b32_sdwa v31, v14, v22 dst_sel:DWORD dst_unused:UNUSED_PAD src0_sel:DWORD src1_sel:BYTE_1
	v_lshlrev_b32_sdwa v33, v14, v22 dst_sel:DWORD dst_unused:UNUSED_PAD src0_sel:DWORD src1_sel:BYTE_2
	v_lshlrev_b32_sdwa v34, v14, v22 dst_sel:DWORD dst_unused:UNUSED_PAD src0_sel:DWORD src1_sel:BYTE_3
	v_lshrrev_b32_e32 v22, 18, v29
	v_lshlrev_b32_e32 v25, 3, v25
	s_clause 0x1
	global_load_dword v35, v19, s[0:1]
	global_load_dword v36, v20, s[0:1]
	v_and_b32_e32 v27, 0x3f8, v27
	s_clause 0x1
	global_load_dword v37, v26, s[0:1]
	global_load_dword v38, v21, s[0:1]
	v_and_b32_e32 v26, 0x3f8, v32
	;; [unrolled: 4-line block ×3, first 2 shown]
	global_load_dword v33, v33, s[0:1]
	s_clause 0x3
	global_load_dwordx2 v[19:20], v25, s[6:7]
	global_load_dwordx2 v[21:22], v27, s[6:7]
	;; [unrolled: 1-line block ×4, first 2 shown]
	global_load_dword v34, v34, s[0:1]
	global_load_dword v23, v[23:24], off offset:32
	v_mov_b32_e32 v24, 0
	v_lshrrev_b32_e32 v29, 28, v29
	s_waitcnt vmcnt(13)
	v_cvt_f32_f16_e32 v30, v30
	v_cvt_f32_ubyte0_e32 v29, v29
	v_add_f32_e32 v29, 0.5, v29
	s_waitcnt vmcnt(5)
	v_and_b32_e32 v39, 0xff000000, v19
	v_xor_b32_e32 v35, v19, v35
	v_and_b32_e32 v40, 0xff0000, v19
	v_and_b32_e32 v41, 0xff00, v19
	v_xor_b32_e32 v36, v20, v36
	v_and_b32_e32 v42, 0xff000000, v20
	v_and_b32_e32 v43, 0xff0000, v20
	;; [unrolled: 1-line block ×3, first 2 shown]
	v_sub_nc_u32_e32 v39, v35, v39
	v_sub_nc_u32_e32 v40, v35, v40
	;; [unrolled: 1-line block ×4, first 2 shown]
	s_waitcnt vmcnt(4)
	v_xor_b32_e32 v37, v21, v37
	v_and_b32_e32 v45, 0xff000000, v21
	v_and_b32_e32 v46, 0xff0000, v21
	;; [unrolled: 1-line block ×3, first 2 shown]
	v_xor_b32_e32 v38, v22, v38
	v_and_b32_e32 v48, 0xff000000, v22
	v_and_b32_e32 v49, 0xff0000, v22
	v_and_b32_e32 v50, 0xff00, v22
	s_waitcnt vmcnt(3)
	v_xor_b32_e32 v32, v25, v32
	v_and_b32_e32 v51, 0xff000000, v25
	v_and_b32_e32 v52, 0xff0000, v25
	;; [unrolled: 1-line block ×3, first 2 shown]
	v_xor_b32_e32 v31, v26, v31
	v_and_b32_e32 v54, 0xff000000, v26
	v_and_b32_e32 v55, 0xff0000, v26
	;; [unrolled: 1-line block ×3, first 2 shown]
	s_waitcnt vmcnt(2)
	v_xor_b32_e32 v33, v27, v33
	v_and_b32_e32 v57, 0xff000000, v27
	v_and_b32_e32 v58, 0xff0000, v27
	;; [unrolled: 1-line block ×3, first 2 shown]
	s_waitcnt vmcnt(1)
	v_xor_b32_e32 v34, v28, v34
	v_and_b32_e32 v60, 0xff000000, v28
	v_and_b32_e32 v61, 0xff0000, v28
	v_sub_nc_u32_e32 v20, v36, v20
	v_and_b32_e32 v35, 0xff00, v28
	v_sub_nc_u32_e32 v42, v36, v42
	v_sub_nc_u32_e32 v43, v36, v43
	;; [unrolled: 1-line block ×3, first 2 shown]
	v_and_b32_e32 v39, 0xff000000, v39
	v_and_b32_e32 v41, 0xff00, v41
	v_perm_b32 v19, v40, v19, 0xc060c00
	v_sub_nc_u32_e32 v44, v37, v45
	v_sub_nc_u32_e32 v45, v37, v46
	;; [unrolled: 1-line block ×24, first 2 shown]
	v_and_b32_e32 v34, 0xff000000, v42
	v_and_b32_e32 v36, 0xff00, v36
	v_perm_b32 v20, v43, v20, 0xc060c00
	v_or3_b32 v19, v19, v39, v41
	v_and_b32_e32 v39, 0xff000000, v44
	v_and_b32_e32 v40, 0xff00, v46
	v_perm_b32 v21, v45, v21, 0xc060c00
	v_or3_b32 v20, v20, v34, v36
	v_dot4c_i32_i8 v24, v19, v16
	v_and_b32_e32 v16, 0xff000000, v37
	v_and_b32_e32 v19, 0xff00, v48
	v_perm_b32 v22, v47, v22, 0xc060c00
	v_or3_b32 v21, v21, v39, v40
	v_dot4c_i32_i8 v24, v20, v17
	;; [unrolled: 5-line block ×6, first 2 shown]
	v_cvt_f32_f16_e32 v3, v15
	v_mul_f32_e32 v15, v29, v30
	v_or3_b32 v2, v19, v2, v17
	v_dot4c_i32_i8 v24, v1, v4
	v_mul_f32_e32 v1, v15, v3
	s_waitcnt vmcnt(0)
	v_dot4c_i32_i8 v24, v2, v23
	v_mul_f32_e32 v1, 0.5, v1
	v_cvt_f32_i32_e32 v2, v24
	v_fmac_f32_e32 v9, v1, v2
	s_andn2_b32 exec_lo, exec_lo, s9
	s_cbranch_execnz .LBB249_3
; %bb.4:
	s_or_b32 exec_lo, exec_lo, s9
.LBB249_5:
	s_or_b32 exec_lo, exec_lo, s12
	v_mbcnt_lo_u32_b32 v1, -1, 0
	v_xor_b32_e32 v2, 16, v1
	v_xor_b32_e32 v3, 8, v1
	;; [unrolled: 1-line block ×3, first 2 shown]
	v_cmp_gt_i32_e32 vcc_lo, 32, v2
	v_cndmask_b32_e32 v2, v1, v2, vcc_lo
	v_cmp_gt_i32_e32 vcc_lo, 32, v3
	v_lshlrev_b32_e32 v2, 2, v2
	v_cndmask_b32_e32 v3, v1, v3, vcc_lo
	v_cmp_gt_i32_e32 vcc_lo, 32, v4
	ds_bpermute_b32 v2, v2, v9
	v_lshlrev_b32_e32 v3, 2, v3
	v_cndmask_b32_e32 v4, v1, v4, vcc_lo
	v_lshlrev_b32_e32 v4, 2, v4
	s_waitcnt lgkmcnt(0)
	v_add_f32_e32 v2, v9, v2
	ds_bpermute_b32 v3, v3, v2
	s_waitcnt lgkmcnt(0)
	v_add_f32_e32 v2, v2, v3
	ds_bpermute_b32 v3, v4, v2
	v_xor_b32_e32 v4, 2, v1
	v_cmp_gt_i32_e32 vcc_lo, 32, v4
	v_cndmask_b32_e32 v4, v1, v4, vcc_lo
	v_lshlrev_b32_e32 v4, 2, v4
	s_waitcnt lgkmcnt(0)
	v_add_f32_e32 v2, v2, v3
	ds_bpermute_b32 v3, v4, v2
	v_xor_b32_e32 v4, 1, v1
	v_cmp_gt_i32_e32 vcc_lo, 32, v4
	v_cndmask_b32_e32 v4, v1, v4, vcc_lo
	v_cmp_eq_u32_e32 vcc_lo, 0, v0
	s_waitcnt lgkmcnt(0)
	v_add_f32_e32 v1, v2, v3
	v_lshlrev_b32_e32 v2, 2, v4
	ds_bpermute_b32 v2, v2, v1
	s_and_b32 exec_lo, exec_lo, vcc_lo
	s_cbranch_execz .LBB249_7
; %bb.6:
	v_mad_u64_u32 v[3:4], null, s2, s8, v[5:6]
	v_mov_b32_e32 v4, 0
	s_waitcnt lgkmcnt(0)
	v_add_f32_e32 v2, v1, v2
	v_lshlrev_b64 v[3:4], 2, v[3:4]
	v_add_co_u32 v0, vcc_lo, s10, v3
	v_add_co_ci_u32_e64 v1, null, s11, v4, vcc_lo
	global_store_dword v[0:1], v2, off
.LBB249_7:
	s_endpgm
	.section	.rodata,"a",@progbits
	.p2align	6, 0x0
	.amdhsa_kernel _ZL9moe_vec_qIfLi256ELi8E13block_iq3_xxsLi1EXadL_ZL20vec_dot_iq3_xxs_q8_1PKvPK10block_q8_1RKiEEEvS2_S2_PT_PS6_iiii
		.amdhsa_group_segment_fixed_size 0
		.amdhsa_private_segment_fixed_size 0
		.amdhsa_kernarg_size 304
		.amdhsa_user_sgpr_count 6
		.amdhsa_user_sgpr_private_segment_buffer 1
		.amdhsa_user_sgpr_dispatch_ptr 0
		.amdhsa_user_sgpr_queue_ptr 0
		.amdhsa_user_sgpr_kernarg_segment_ptr 1
		.amdhsa_user_sgpr_dispatch_id 0
		.amdhsa_user_sgpr_flat_scratch_init 0
		.amdhsa_user_sgpr_private_segment_size 0
		.amdhsa_wavefront_size32 1
		.amdhsa_uses_dynamic_stack 0
		.amdhsa_system_sgpr_private_segment_wavefront_offset 0
		.amdhsa_system_sgpr_workgroup_id_x 1
		.amdhsa_system_sgpr_workgroup_id_y 0
		.amdhsa_system_sgpr_workgroup_id_z 1
		.amdhsa_system_sgpr_workgroup_info 0
		.amdhsa_system_vgpr_workitem_id 1
		.amdhsa_next_free_vgpr 62
		.amdhsa_next_free_sgpr 17
		.amdhsa_reserve_vcc 1
		.amdhsa_reserve_flat_scratch 0
		.amdhsa_float_round_mode_32 0
		.amdhsa_float_round_mode_16_64 0
		.amdhsa_float_denorm_mode_32 3
		.amdhsa_float_denorm_mode_16_64 3
		.amdhsa_dx10_clamp 1
		.amdhsa_ieee_mode 1
		.amdhsa_fp16_overflow 0
		.amdhsa_workgroup_processor_mode 1
		.amdhsa_memory_ordered 1
		.amdhsa_forward_progress 1
		.amdhsa_shared_vgpr_count 0
		.amdhsa_exception_fp_ieee_invalid_op 0
		.amdhsa_exception_fp_denorm_src 0
		.amdhsa_exception_fp_ieee_div_zero 0
		.amdhsa_exception_fp_ieee_overflow 0
		.amdhsa_exception_fp_ieee_underflow 0
		.amdhsa_exception_fp_ieee_inexact 0
		.amdhsa_exception_int_div_zero 0
	.end_amdhsa_kernel
	.section	.text._ZL9moe_vec_qIfLi256ELi8E13block_iq3_xxsLi1EXadL_ZL20vec_dot_iq3_xxs_q8_1PKvPK10block_q8_1RKiEEEvS2_S2_PT_PS6_iiii,"axG",@progbits,_ZL9moe_vec_qIfLi256ELi8E13block_iq3_xxsLi1EXadL_ZL20vec_dot_iq3_xxs_q8_1PKvPK10block_q8_1RKiEEEvS2_S2_PT_PS6_iiii,comdat
.Lfunc_end249:
	.size	_ZL9moe_vec_qIfLi256ELi8E13block_iq3_xxsLi1EXadL_ZL20vec_dot_iq3_xxs_q8_1PKvPK10block_q8_1RKiEEEvS2_S2_PT_PS6_iiii, .Lfunc_end249-_ZL9moe_vec_qIfLi256ELi8E13block_iq3_xxsLi1EXadL_ZL20vec_dot_iq3_xxs_q8_1PKvPK10block_q8_1RKiEEEvS2_S2_PT_PS6_iiii
                                        ; -- End function
	.set _ZL9moe_vec_qIfLi256ELi8E13block_iq3_xxsLi1EXadL_ZL20vec_dot_iq3_xxs_q8_1PKvPK10block_q8_1RKiEEEvS2_S2_PT_PS6_iiii.num_vgpr, 62
	.set _ZL9moe_vec_qIfLi256ELi8E13block_iq3_xxsLi1EXadL_ZL20vec_dot_iq3_xxs_q8_1PKvPK10block_q8_1RKiEEEvS2_S2_PT_PS6_iiii.num_agpr, 0
	.set _ZL9moe_vec_qIfLi256ELi8E13block_iq3_xxsLi1EXadL_ZL20vec_dot_iq3_xxs_q8_1PKvPK10block_q8_1RKiEEEvS2_S2_PT_PS6_iiii.numbered_sgpr, 17
	.set _ZL9moe_vec_qIfLi256ELi8E13block_iq3_xxsLi1EXadL_ZL20vec_dot_iq3_xxs_q8_1PKvPK10block_q8_1RKiEEEvS2_S2_PT_PS6_iiii.num_named_barrier, 0
	.set _ZL9moe_vec_qIfLi256ELi8E13block_iq3_xxsLi1EXadL_ZL20vec_dot_iq3_xxs_q8_1PKvPK10block_q8_1RKiEEEvS2_S2_PT_PS6_iiii.private_seg_size, 0
	.set _ZL9moe_vec_qIfLi256ELi8E13block_iq3_xxsLi1EXadL_ZL20vec_dot_iq3_xxs_q8_1PKvPK10block_q8_1RKiEEEvS2_S2_PT_PS6_iiii.uses_vcc, 1
	.set _ZL9moe_vec_qIfLi256ELi8E13block_iq3_xxsLi1EXadL_ZL20vec_dot_iq3_xxs_q8_1PKvPK10block_q8_1RKiEEEvS2_S2_PT_PS6_iiii.uses_flat_scratch, 0
	.set _ZL9moe_vec_qIfLi256ELi8E13block_iq3_xxsLi1EXadL_ZL20vec_dot_iq3_xxs_q8_1PKvPK10block_q8_1RKiEEEvS2_S2_PT_PS6_iiii.has_dyn_sized_stack, 0
	.set _ZL9moe_vec_qIfLi256ELi8E13block_iq3_xxsLi1EXadL_ZL20vec_dot_iq3_xxs_q8_1PKvPK10block_q8_1RKiEEEvS2_S2_PT_PS6_iiii.has_recursion, 0
	.set _ZL9moe_vec_qIfLi256ELi8E13block_iq3_xxsLi1EXadL_ZL20vec_dot_iq3_xxs_q8_1PKvPK10block_q8_1RKiEEEvS2_S2_PT_PS6_iiii.has_indirect_call, 0
	.section	.AMDGPU.csdata,"",@progbits
; Kernel info:
; codeLenInByte = 1720
; TotalNumSgprs: 19
; NumVgprs: 62
; ScratchSize: 0
; MemoryBound: 0
; FloatMode: 240
; IeeeMode: 1
; LDSByteSize: 0 bytes/workgroup (compile time only)
; SGPRBlocks: 0
; VGPRBlocks: 7
; NumSGPRsForWavesPerEU: 19
; NumVGPRsForWavesPerEU: 62
; Occupancy: 16
; WaveLimiterHint : 1
; COMPUTE_PGM_RSRC2:SCRATCH_EN: 0
; COMPUTE_PGM_RSRC2:USER_SGPR: 6
; COMPUTE_PGM_RSRC2:TRAP_HANDLER: 0
; COMPUTE_PGM_RSRC2:TGID_X_EN: 1
; COMPUTE_PGM_RSRC2:TGID_Y_EN: 0
; COMPUTE_PGM_RSRC2:TGID_Z_EN: 1
; COMPUTE_PGM_RSRC2:TIDIG_COMP_CNT: 1
	.section	.text._ZL9moe_vec_qIfLi256ELi8E11block_iq1_sLi1EXadL_ZL18vec_dot_iq1_s_q8_1PKvPK10block_q8_1RKiEEEvS2_S2_PT_PS6_iiii,"axG",@progbits,_ZL9moe_vec_qIfLi256ELi8E11block_iq1_sLi1EXadL_ZL18vec_dot_iq1_s_q8_1PKvPK10block_q8_1RKiEEEvS2_S2_PT_PS6_iiii,comdat
	.globl	_ZL9moe_vec_qIfLi256ELi8E11block_iq1_sLi1EXadL_ZL18vec_dot_iq1_s_q8_1PKvPK10block_q8_1RKiEEEvS2_S2_PT_PS6_iiii ; -- Begin function _ZL9moe_vec_qIfLi256ELi8E11block_iq1_sLi1EXadL_ZL18vec_dot_iq1_s_q8_1PKvPK10block_q8_1RKiEEEvS2_S2_PT_PS6_iiii
	.p2align	8
	.type	_ZL9moe_vec_qIfLi256ELi8E11block_iq1_sLi1EXadL_ZL18vec_dot_iq1_s_q8_1PKvPK10block_q8_1RKiEEEvS2_S2_PT_PS6_iiii,@function
_ZL9moe_vec_qIfLi256ELi8E11block_iq1_sLi1EXadL_ZL18vec_dot_iq1_s_q8_1PKvPK10block_q8_1RKiEEEvS2_S2_PT_PS6_iiii: ; @_ZL9moe_vec_qIfLi256ELi8E11block_iq1_sLi1EXadL_ZL18vec_dot_iq1_s_q8_1PKvPK10block_q8_1RKiEEEvS2_S2_PT_PS6_iiii
; %bb.0:
	s_mov_b32 s8, s7
	s_clause 0x1
	s_load_dword s7, s[4:5], 0x3c
	s_load_dwordx4 s[0:3], s[4:5], 0x20
	s_waitcnt lgkmcnt(0)
	s_lshr_b32 s7, s7, 16
	v_mad_u64_u32 v[1:2], null, s6, s7, v[1:2]
	s_mov_b32 s6, exec_lo
	v_cmpx_gt_u32_e64 s2, v1
	s_cbranch_execz .LBB250_7
; %bb.1:
	s_load_dwordx2 s[6:7], s[4:5], 0x10
	s_ashr_i32 s9, s1, 31
	v_lshrrev_b32_e32 v4, 3, v0
	s_lshr_b32 s9, s9, 24
	v_mov_b32_e32 v5, 0
	s_add_i32 s1, s1, s9
	s_ashr_i32 s10, s1, 8
	s_mov_b32 s1, exec_lo
	v_cmpx_gt_u32_e64 s10, v4
	s_cbranch_execz .LBB250_5
; %bb.2:
	s_load_dwordx2 s[12:13], s[4:5], 0x18
	s_mov_b32 s9, 0
	v_cvt_f32_u32_e32 v2, s0
	s_lshl_b64 s[14:15], s[8:9], 2
	v_and_b32_e32 v9, 7, v0
	v_mul_lo_u32 v6, v1, s10
	v_mov_b32_e32 v5, 0
	v_rcp_iflag_f32_e32 v2, v2
	v_lshlrev_b32_e32 v7, 3, v4
	v_lshlrev_b32_e32 v8, 1, v9
	;; [unrolled: 1-line block ×3, first 2 shown]
	v_mul_f32_e32 v2, 0x4f7ffffe, v2
	s_waitcnt lgkmcnt(0)
	s_add_u32 s12, s12, s14
	s_addc_u32 s13, s13, s15
	v_cvt_u32_f32_e32 v2, v2
	s_load_dword s11, s[12:13], 0x0
	s_load_dwordx4 s[12:15], s[4:5], 0x0
	s_mul_i32 s4, s10, s2
	s_waitcnt lgkmcnt(0)
	s_mul_i32 s4, s4, s11
	v_readfirstlane_b32 s11, v2
	s_mul_i32 s5, s4, 50
	s_mul_hi_i32 s16, s4, 50
	s_add_u32 s4, s12, s5
	s_addc_u32 s5, s13, s16
	s_sub_i32 s12, 0, s0
	s_mul_i32 s12, s12, s11
	s_mul_hi_u32 s12, s11, s12
	s_add_i32 s11, s11, s12
	s_mul_hi_u32 s11, s8, s11
	s_mul_i32 s12, s11, s0
	s_add_i32 s13, s11, 1
	s_sub_i32 s12, s8, s12
	s_sub_i32 s16, s12, s0
	s_cmp_ge_u32 s12, s0
	s_cselect_b32 s11, s13, s11
	s_cselect_b32 s12, s16, s12
	s_add_i32 s13, s11, 1
	s_cmp_ge_u32 s12, s0
	s_cselect_b32 s0, s13, s11
	s_mov_b32 s13, s9
	s_mul_i32 s12, s0, s3
	s_mov_b32 s0, 0xb7000000
	s_lshl_b64 s[12:13], s[12:13], 2
	s_add_u32 s12, s14, s12
	s_addc_u32 s13, s15, s13
	v_mad_u64_u32 v[2:3], null, v9, 36, s[12:13]
	v_lshlrev_b32_e32 v9, 1, v9
	s_getpc_b64 s[12:13]
	s_add_u32 s12, s12, _ZL13iq1s_grid_gpu@rel32@lo+4
	s_addc_u32 s13, s13, _ZL13iq1s_grid_gpu@rel32@hi+12
.LBB250_3:                              ; =>This Inner Loop Header: Depth=1
	v_add_nc_u32_e32 v10, v6, v4
	v_mad_i64_i32 v[18:19], null, v7, 36, v[2:3]
	v_add_nc_u32_e32 v4, 4, v4
	v_add_nc_u32_e32 v7, 32, v7
	v_mad_i64_i32 v[10:11], null, v10, 50, s[4:5]
	v_add_co_u32 v12, vcc_lo, v10, v8
	v_add_co_ci_u32_e64 v13, null, 0, v11, vcc_lo
	v_add_co_u32 v14, vcc_lo, v10, v9
	v_add_co_ci_u32_e64 v15, null, 0, v11, vcc_lo
	s_clause 0x2
	global_load_dword v16, v[12:13], off offset:2
	global_load_ushort v20, v[14:15], off offset:34
	global_load_ushort v21, v[10:11], off
	v_cmp_le_u32_e32 vcc_lo, s10, v4
	s_or_b32 s9, vcc_lo, s9
	s_waitcnt vmcnt(2)
	v_and_b32_e32 v10, 0xff, v16
	s_waitcnt vmcnt(1)
	v_lshlrev_b32_e32 v11, 8, v20
	v_bfe_u32 v14, v16, 8, 8
	v_lshlrev_b32_e32 v15, 5, v20
	v_lshrrev_b32_e32 v24, 24, v16
	v_lshrrev_b32_e32 v25, 1, v20
	v_and_or_b32 v10, 0x700, v11, v10
	v_and_or_b32 v14, 0x700, v15, v14
	v_bfe_u32 v15, v16, 16, 8
	v_and_or_b32 v24, 0x700, v25, v24
	v_lshlrev_b32_e32 v17, 3, v10
	global_load_dwordx4 v[10:13], v[18:19], off
	v_lshlrev_b32_e32 v14, 3, v14
	v_lshlrev_b32_e32 v24, 3, v24
	s_clause 0x1
	global_load_dword v22, v17, s[12:13]
	global_load_dword v23, v14, s[12:13]
	v_lshlrev_b32_e32 v17, 2, v20
	v_and_or_b32 v15, 0x700, v17, v15
	v_lshlrev_b32_e32 v26, 3, v15
	global_load_dwordx4 v[14:17], v[18:19], off offset:16
	s_clause 0x1
	global_load_dword v25, v26, s[12:13]
	global_load_dword v24, v24, s[12:13]
	global_load_dword v18, v[18:19], off offset:32
	v_mov_b32_e32 v19, 0
	s_waitcnt vmcnt(5)
	v_lshrrev_b32_e32 v26, 4, v22
	v_and_b32_e32 v22, 0xf0f0f0f, v22
	v_and_b32_e32 v26, 0xf0f0f0f, v26
	v_dot4c_i32_i8 v19, v22, v11
	s_waitcnt vmcnt(4)
	v_and_b32_e32 v11, 0xf0f0f0f, v23
	v_lshrrev_b32_e32 v22, 4, v23
	v_dot4c_i32_i8 v19, v26, v12
	v_and_b32_e32 v12, 0xf0f0f0f, v22
	v_dot4c_i32_i8 v19, v11, v13
	s_waitcnt vmcnt(2)
	v_and_b32_e32 v11, 0xf0f0f0f, v25
	v_lshrrev_b32_e32 v13, 4, v25
	v_dot4c_i32_i8 v19, v12, v14
	s_waitcnt vmcnt(1)
	v_lshrrev_b32_e32 v14, 4, v24
	v_and_b32_e32 v12, 0xf0f0f0f, v13
	v_and_b32_e32 v13, 0xf0f0f0f, v24
	v_dot4c_i32_i8 v19, v11, v15
	v_and_b32_e32 v11, 0x8000, v20
	v_and_b32_e32 v14, 0xf0f0f0f, v14
	v_dot4c_i32_i8 v19, v12, v16
	v_lshrrev_b32_e32 v12, 11, v20
	v_cvt_f32_u32_e32 v11, v11
	v_dot4c_i32_i8 v19, v13, v17
	v_cvt_f32_f16_sdwa v13, v10 dst_sel:DWORD dst_unused:UNUSED_PAD src0_sel:WORD_1
	v_and_or_b32 v12, v12, 14, 1
	v_fmaak_f32 v11, s0, v11, 0xbf600000
	s_waitcnt vmcnt(0)
	v_dot4c_i32_i8 v19, v14, v18
	v_cvt_f32_f16_e32 v14, v21
	v_cvt_f32_ubyte0_e32 v12, v12
	v_mul_f32_e32 v11, v11, v13
	v_cvt_f32_i32_e32 v13, v19
	v_mul_f32_e32 v12, v12, v14
	v_fma_mix_f32 v10, v13, v10, v11 op_sel_hi:[0,1,0]
	v_fmac_f32_e32 v5, v12, v10
	s_andn2_b32 exec_lo, exec_lo, s9
	s_cbranch_execnz .LBB250_3
; %bb.4:
	s_or_b32 exec_lo, exec_lo, s9
.LBB250_5:
	s_or_b32 exec_lo, exec_lo, s1
	v_mbcnt_lo_u32_b32 v2, -1, 0
	v_xor_b32_e32 v3, 16, v2
	v_xor_b32_e32 v4, 8, v2
	v_cmp_gt_i32_e32 vcc_lo, 32, v3
	v_cndmask_b32_e32 v3, v2, v3, vcc_lo
	v_cmp_gt_i32_e32 vcc_lo, 32, v4
	v_lshlrev_b32_e32 v3, 2, v3
	v_cndmask_b32_e32 v4, v2, v4, vcc_lo
	ds_bpermute_b32 v3, v3, v5
	v_lshlrev_b32_e32 v4, 2, v4
	s_waitcnt lgkmcnt(0)
	v_add_f32_e32 v3, v5, v3
	v_xor_b32_e32 v5, 4, v2
	ds_bpermute_b32 v4, v4, v3
	v_cmp_gt_i32_e32 vcc_lo, 32, v5
	v_cndmask_b32_e32 v5, v2, v5, vcc_lo
	v_lshlrev_b32_e32 v5, 2, v5
	s_waitcnt lgkmcnt(0)
	v_add_f32_e32 v3, v3, v4
	ds_bpermute_b32 v4, v5, v3
	v_xor_b32_e32 v5, 2, v2
	v_cmp_gt_i32_e32 vcc_lo, 32, v5
	v_cndmask_b32_e32 v5, v2, v5, vcc_lo
	v_lshlrev_b32_e32 v5, 2, v5
	s_waitcnt lgkmcnt(0)
	v_add_f32_e32 v3, v3, v4
	ds_bpermute_b32 v4, v5, v3
	v_xor_b32_e32 v5, 1, v2
	v_cmp_gt_i32_e32 vcc_lo, 32, v5
	v_cndmask_b32_e32 v5, v2, v5, vcc_lo
	v_cmp_eq_u32_e32 vcc_lo, 0, v0
	s_waitcnt lgkmcnt(0)
	v_add_f32_e32 v2, v3, v4
	v_lshlrev_b32_e32 v3, 2, v5
	ds_bpermute_b32 v3, v3, v2
	s_and_b32 exec_lo, exec_lo, vcc_lo
	s_cbranch_execz .LBB250_7
; %bb.6:
	v_mad_u64_u32 v[0:1], null, s2, s8, v[1:2]
	v_mov_b32_e32 v1, 0
	s_waitcnt lgkmcnt(0)
	v_add_f32_e32 v2, v2, v3
	v_lshlrev_b64 v[0:1], 2, v[0:1]
	v_add_co_u32 v0, vcc_lo, s6, v0
	v_add_co_ci_u32_e64 v1, null, s7, v1, vcc_lo
	global_store_dword v[0:1], v2, off
.LBB250_7:
	s_endpgm
	.section	.rodata,"a",@progbits
	.p2align	6, 0x0
	.amdhsa_kernel _ZL9moe_vec_qIfLi256ELi8E11block_iq1_sLi1EXadL_ZL18vec_dot_iq1_s_q8_1PKvPK10block_q8_1RKiEEEvS2_S2_PT_PS6_iiii
		.amdhsa_group_segment_fixed_size 0
		.amdhsa_private_segment_fixed_size 0
		.amdhsa_kernarg_size 304
		.amdhsa_user_sgpr_count 6
		.amdhsa_user_sgpr_private_segment_buffer 1
		.amdhsa_user_sgpr_dispatch_ptr 0
		.amdhsa_user_sgpr_queue_ptr 0
		.amdhsa_user_sgpr_kernarg_segment_ptr 1
		.amdhsa_user_sgpr_dispatch_id 0
		.amdhsa_user_sgpr_flat_scratch_init 0
		.amdhsa_user_sgpr_private_segment_size 0
		.amdhsa_wavefront_size32 1
		.amdhsa_uses_dynamic_stack 0
		.amdhsa_system_sgpr_private_segment_wavefront_offset 0
		.amdhsa_system_sgpr_workgroup_id_x 1
		.amdhsa_system_sgpr_workgroup_id_y 0
		.amdhsa_system_sgpr_workgroup_id_z 1
		.amdhsa_system_sgpr_workgroup_info 0
		.amdhsa_system_vgpr_workitem_id 1
		.amdhsa_next_free_vgpr 27
		.amdhsa_next_free_sgpr 17
		.amdhsa_reserve_vcc 1
		.amdhsa_reserve_flat_scratch 0
		.amdhsa_float_round_mode_32 0
		.amdhsa_float_round_mode_16_64 0
		.amdhsa_float_denorm_mode_32 3
		.amdhsa_float_denorm_mode_16_64 3
		.amdhsa_dx10_clamp 1
		.amdhsa_ieee_mode 1
		.amdhsa_fp16_overflow 0
		.amdhsa_workgroup_processor_mode 1
		.amdhsa_memory_ordered 1
		.amdhsa_forward_progress 1
		.amdhsa_shared_vgpr_count 0
		.amdhsa_exception_fp_ieee_invalid_op 0
		.amdhsa_exception_fp_denorm_src 0
		.amdhsa_exception_fp_ieee_div_zero 0
		.amdhsa_exception_fp_ieee_overflow 0
		.amdhsa_exception_fp_ieee_underflow 0
		.amdhsa_exception_fp_ieee_inexact 0
		.amdhsa_exception_int_div_zero 0
	.end_amdhsa_kernel
	.section	.text._ZL9moe_vec_qIfLi256ELi8E11block_iq1_sLi1EXadL_ZL18vec_dot_iq1_s_q8_1PKvPK10block_q8_1RKiEEEvS2_S2_PT_PS6_iiii,"axG",@progbits,_ZL9moe_vec_qIfLi256ELi8E11block_iq1_sLi1EXadL_ZL18vec_dot_iq1_s_q8_1PKvPK10block_q8_1RKiEEEvS2_S2_PT_PS6_iiii,comdat
.Lfunc_end250:
	.size	_ZL9moe_vec_qIfLi256ELi8E11block_iq1_sLi1EXadL_ZL18vec_dot_iq1_s_q8_1PKvPK10block_q8_1RKiEEEvS2_S2_PT_PS6_iiii, .Lfunc_end250-_ZL9moe_vec_qIfLi256ELi8E11block_iq1_sLi1EXadL_ZL18vec_dot_iq1_s_q8_1PKvPK10block_q8_1RKiEEEvS2_S2_PT_PS6_iiii
                                        ; -- End function
	.set _ZL9moe_vec_qIfLi256ELi8E11block_iq1_sLi1EXadL_ZL18vec_dot_iq1_s_q8_1PKvPK10block_q8_1RKiEEEvS2_S2_PT_PS6_iiii.num_vgpr, 27
	.set _ZL9moe_vec_qIfLi256ELi8E11block_iq1_sLi1EXadL_ZL18vec_dot_iq1_s_q8_1PKvPK10block_q8_1RKiEEEvS2_S2_PT_PS6_iiii.num_agpr, 0
	.set _ZL9moe_vec_qIfLi256ELi8E11block_iq1_sLi1EXadL_ZL18vec_dot_iq1_s_q8_1PKvPK10block_q8_1RKiEEEvS2_S2_PT_PS6_iiii.numbered_sgpr, 17
	.set _ZL9moe_vec_qIfLi256ELi8E11block_iq1_sLi1EXadL_ZL18vec_dot_iq1_s_q8_1PKvPK10block_q8_1RKiEEEvS2_S2_PT_PS6_iiii.num_named_barrier, 0
	.set _ZL9moe_vec_qIfLi256ELi8E11block_iq1_sLi1EXadL_ZL18vec_dot_iq1_s_q8_1PKvPK10block_q8_1RKiEEEvS2_S2_PT_PS6_iiii.private_seg_size, 0
	.set _ZL9moe_vec_qIfLi256ELi8E11block_iq1_sLi1EXadL_ZL18vec_dot_iq1_s_q8_1PKvPK10block_q8_1RKiEEEvS2_S2_PT_PS6_iiii.uses_vcc, 1
	.set _ZL9moe_vec_qIfLi256ELi8E11block_iq1_sLi1EXadL_ZL18vec_dot_iq1_s_q8_1PKvPK10block_q8_1RKiEEEvS2_S2_PT_PS6_iiii.uses_flat_scratch, 0
	.set _ZL9moe_vec_qIfLi256ELi8E11block_iq1_sLi1EXadL_ZL18vec_dot_iq1_s_q8_1PKvPK10block_q8_1RKiEEEvS2_S2_PT_PS6_iiii.has_dyn_sized_stack, 0
	.set _ZL9moe_vec_qIfLi256ELi8E11block_iq1_sLi1EXadL_ZL18vec_dot_iq1_s_q8_1PKvPK10block_q8_1RKiEEEvS2_S2_PT_PS6_iiii.has_recursion, 0
	.set _ZL9moe_vec_qIfLi256ELi8E11block_iq1_sLi1EXadL_ZL18vec_dot_iq1_s_q8_1PKvPK10block_q8_1RKiEEEvS2_S2_PT_PS6_iiii.has_indirect_call, 0
	.section	.AMDGPU.csdata,"",@progbits
; Kernel info:
; codeLenInByte = 1076
; TotalNumSgprs: 19
; NumVgprs: 27
; ScratchSize: 0
; MemoryBound: 0
; FloatMode: 240
; IeeeMode: 1
; LDSByteSize: 0 bytes/workgroup (compile time only)
; SGPRBlocks: 0
; VGPRBlocks: 3
; NumSGPRsForWavesPerEU: 19
; NumVGPRsForWavesPerEU: 27
; Occupancy: 16
; WaveLimiterHint : 1
; COMPUTE_PGM_RSRC2:SCRATCH_EN: 0
; COMPUTE_PGM_RSRC2:USER_SGPR: 6
; COMPUTE_PGM_RSRC2:TRAP_HANDLER: 0
; COMPUTE_PGM_RSRC2:TGID_X_EN: 1
; COMPUTE_PGM_RSRC2:TGID_Y_EN: 0
; COMPUTE_PGM_RSRC2:TGID_Z_EN: 1
; COMPUTE_PGM_RSRC2:TIDIG_COMP_CNT: 1
	.section	.text._ZL9moe_vec_qIfLi32ELi4E12block_iq4_nlLi2EXadL_ZL19vec_dot_iq4_nl_q8_1PKvPK10block_q8_1RKiEEEvS2_S2_PT_PS6_iiii,"axG",@progbits,_ZL9moe_vec_qIfLi32ELi4E12block_iq4_nlLi2EXadL_ZL19vec_dot_iq4_nl_q8_1PKvPK10block_q8_1RKiEEEvS2_S2_PT_PS6_iiii,comdat
	.globl	_ZL9moe_vec_qIfLi32ELi4E12block_iq4_nlLi2EXadL_ZL19vec_dot_iq4_nl_q8_1PKvPK10block_q8_1RKiEEEvS2_S2_PT_PS6_iiii ; -- Begin function _ZL9moe_vec_qIfLi32ELi4E12block_iq4_nlLi2EXadL_ZL19vec_dot_iq4_nl_q8_1PKvPK10block_q8_1RKiEEEvS2_S2_PT_PS6_iiii
	.p2align	8
	.type	_ZL9moe_vec_qIfLi32ELi4E12block_iq4_nlLi2EXadL_ZL19vec_dot_iq4_nl_q8_1PKvPK10block_q8_1RKiEEEvS2_S2_PT_PS6_iiii,@function
_ZL9moe_vec_qIfLi32ELi4E12block_iq4_nlLi2EXadL_ZL19vec_dot_iq4_nl_q8_1PKvPK10block_q8_1RKiEEEvS2_S2_PT_PS6_iiii: ; @_ZL9moe_vec_qIfLi32ELi4E12block_iq4_nlLi2EXadL_ZL19vec_dot_iq4_nl_q8_1PKvPK10block_q8_1RKiEEEvS2_S2_PT_PS6_iiii
; %bb.0:
	s_mov_b32 s8, s7
	s_clause 0x1
	s_load_dword s7, s[4:5], 0x3c
	s_load_dwordx4 s[0:3], s[4:5], 0x20
	s_waitcnt lgkmcnt(0)
	s_lshr_b32 s7, s7, 16
	v_mad_u64_u32 v[1:2], null, s6, s7, v[1:2]
	s_mov_b32 s6, exec_lo
	v_cmpx_gt_u32_e64 s2, v1
	s_cbranch_execz .LBB251_7
; %bb.1:
	v_cvt_f32_u32_e32 v2, s0
	s_load_dwordx2 s[10:11], s[4:5], 0x10
	s_ashr_i32 s6, s1, 31
	s_mov_b32 s12, exec_lo
	s_lshr_b32 s6, s6, 27
	v_rcp_iflag_f32_e32 v2, v2
	s_add_i32 s1, s1, s6
	s_ashr_i32 s13, s1, 5
	v_mul_f32_e32 v3, 0x4f7ffffe, v2
	v_lshrrev_b32_e32 v2, 1, v0
	v_cvt_u32_f32_e32 v3, v3
	v_readfirstlane_b32 s1, v3
	v_mov_b32_e32 v3, 0
	v_cmpx_gt_u32_e64 s13, v2
	s_cbranch_execz .LBB251_5
; %bb.2:
	s_load_dwordx2 s[6:7], s[4:5], 0x18
	s_sub_i32 s9, 0, s0
	v_lshlrev_b32_e32 v5, 1, v0
	s_mul_i32 s14, s9, s1
	s_mov_b32 s9, 0
	s_mul_hi_u32 s16, s1, s14
	s_lshl_b64 s[14:15], s[8:9], 2
	s_add_i32 s1, s1, s16
	v_and_b32_e32 v6, 2, v5
	s_mul_hi_u32 s1, s8, s1
	s_mul_i32 s16, s13, s2
	s_mul_i32 s17, s1, s0
	v_mul_lo_u32 v4, v1, s13
	v_lshlrev_b32_e32 v5, 1, v6
	v_mov_b32_e32 v3, 0
	v_lshlrev_b32_e32 v6, 2, v6
	v_lshlrev_b32_e32 v5, 1, v5
	s_waitcnt lgkmcnt(0)
	s_add_u32 s14, s6, s14
	s_addc_u32 s15, s7, s15
	s_load_dwordx4 s[4:7], s[4:5], 0x0
	s_load_dword s14, s[14:15], 0x0
	s_sub_i32 s17, s8, s17
	s_add_i32 s18, s1, 1
	s_sub_i32 s19, s17, s0
	s_cmp_ge_u32 s17, s0
	s_mov_b32 s15, s9
	s_cselect_b32 s1, s18, s1
	s_cselect_b32 s17, s19, s17
	s_add_i32 s18, s1, 1
	s_cmp_ge_u32 s17, s0
	s_cselect_b32 s0, s18, s1
	s_waitcnt lgkmcnt(0)
	s_mul_i32 s1, s16, s14
	s_mul_i32 s14, s0, s3
	;; [unrolled: 1-line block ×3, first 2 shown]
	s_mul_hi_i32 s1, s1, 18
	s_add_u32 s0, s4, s0
	s_addc_u32 s1, s5, s1
	s_lshl_b64 s[4:5], s[14:15], 2
	s_add_u32 s4, s6, s4
	s_addc_u32 s5, s7, s5
	s_getpc_b64 s[6:7]
	s_add_u32 s6, s6, _ZL13kvalues_iq4nl@rel32@lo+4
	s_addc_u32 s7, s7, _ZL13kvalues_iq4nl@rel32@hi+12
.LBB251_3:                              ; =>This Inner Loop Header: Depth=1
	v_add_nc_u32_e32 v7, v4, v2
	v_mad_i64_i32 v[11:12], null, v2, 36, s[4:5]
	v_add_nc_u32_e32 v2, 16, v2
	v_mad_i64_i32 v[7:8], null, v7, 18, s[0:1]
	v_add_co_u32 v9, vcc_lo, v7, v5
	v_add_co_ci_u32_e64 v10, null, 0, v8, vcc_lo
	v_add_co_u32 v13, vcc_lo, v11, v6
	v_add_co_ci_u32_e64 v14, null, 0, v12, vcc_lo
	global_load_dwordx2 v[9:10], v[9:10], off offset:2
	v_cmp_le_u32_e32 vcc_lo, s13, v2
	s_or_b32 s9, vcc_lo, s9
	s_waitcnt vmcnt(0)
	v_and_b32_e32 v16, 15, v9
	v_bfe_u32 v17, v9, 8, 4
	v_bfe_u32 v18, v9, 16, 4
	;; [unrolled: 1-line block ×5, first 2 shown]
	v_lshrrev_b32_e32 v21, 28, v9
	v_bfe_u32 v9, v9, 4, 4
	v_bfe_u32 v22, v10, 24, 4
	v_and_b32_e32 v23, 15, v10
	v_bfe_u32 v24, v10, 8, 4
	v_bfe_u32 v25, v10, 16, 4
	;; [unrolled: 1-line block ×4, first 2 shown]
	v_lshrrev_b32_e32 v28, 28, v10
	v_bfe_u32 v10, v10, 4, 4
	s_clause 0xf
	global_load_ubyte v16, v16, s[6:7]
	global_load_ubyte v17, v17, s[6:7]
	;; [unrolled: 1-line block ×16, first 2 shown]
	s_clause 0x2
	global_load_dwordx2 v[9:10], v[13:14], off offset:4
	global_load_dwordx2 v[13:14], v[13:14], off offset:20
	global_load_dword v11, v[11:12], off
	global_load_ushort v7, v[7:8], off
	v_mov_b32_e32 v8, 0
	v_mov_b32_e32 v12, 0
	s_waitcnt vmcnt(18)
	v_lshl_or_b32 v16, v17, 8, v16
	s_waitcnt vmcnt(17)
	v_lshlrev_b32_e32 v18, 16, v18
	s_waitcnt vmcnt(15)
	v_lshl_or_b32 v19, v19, 8, v29
	s_waitcnt vmcnt(14)
	v_lshlrev_b32_e32 v20, 16, v20
	s_waitcnt vmcnt(13)
	v_lshlrev_b32_e32 v17, 24, v21
	;; [unrolled: 2-line block ×3, first 2 shown]
	v_or3_b32 v15, v16, v18, v15
	s_waitcnt vmcnt(6)
	v_lshlrev_b32_e32 v21, 24, v22
	v_lshlrev_b32_e32 v22, 16, v25
	s_waitcnt vmcnt(5)
	v_lshl_or_b32 v23, v24, 8, v23
	v_lshlrev_b32_e32 v24, 24, v28
	v_lshlrev_b32_e32 v25, 16, v27
	s_waitcnt vmcnt(4)
	v_lshl_or_b32 v26, v26, 8, v30
	v_or3_b32 v16, v19, v20, v17
	v_or3_b32 v17, v23, v22, v21
	s_waitcnt vmcnt(3)
	v_dot4c_i32_i8 v8, v15, v9
	s_waitcnt vmcnt(1)
	v_cvt_f32_f16_e32 v9, v11
	v_or3_b32 v18, v26, v25, v24
	v_dot4c_i32_i8 v12, v16, v13
	s_waitcnt vmcnt(0)
	v_cvt_f32_f16_e32 v7, v7
	v_dot4c_i32_i8 v8, v17, v10
	v_dot4c_i32_i8 v12, v18, v14
	v_mul_f32_e32 v7, v7, v9
	v_add_nc_u32_e32 v8, v12, v8
	v_cvt_f32_i32_e32 v8, v8
	v_fmac_f32_e32 v3, v7, v8
	s_andn2_b32 exec_lo, exec_lo, s9
	s_cbranch_execnz .LBB251_3
; %bb.4:
	s_or_b32 exec_lo, exec_lo, s9
.LBB251_5:
	s_or_b32 exec_lo, exec_lo, s12
	v_mbcnt_lo_u32_b32 v2, -1, 0
	v_xor_b32_e32 v4, 16, v2
	v_xor_b32_e32 v5, 8, v2
	v_cmp_gt_i32_e32 vcc_lo, 32, v4
	v_cndmask_b32_e32 v4, v2, v4, vcc_lo
	v_cmp_gt_i32_e32 vcc_lo, 32, v5
	v_lshlrev_b32_e32 v4, 2, v4
	v_cndmask_b32_e32 v5, v2, v5, vcc_lo
	ds_bpermute_b32 v4, v4, v3
	v_lshlrev_b32_e32 v5, 2, v5
	s_waitcnt lgkmcnt(0)
	v_add_f32_e32 v3, v3, v4
	ds_bpermute_b32 v4, v5, v3
	v_xor_b32_e32 v5, 4, v2
	v_cmp_gt_i32_e32 vcc_lo, 32, v5
	v_cndmask_b32_e32 v5, v2, v5, vcc_lo
	v_lshlrev_b32_e32 v5, 2, v5
	s_waitcnt lgkmcnt(0)
	v_add_f32_e32 v3, v3, v4
	ds_bpermute_b32 v4, v5, v3
	v_xor_b32_e32 v5, 2, v2
	v_cmp_gt_i32_e32 vcc_lo, 32, v5
	v_cndmask_b32_e32 v5, v2, v5, vcc_lo
	;; [unrolled: 7-line block ×3, first 2 shown]
	v_cmp_eq_u32_e32 vcc_lo, 0, v0
	s_waitcnt lgkmcnt(0)
	v_add_f32_e32 v2, v3, v4
	v_lshlrev_b32_e32 v3, 2, v5
	ds_bpermute_b32 v3, v3, v2
	s_and_b32 exec_lo, exec_lo, vcc_lo
	s_cbranch_execz .LBB251_7
; %bb.6:
	v_mad_u64_u32 v[0:1], null, s2, s8, v[1:2]
	v_mov_b32_e32 v1, 0
	s_waitcnt lgkmcnt(0)
	v_add_f32_e32 v2, v2, v3
	v_lshlrev_b64 v[0:1], 2, v[0:1]
	v_add_co_u32 v0, vcc_lo, s10, v0
	v_add_co_ci_u32_e64 v1, null, s11, v1, vcc_lo
	global_store_dword v[0:1], v2, off
.LBB251_7:
	s_endpgm
	.section	.rodata,"a",@progbits
	.p2align	6, 0x0
	.amdhsa_kernel _ZL9moe_vec_qIfLi32ELi4E12block_iq4_nlLi2EXadL_ZL19vec_dot_iq4_nl_q8_1PKvPK10block_q8_1RKiEEEvS2_S2_PT_PS6_iiii
		.amdhsa_group_segment_fixed_size 0
		.amdhsa_private_segment_fixed_size 0
		.amdhsa_kernarg_size 304
		.amdhsa_user_sgpr_count 6
		.amdhsa_user_sgpr_private_segment_buffer 1
		.amdhsa_user_sgpr_dispatch_ptr 0
		.amdhsa_user_sgpr_queue_ptr 0
		.amdhsa_user_sgpr_kernarg_segment_ptr 1
		.amdhsa_user_sgpr_dispatch_id 0
		.amdhsa_user_sgpr_flat_scratch_init 0
		.amdhsa_user_sgpr_private_segment_size 0
		.amdhsa_wavefront_size32 1
		.amdhsa_uses_dynamic_stack 0
		.amdhsa_system_sgpr_private_segment_wavefront_offset 0
		.amdhsa_system_sgpr_workgroup_id_x 1
		.amdhsa_system_sgpr_workgroup_id_y 0
		.amdhsa_system_sgpr_workgroup_id_z 1
		.amdhsa_system_sgpr_workgroup_info 0
		.amdhsa_system_vgpr_workitem_id 1
		.amdhsa_next_free_vgpr 31
		.amdhsa_next_free_sgpr 20
		.amdhsa_reserve_vcc 1
		.amdhsa_reserve_flat_scratch 0
		.amdhsa_float_round_mode_32 0
		.amdhsa_float_round_mode_16_64 0
		.amdhsa_float_denorm_mode_32 3
		.amdhsa_float_denorm_mode_16_64 3
		.amdhsa_dx10_clamp 1
		.amdhsa_ieee_mode 1
		.amdhsa_fp16_overflow 0
		.amdhsa_workgroup_processor_mode 1
		.amdhsa_memory_ordered 1
		.amdhsa_forward_progress 1
		.amdhsa_shared_vgpr_count 0
		.amdhsa_exception_fp_ieee_invalid_op 0
		.amdhsa_exception_fp_denorm_src 0
		.amdhsa_exception_fp_ieee_div_zero 0
		.amdhsa_exception_fp_ieee_overflow 0
		.amdhsa_exception_fp_ieee_underflow 0
		.amdhsa_exception_fp_ieee_inexact 0
		.amdhsa_exception_int_div_zero 0
	.end_amdhsa_kernel
	.section	.text._ZL9moe_vec_qIfLi32ELi4E12block_iq4_nlLi2EXadL_ZL19vec_dot_iq4_nl_q8_1PKvPK10block_q8_1RKiEEEvS2_S2_PT_PS6_iiii,"axG",@progbits,_ZL9moe_vec_qIfLi32ELi4E12block_iq4_nlLi2EXadL_ZL19vec_dot_iq4_nl_q8_1PKvPK10block_q8_1RKiEEEvS2_S2_PT_PS6_iiii,comdat
.Lfunc_end251:
	.size	_ZL9moe_vec_qIfLi32ELi4E12block_iq4_nlLi2EXadL_ZL19vec_dot_iq4_nl_q8_1PKvPK10block_q8_1RKiEEEvS2_S2_PT_PS6_iiii, .Lfunc_end251-_ZL9moe_vec_qIfLi32ELi4E12block_iq4_nlLi2EXadL_ZL19vec_dot_iq4_nl_q8_1PKvPK10block_q8_1RKiEEEvS2_S2_PT_PS6_iiii
                                        ; -- End function
	.set _ZL9moe_vec_qIfLi32ELi4E12block_iq4_nlLi2EXadL_ZL19vec_dot_iq4_nl_q8_1PKvPK10block_q8_1RKiEEEvS2_S2_PT_PS6_iiii.num_vgpr, 31
	.set _ZL9moe_vec_qIfLi32ELi4E12block_iq4_nlLi2EXadL_ZL19vec_dot_iq4_nl_q8_1PKvPK10block_q8_1RKiEEEvS2_S2_PT_PS6_iiii.num_agpr, 0
	.set _ZL9moe_vec_qIfLi32ELi4E12block_iq4_nlLi2EXadL_ZL19vec_dot_iq4_nl_q8_1PKvPK10block_q8_1RKiEEEvS2_S2_PT_PS6_iiii.numbered_sgpr, 20
	.set _ZL9moe_vec_qIfLi32ELi4E12block_iq4_nlLi2EXadL_ZL19vec_dot_iq4_nl_q8_1PKvPK10block_q8_1RKiEEEvS2_S2_PT_PS6_iiii.num_named_barrier, 0
	.set _ZL9moe_vec_qIfLi32ELi4E12block_iq4_nlLi2EXadL_ZL19vec_dot_iq4_nl_q8_1PKvPK10block_q8_1RKiEEEvS2_S2_PT_PS6_iiii.private_seg_size, 0
	.set _ZL9moe_vec_qIfLi32ELi4E12block_iq4_nlLi2EXadL_ZL19vec_dot_iq4_nl_q8_1PKvPK10block_q8_1RKiEEEvS2_S2_PT_PS6_iiii.uses_vcc, 1
	.set _ZL9moe_vec_qIfLi32ELi4E12block_iq4_nlLi2EXadL_ZL19vec_dot_iq4_nl_q8_1PKvPK10block_q8_1RKiEEEvS2_S2_PT_PS6_iiii.uses_flat_scratch, 0
	.set _ZL9moe_vec_qIfLi32ELi4E12block_iq4_nlLi2EXadL_ZL19vec_dot_iq4_nl_q8_1PKvPK10block_q8_1RKiEEEvS2_S2_PT_PS6_iiii.has_dyn_sized_stack, 0
	.set _ZL9moe_vec_qIfLi32ELi4E12block_iq4_nlLi2EXadL_ZL19vec_dot_iq4_nl_q8_1PKvPK10block_q8_1RKiEEEvS2_S2_PT_PS6_iiii.has_recursion, 0
	.set _ZL9moe_vec_qIfLi32ELi4E12block_iq4_nlLi2EXadL_ZL19vec_dot_iq4_nl_q8_1PKvPK10block_q8_1RKiEEEvS2_S2_PT_PS6_iiii.has_indirect_call, 0
	.section	.AMDGPU.csdata,"",@progbits
; Kernel info:
; codeLenInByte = 1124
; TotalNumSgprs: 22
; NumVgprs: 31
; ScratchSize: 0
; MemoryBound: 0
; FloatMode: 240
; IeeeMode: 1
; LDSByteSize: 0 bytes/workgroup (compile time only)
; SGPRBlocks: 0
; VGPRBlocks: 3
; NumSGPRsForWavesPerEU: 22
; NumVGPRsForWavesPerEU: 31
; Occupancy: 16
; WaveLimiterHint : 1
; COMPUTE_PGM_RSRC2:SCRATCH_EN: 0
; COMPUTE_PGM_RSRC2:USER_SGPR: 6
; COMPUTE_PGM_RSRC2:TRAP_HANDLER: 0
; COMPUTE_PGM_RSRC2:TGID_X_EN: 1
; COMPUTE_PGM_RSRC2:TGID_Y_EN: 0
; COMPUTE_PGM_RSRC2:TGID_Z_EN: 1
; COMPUTE_PGM_RSRC2:TIDIG_COMP_CNT: 1
	.section	.text._ZL9moe_vec_qIfLi256ELi8E11block_iq3_sLi1EXadL_ZL18vec_dot_iq3_s_q8_1PKvPK10block_q8_1RKiEEEvS2_S2_PT_PS6_iiii,"axG",@progbits,_ZL9moe_vec_qIfLi256ELi8E11block_iq3_sLi1EXadL_ZL18vec_dot_iq3_s_q8_1PKvPK10block_q8_1RKiEEEvS2_S2_PT_PS6_iiii,comdat
	.globl	_ZL9moe_vec_qIfLi256ELi8E11block_iq3_sLi1EXadL_ZL18vec_dot_iq3_s_q8_1PKvPK10block_q8_1RKiEEEvS2_S2_PT_PS6_iiii ; -- Begin function _ZL9moe_vec_qIfLi256ELi8E11block_iq3_sLi1EXadL_ZL18vec_dot_iq3_s_q8_1PKvPK10block_q8_1RKiEEEvS2_S2_PT_PS6_iiii
	.p2align	8
	.type	_ZL9moe_vec_qIfLi256ELi8E11block_iq3_sLi1EXadL_ZL18vec_dot_iq3_s_q8_1PKvPK10block_q8_1RKiEEEvS2_S2_PT_PS6_iiii,@function
_ZL9moe_vec_qIfLi256ELi8E11block_iq3_sLi1EXadL_ZL18vec_dot_iq3_s_q8_1PKvPK10block_q8_1RKiEEEvS2_S2_PT_PS6_iiii: ; @_ZL9moe_vec_qIfLi256ELi8E11block_iq3_sLi1EXadL_ZL18vec_dot_iq3_s_q8_1PKvPK10block_q8_1RKiEEEvS2_S2_PT_PS6_iiii
; %bb.0:
	s_mov_b32 s8, s7
	s_clause 0x1
	s_load_dword s7, s[4:5], 0x3c
	s_load_dwordx4 s[0:3], s[4:5], 0x20
	s_waitcnt lgkmcnt(0)
	s_lshr_b32 s7, s7, 16
	v_mad_u64_u32 v[1:2], null, s6, s7, v[1:2]
	s_mov_b32 s6, exec_lo
	v_cmpx_gt_u32_e64 s2, v1
	s_cbranch_execz .LBB252_9
; %bb.1:
	s_load_dwordx2 s[10:11], s[4:5], 0x10
	s_ashr_i32 s6, s1, 31
	v_lshrrev_b32_e32 v18, 3, v0
	s_lshr_b32 s6, s6, 24
	v_mov_b32_e32 v19, 0
	s_add_i32 s1, s1, s6
	s_ashr_i32 s12, s1, 8
	s_mov_b32 s1, exec_lo
	v_cmpx_gt_u32_e64 s12, v18
	s_cbranch_execz .LBB252_7
; %bb.2:
	s_load_dwordx2 s[6:7], s[4:5], 0x18
	s_mov_b32 s9, 0
	v_cvt_f32_u32_e32 v2, s0
	s_lshl_b64 s[14:15], s[8:9], 2
	v_and_b32_e32 v21, 7, v0
	v_mul_lo_u32 v20, v1, s12
	v_mov_b32_e32 v19, 0
	v_rcp_iflag_f32_e32 v2, v2
	v_bfe_u32 v22, v0, 1, 2
	v_lshlrev_b32_e32 v3, 3, v21
	v_mov_b32_e32 v25, 0xffff
	v_add_nc_u32_e32 v24, v18, v20
	v_mul_f32_e32 v2, 0x4f7ffffe, v2
	s_waitcnt lgkmcnt(0)
	s_add_u32 s6, s6, s14
	s_addc_u32 s7, s7, s15
	v_cvt_u32_f32_e32 v2, v2
	s_load_dword s13, s[6:7], 0x0
	s_load_dwordx4 s[4:7], s[4:5], 0x0
	s_mul_i32 s14, s12, s2
	s_waitcnt lgkmcnt(0)
	s_mul_i32 s13, s14, s13
	v_readfirstlane_b32 s14, v2
	s_mul_i32 s15, s13, 0x6e
	s_mul_hi_i32 s13, s13, 0x6e
	s_add_u32 s4, s4, s15
	s_addc_u32 s5, s5, s13
	s_sub_i32 s13, 0, s0
	v_lshlrev_b32_e32 v2, 2, v0
	s_mul_i32 s13, s13, s14
	s_mov_b32 s15, s9
	s_mul_hi_u32 s13, s14, s13
	s_add_i32 s14, s14, s13
	v_and_b32_e32 v23, 4, v2
	s_mul_hi_u32 s13, s8, s14
	v_lshlrev_b32_e32 v2, 2, v21
	s_mul_i32 s14, s13, s0
	s_add_i32 s16, s13, 1
	s_sub_i32 s14, s8, s14
	s_sub_i32 s17, s14, s0
	s_cmp_ge_u32 s14, s0
	s_cselect_b32 s13, s16, s13
	s_cselect_b32 s14, s17, s14
	s_add_i32 s16, s13, 1
	s_cmp_ge_u32 s14, s0
	s_cselect_b32 s0, s16, s13
	v_add_co_u32 v2, s13, s4, v2
	s_mul_i32 s14, s0, s3
	v_add_co_ci_u32_e64 v4, null, s5, 0, s13
	s_lshl_b64 s[14:15], s[14:15], 2
	v_add_co_u32 v6, s0, s4, v3
	s_add_u32 s6, s6, s14
	v_add_co_ci_u32_e64 v7, null, s5, 0, s0
	v_add_co_u32 v2, vcc_lo, 0x4a, v2
	s_addc_u32 s7, s7, s15
	v_add_co_ci_u32_e64 v3, null, 0, v4, vcc_lo
	v_mad_u64_u32 v[4:5], null, v21, 36, s[6:7]
	v_add_co_u32 v6, vcc_lo, v6, 2
	v_add_co_ci_u32_e64 v7, null, 0, v7, vcc_lo
.LBB252_3:                              ; =>This Loop Header: Depth=1
                                        ;     Child Loop BB252_4 Depth 2
	v_add_nc_u32_e32 v8, v18, v20
	v_mad_i64_i32 v[12:13], null, 0x6e, v24, v[2:3]
	v_mad_i64_i32 v[14:15], null, 0x6e, v24, v[6:7]
	;; [unrolled: 1-line block ×3, first 2 shown]
	v_mov_b32_e32 v26, 0
	s_mov_b32 s0, 7
	v_add_co_u32 v10, vcc_lo, v8, v21
	v_add_co_ci_u32_e64 v11, null, 0, v9, vcc_lo
	global_load_ubyte v27, v[10:11], off offset:66
	v_lshlrev_b32_e32 v10, 3, v18
	v_mad_i64_i32 v[10:11], null, v10, 36, v[4:5]
	v_add_co_u32 v16, vcc_lo, v10, 4
	v_add_co_ci_u32_e64 v17, null, 0, v11, vcc_lo
.LBB252_4:                              ;   Parent Loop BB252_3 Depth=1
                                        ; =>  This Inner Loop Header: Depth=2
	global_load_ushort v28, v[14:15], off
	global_load_ubyte v30, v[12:13], off
	s_add_i32 s3, s0, 1
	s_waitcnt vmcnt(2)
	v_lshlrev_b32_e32 v29, s0, v27
	v_lshlrev_b32_e32 v31, s3, v27
	s_getpc_b64 s[6:7]
	s_add_u32 s6, s6, _ZL10iq3xs_grid@rel32@lo+4
	s_addc_u32 s7, s7, _ZL10iq3xs_grid@rel32@hi+12
	s_add_i32 s0, s0, -2
	s_cmp_lg_u32 s0, -1
	s_waitcnt vmcnt(1)
	v_and_b32_e32 v32, 0xff, v28
	v_and_b32_sdwa v28, v25, v28 dst_sel:DWORD dst_unused:UNUSED_PAD src0_sel:DWORD src1_sel:BYTE_1
	s_waitcnt vmcnt(0)
	v_and_b32_e32 v33, 15, v30
	v_lshrrev_b16 v30, 4, v30
	v_and_or_b32 v31, 0x100, v31, v32
	v_and_or_b32 v28, 0x100, v29, v28
	v_and_b32_e32 v33, 0xffff, v33
	v_and_b32_e32 v30, 0xffff, v30
	v_lshlrev_b32_e32 v29, 2, v31
	v_lshlrev_b32_e32 v28, 2, v28
	v_mul_lo_u32 v33, 0x1010101, v33
	v_mul_lo_u32 v30, 0x1010101, v30
	s_clause 0x1
	global_load_dword v31, v29, s[6:7]
	global_load_dword v32, v28, s[6:7]
	global_load_dwordx2 v[28:29], v[16:17], off
	v_add_co_u32 v16, vcc_lo, v16, 8
	v_add_co_ci_u32_e64 v17, null, 0, v17, vcc_lo
	v_not_b32_e32 v33, v33
	v_not_b32_e32 v30, v30
	v_and_b32_e32 v34, 0x8040201, v33
	v_and_b32_e32 v35, 0x40000, v33
	;; [unrolled: 1-line block ×5, first 2 shown]
	v_cmp_gt_u32_e32 vcc_lo, 0x1000000, v34
	v_and_b32_e32 v38, 0x40000, v30
	v_and_b32_e32 v39, 0x200, v30
	;; [unrolled: 1-line block ×3, first 2 shown]
	v_cndmask_b32_e64 v34, 0, -1, vcc_lo
	v_cmp_eq_u32_e32 vcc_lo, 0, v35
	v_lshlrev_b32_e32 v34, 24, v34
	v_cndmask_b32_e64 v35, 0, 0xff0000, vcc_lo
	v_cmp_eq_u32_e32 vcc_lo, 0, v36
	v_cndmask_b32_e64 v36, 0, 0xff00, vcc_lo
	v_cmp_eq_u32_e32 vcc_lo, 0, v33
	v_cndmask_b32_e64 v33, 0, 0xff, vcc_lo
	v_cmp_gt_u32_e32 vcc_lo, 0x1000000, v37
	v_or_b32_e32 v40, v36, v33
	v_cndmask_b32_e64 v37, 0, -1, vcc_lo
	v_cmp_eq_u32_e32 vcc_lo, 0, v38
	v_or3_b32 v40, v40, v35, v34
	v_lshlrev_b32_e32 v37, 24, v37
	v_cndmask_b32_e64 v38, 0, 0xff0000, vcc_lo
	v_cmp_eq_u32_e32 vcc_lo, 0, v39
	v_cndmask_b32_e64 v39, 0, 0xff00, vcc_lo
	v_cmp_eq_u32_e32 vcc_lo, 0, v30
	v_cndmask_b32_e64 v30, 0, 0xff, vcc_lo
	v_add_co_u32 v12, vcc_lo, v12, 1
	v_add_co_ci_u32_e64 v13, null, 0, v13, vcc_lo
	v_or_b32_e32 v41, v39, v30
	v_add_co_u32 v14, vcc_lo, v14, 2
	v_add_co_ci_u32_e64 v15, null, 0, v15, vcc_lo
	v_or3_b32 v41, v41, v38, v37
	s_waitcnt vmcnt(2)
	v_xor_b32_e32 v31, v40, v31
	s_waitcnt vmcnt(1)
	v_xor_b32_e32 v32, v41, v32
	v_sub_nc_u32_e32 v34, v31, v34
	v_sub_nc_u32_e32 v35, v31, v35
	;; [unrolled: 1-line block ×8, first 2 shown]
	v_and_b32_e32 v32, 0xff000000, v34
	v_and_b32_e32 v34, 0xff00, v36
	v_perm_b32 v31, v35, v31, 0xc060c00
	v_and_b32_e32 v33, 0xff000000, v33
	v_and_b32_e32 v35, 0xff00, v38
	v_perm_b32 v30, v37, v30, 0xc060c00
	v_or3_b32 v31, v31, v32, v34
	v_or3_b32 v30, v30, v33, v35
	s_waitcnt vmcnt(0)
	v_dot4c_i32_i8 v26, v31, v28
	v_dot4c_i32_i8 v26, v30, v29
	s_cbranch_scc1 .LBB252_4
; %bb.5:                                ;   in Loop: Header=BB252_3 Depth=1
	v_add_co_u32 v12, vcc_lo, v8, v22
	v_add_co_ci_u32_e64 v13, null, 0, v9, vcc_lo
	v_add_nc_u32_e32 v18, 4, v18
	v_add_nc_u32_e32 v24, 4, v24
	s_clause 0x1
	global_load_ubyte v12, v[12:13], off offset:106
	global_load_ushort v8, v[8:9], off
	global_load_dword v9, v[10:11], off
	v_cmp_le_u32_e32 vcc_lo, s12, v18
	s_or_b32 s9, vcc_lo, s9
	s_waitcnt vmcnt(2)
	v_bfe_u32 v10, v12, v23, 4
	s_waitcnt vmcnt(1)
	v_cvt_f32_f16_e32 v8, v8
	s_waitcnt vmcnt(0)
	v_cvt_f32_f16_e32 v9, v9
	v_cvt_f32_ubyte0_e32 v10, v10
	v_add_f32_e32 v10, 0.5, v10
	v_mul_f32_e32 v8, v10, v8
	v_mul_f32_e32 v8, v8, v9
	v_cvt_f32_i32_e32 v9, v26
	v_mul_f32_e32 v8, 0.5, v8
	v_fmac_f32_e32 v19, v8, v9
	s_andn2_b32 exec_lo, exec_lo, s9
	s_cbranch_execnz .LBB252_3
; %bb.6:
	s_or_b32 exec_lo, exec_lo, s9
.LBB252_7:
	s_or_b32 exec_lo, exec_lo, s1
	v_mbcnt_lo_u32_b32 v2, -1, 0
	v_xor_b32_e32 v3, 16, v2
	v_xor_b32_e32 v4, 8, v2
	;; [unrolled: 1-line block ×3, first 2 shown]
	v_cmp_gt_i32_e32 vcc_lo, 32, v3
	v_cndmask_b32_e32 v3, v2, v3, vcc_lo
	v_cmp_gt_i32_e32 vcc_lo, 32, v4
	v_lshlrev_b32_e32 v3, 2, v3
	v_cndmask_b32_e32 v4, v2, v4, vcc_lo
	v_cmp_gt_i32_e32 vcc_lo, 32, v5
	ds_bpermute_b32 v3, v3, v19
	v_lshlrev_b32_e32 v4, 2, v4
	v_cndmask_b32_e32 v5, v2, v5, vcc_lo
	v_lshlrev_b32_e32 v5, 2, v5
	s_waitcnt lgkmcnt(0)
	v_add_f32_e32 v3, v19, v3
	ds_bpermute_b32 v4, v4, v3
	s_waitcnt lgkmcnt(0)
	v_add_f32_e32 v3, v3, v4
	ds_bpermute_b32 v4, v5, v3
	v_xor_b32_e32 v5, 2, v2
	v_cmp_gt_i32_e32 vcc_lo, 32, v5
	v_cndmask_b32_e32 v5, v2, v5, vcc_lo
	v_lshlrev_b32_e32 v5, 2, v5
	s_waitcnt lgkmcnt(0)
	v_add_f32_e32 v3, v3, v4
	ds_bpermute_b32 v4, v5, v3
	v_xor_b32_e32 v5, 1, v2
	v_cmp_gt_i32_e32 vcc_lo, 32, v5
	v_cndmask_b32_e32 v5, v2, v5, vcc_lo
	v_cmp_eq_u32_e32 vcc_lo, 0, v0
	s_waitcnt lgkmcnt(0)
	v_add_f32_e32 v2, v3, v4
	v_lshlrev_b32_e32 v3, 2, v5
	ds_bpermute_b32 v3, v3, v2
	s_and_b32 exec_lo, exec_lo, vcc_lo
	s_cbranch_execz .LBB252_9
; %bb.8:
	v_mad_u64_u32 v[0:1], null, s2, s8, v[1:2]
	v_mov_b32_e32 v1, 0
	s_waitcnt lgkmcnt(0)
	v_add_f32_e32 v2, v2, v3
	v_lshlrev_b64 v[0:1], 2, v[0:1]
	v_add_co_u32 v0, vcc_lo, s10, v0
	v_add_co_ci_u32_e64 v1, null, s11, v1, vcc_lo
	global_store_dword v[0:1], v2, off
.LBB252_9:
	s_endpgm
	.section	.rodata,"a",@progbits
	.p2align	6, 0x0
	.amdhsa_kernel _ZL9moe_vec_qIfLi256ELi8E11block_iq3_sLi1EXadL_ZL18vec_dot_iq3_s_q8_1PKvPK10block_q8_1RKiEEEvS2_S2_PT_PS6_iiii
		.amdhsa_group_segment_fixed_size 0
		.amdhsa_private_segment_fixed_size 0
		.amdhsa_kernarg_size 304
		.amdhsa_user_sgpr_count 6
		.amdhsa_user_sgpr_private_segment_buffer 1
		.amdhsa_user_sgpr_dispatch_ptr 0
		.amdhsa_user_sgpr_queue_ptr 0
		.amdhsa_user_sgpr_kernarg_segment_ptr 1
		.amdhsa_user_sgpr_dispatch_id 0
		.amdhsa_user_sgpr_flat_scratch_init 0
		.amdhsa_user_sgpr_private_segment_size 0
		.amdhsa_wavefront_size32 1
		.amdhsa_uses_dynamic_stack 0
		.amdhsa_system_sgpr_private_segment_wavefront_offset 0
		.amdhsa_system_sgpr_workgroup_id_x 1
		.amdhsa_system_sgpr_workgroup_id_y 0
		.amdhsa_system_sgpr_workgroup_id_z 1
		.amdhsa_system_sgpr_workgroup_info 0
		.amdhsa_system_vgpr_workitem_id 1
		.amdhsa_next_free_vgpr 42
		.amdhsa_next_free_sgpr 18
		.amdhsa_reserve_vcc 1
		.amdhsa_reserve_flat_scratch 0
		.amdhsa_float_round_mode_32 0
		.amdhsa_float_round_mode_16_64 0
		.amdhsa_float_denorm_mode_32 3
		.amdhsa_float_denorm_mode_16_64 3
		.amdhsa_dx10_clamp 1
		.amdhsa_ieee_mode 1
		.amdhsa_fp16_overflow 0
		.amdhsa_workgroup_processor_mode 1
		.amdhsa_memory_ordered 1
		.amdhsa_forward_progress 1
		.amdhsa_shared_vgpr_count 0
		.amdhsa_exception_fp_ieee_invalid_op 0
		.amdhsa_exception_fp_denorm_src 0
		.amdhsa_exception_fp_ieee_div_zero 0
		.amdhsa_exception_fp_ieee_overflow 0
		.amdhsa_exception_fp_ieee_underflow 0
		.amdhsa_exception_fp_ieee_inexact 0
		.amdhsa_exception_int_div_zero 0
	.end_amdhsa_kernel
	.section	.text._ZL9moe_vec_qIfLi256ELi8E11block_iq3_sLi1EXadL_ZL18vec_dot_iq3_s_q8_1PKvPK10block_q8_1RKiEEEvS2_S2_PT_PS6_iiii,"axG",@progbits,_ZL9moe_vec_qIfLi256ELi8E11block_iq3_sLi1EXadL_ZL18vec_dot_iq3_s_q8_1PKvPK10block_q8_1RKiEEEvS2_S2_PT_PS6_iiii,comdat
.Lfunc_end252:
	.size	_ZL9moe_vec_qIfLi256ELi8E11block_iq3_sLi1EXadL_ZL18vec_dot_iq3_s_q8_1PKvPK10block_q8_1RKiEEEvS2_S2_PT_PS6_iiii, .Lfunc_end252-_ZL9moe_vec_qIfLi256ELi8E11block_iq3_sLi1EXadL_ZL18vec_dot_iq3_s_q8_1PKvPK10block_q8_1RKiEEEvS2_S2_PT_PS6_iiii
                                        ; -- End function
	.set _ZL9moe_vec_qIfLi256ELi8E11block_iq3_sLi1EXadL_ZL18vec_dot_iq3_s_q8_1PKvPK10block_q8_1RKiEEEvS2_S2_PT_PS6_iiii.num_vgpr, 42
	.set _ZL9moe_vec_qIfLi256ELi8E11block_iq3_sLi1EXadL_ZL18vec_dot_iq3_s_q8_1PKvPK10block_q8_1RKiEEEvS2_S2_PT_PS6_iiii.num_agpr, 0
	.set _ZL9moe_vec_qIfLi256ELi8E11block_iq3_sLi1EXadL_ZL18vec_dot_iq3_s_q8_1PKvPK10block_q8_1RKiEEEvS2_S2_PT_PS6_iiii.numbered_sgpr, 18
	.set _ZL9moe_vec_qIfLi256ELi8E11block_iq3_sLi1EXadL_ZL18vec_dot_iq3_s_q8_1PKvPK10block_q8_1RKiEEEvS2_S2_PT_PS6_iiii.num_named_barrier, 0
	.set _ZL9moe_vec_qIfLi256ELi8E11block_iq3_sLi1EXadL_ZL18vec_dot_iq3_s_q8_1PKvPK10block_q8_1RKiEEEvS2_S2_PT_PS6_iiii.private_seg_size, 0
	.set _ZL9moe_vec_qIfLi256ELi8E11block_iq3_sLi1EXadL_ZL18vec_dot_iq3_s_q8_1PKvPK10block_q8_1RKiEEEvS2_S2_PT_PS6_iiii.uses_vcc, 1
	.set _ZL9moe_vec_qIfLi256ELi8E11block_iq3_sLi1EXadL_ZL18vec_dot_iq3_s_q8_1PKvPK10block_q8_1RKiEEEvS2_S2_PT_PS6_iiii.uses_flat_scratch, 0
	.set _ZL9moe_vec_qIfLi256ELi8E11block_iq3_sLi1EXadL_ZL18vec_dot_iq3_s_q8_1PKvPK10block_q8_1RKiEEEvS2_S2_PT_PS6_iiii.has_dyn_sized_stack, 0
	.set _ZL9moe_vec_qIfLi256ELi8E11block_iq3_sLi1EXadL_ZL18vec_dot_iq3_s_q8_1PKvPK10block_q8_1RKiEEEvS2_S2_PT_PS6_iiii.has_recursion, 0
	.set _ZL9moe_vec_qIfLi256ELi8E11block_iq3_sLi1EXadL_ZL18vec_dot_iq3_s_q8_1PKvPK10block_q8_1RKiEEEvS2_S2_PT_PS6_iiii.has_indirect_call, 0
	.section	.AMDGPU.csdata,"",@progbits
; Kernel info:
; codeLenInByte = 1480
; TotalNumSgprs: 20
; NumVgprs: 42
; ScratchSize: 0
; MemoryBound: 0
; FloatMode: 240
; IeeeMode: 1
; LDSByteSize: 0 bytes/workgroup (compile time only)
; SGPRBlocks: 0
; VGPRBlocks: 5
; NumSGPRsForWavesPerEU: 20
; NumVGPRsForWavesPerEU: 42
; Occupancy: 16
; WaveLimiterHint : 1
; COMPUTE_PGM_RSRC2:SCRATCH_EN: 0
; COMPUTE_PGM_RSRC2:USER_SGPR: 6
; COMPUTE_PGM_RSRC2:TRAP_HANDLER: 0
; COMPUTE_PGM_RSRC2:TGID_X_EN: 1
; COMPUTE_PGM_RSRC2:TGID_Y_EN: 0
; COMPUTE_PGM_RSRC2:TGID_Z_EN: 1
; COMPUTE_PGM_RSRC2:TIDIG_COMP_CNT: 1
	.section	.text._ZL9moe_vec_qIfLi256ELi8E11block_iq2_sLi1EXadL_ZL18vec_dot_iq2_s_q8_1PKvPK10block_q8_1RKiEEEvS2_S2_PT_PS6_iiii,"axG",@progbits,_ZL9moe_vec_qIfLi256ELi8E11block_iq2_sLi1EXadL_ZL18vec_dot_iq2_s_q8_1PKvPK10block_q8_1RKiEEEvS2_S2_PT_PS6_iiii,comdat
	.globl	_ZL9moe_vec_qIfLi256ELi8E11block_iq2_sLi1EXadL_ZL18vec_dot_iq2_s_q8_1PKvPK10block_q8_1RKiEEEvS2_S2_PT_PS6_iiii ; -- Begin function _ZL9moe_vec_qIfLi256ELi8E11block_iq2_sLi1EXadL_ZL18vec_dot_iq2_s_q8_1PKvPK10block_q8_1RKiEEEvS2_S2_PT_PS6_iiii
	.p2align	8
	.type	_ZL9moe_vec_qIfLi256ELi8E11block_iq2_sLi1EXadL_ZL18vec_dot_iq2_s_q8_1PKvPK10block_q8_1RKiEEEvS2_S2_PT_PS6_iiii,@function
_ZL9moe_vec_qIfLi256ELi8E11block_iq2_sLi1EXadL_ZL18vec_dot_iq2_s_q8_1PKvPK10block_q8_1RKiEEEvS2_S2_PT_PS6_iiii: ; @_ZL9moe_vec_qIfLi256ELi8E11block_iq2_sLi1EXadL_ZL18vec_dot_iq2_s_q8_1PKvPK10block_q8_1RKiEEEvS2_S2_PT_PS6_iiii
; %bb.0:
	s_mov_b32 s8, s7
	s_clause 0x1
	s_load_dword s7, s[4:5], 0x3c
	s_load_dwordx4 s[0:3], s[4:5], 0x20
	s_waitcnt lgkmcnt(0)
	s_lshr_b32 s7, s7, 16
	v_mad_u64_u32 v[5:6], null, s6, s7, v[1:2]
	s_mov_b32 s6, exec_lo
	v_cmpx_gt_u32_e64 s2, v5
	s_cbranch_execz .LBB253_7
; %bb.1:
	s_load_dwordx2 s[6:7], s[4:5], 0x10
	s_ashr_i32 s9, s1, 31
	v_lshrrev_b32_e32 v12, 3, v0
	s_lshr_b32 s9, s9, 24
	v_mov_b32_e32 v13, 0
	s_add_i32 s1, s1, s9
	s_mov_b32 s10, exec_lo
	s_ashr_i32 s11, s1, 8
	v_cmpx_gt_u32_e64 s11, v12
	s_cbranch_execz .LBB253_5
; %bb.2:
	s_load_dwordx2 s[12:13], s[4:5], 0x18
	s_mov_b32 s9, 0
	v_cvt_f32_u32_e32 v1, s0
	s_lshl_b64 s[14:15], s[8:9], 2
	v_and_b32_e32 v14, 7, v0
	v_mul_lo_u32 v15, v5, s11
	v_mov_b32_e32 v13, 0
	v_rcp_iflag_f32_e32 v1, v1
	v_lshlrev_b32_e32 v17, 3, v12
	v_lshlrev_b32_e32 v16, 2, v14
	v_mul_f32_e32 v1, 0x4f7ffffe, v1
	s_waitcnt lgkmcnt(0)
	s_add_u32 s12, s12, s14
	s_addc_u32 s13, s13, s15
	v_cvt_u32_f32_e32 v1, v1
	s_load_dword s1, s[12:13], 0x0
	s_load_dwordx4 s[12:15], s[4:5], 0x0
	s_mul_i32 s4, s11, s2
	v_readfirstlane_b32 s16, v1
	s_waitcnt lgkmcnt(0)
	s_mul_i32 s1, s4, s1
	s_mul_i32 s4, s1, 0x52
	s_mul_hi_i32 s1, s1, 0x52
	s_add_u32 s4, s12, s4
	s_addc_u32 s5, s13, s1
	s_sub_i32 s1, 0, s0
	s_mul_i32 s1, s1, s16
	s_mul_hi_u32 s1, s16, s1
	s_add_i32 s16, s16, s1
	s_mul_hi_u32 s1, s8, s16
	s_mul_i32 s12, s1, s0
	s_add_i32 s13, s1, 1
	s_sub_i32 s12, s8, s12
	s_sub_i32 s16, s12, s0
	s_cmp_ge_u32 s12, s0
	s_cselect_b32 s1, s13, s1
	s_cselect_b32 s12, s16, s12
	s_add_i32 s13, s1, 1
	s_cmp_ge_u32 s12, s0
	s_cselect_b32 s0, s13, s1
	s_mov_b32 s1, s9
	s_mul_i32 s0, s0, s3
	s_lshl_b64 s[0:1], s[0:1], 2
	s_add_u32 s0, s14, s0
	s_addc_u32 s1, s15, s1
	v_mad_u64_u32 v[6:7], null, v14, 36, s[0:1]
.LBB253_3:                              ; =>This Inner Loop Header: Depth=1
	v_add_nc_u32_e32 v1, v15, v12
	v_mad_i64_i32 v[10:11], null, v17, 36, v[6:7]
	s_getpc_b64 s[0:1]
	s_add_u32 s0, s0, _ZL9iq2s_grid@rel32@lo+4
	s_addc_u32 s1, s1, _ZL9iq2s_grid@rel32@hi+12
	v_add_nc_u32_e32 v12, 4, v12
	v_mad_i64_i32 v[8:9], null, 0x52, v1, s[4:5]
	v_add_nc_u32_e32 v17, 32, v17
	s_clause 0x1
	global_load_dwordx4 v[1:4], v[10:11], off
	global_load_dword v18, v[10:11], off offset:32
	v_add_co_u32 v19, vcc_lo, v8, v16
	v_add_co_ci_u32_e64 v20, null, 0, v9, vcc_lo
	v_add_co_u32 v21, vcc_lo, v8, v14
	v_add_co_ci_u32_e64 v22, null, 0, v9, vcc_lo
	s_clause 0x3
	global_load_dword v23, v[19:20], off offset:2
	global_load_ubyte v24, v[21:22], off offset:66
	global_load_dword v20, v[19:20], off offset:34
	global_load_ubyte v19, v[21:22], off offset:74
	s_waitcnt vmcnt(5)
	v_cvt_f32_f16_e32 v1, v1
	s_waitcnt vmcnt(3)
	v_and_b32_e32 v22, 0xff, v23
	s_waitcnt vmcnt(2)
	v_lshlrev_b32_e32 v25, 8, v24
	s_waitcnt vmcnt(1)
	v_and_b32_e32 v28, 15, v20
	v_lshrrev_b16 v29, 4, v20
	v_bfe_u32 v30, v23, 8, 8
	v_lshlrev_b32_e32 v31, 6, v24
	v_lshrrev_b32_e32 v21, 24, v23
	v_lshrrev_b32_e32 v26, 8, v20
	;; [unrolled: 1-line block ×3, first 2 shown]
	v_bfe_u32 v32, v20, 8, 4
	v_bfe_u32 v23, v23, 16, 8
	v_lshlrev_b32_e32 v33, 4, v24
	v_bfe_u32 v34, v20, 16, 4
	v_bfe_u32 v35, v20, 20, 4
	;; [unrolled: 1-line block ×3, first 2 shown]
	v_lshlrev_b32_e32 v24, 2, v24
	v_and_or_b32 v22, 0x300, v25, v22
	v_mul_lo_u32 v25, 0x1010101, v28
	v_and_b32_e32 v28, 15, v29
	v_and_or_b32 v29, 0x300, v31, v30
	v_lshrrev_b16 v26, 4, v26
	v_and_or_b32 v23, 0x300, v33, v23
	v_mul_lo_u32 v20, 0x1010101, v20
	v_and_or_b32 v21, 0x300, v24, v21
	v_lshrrev_b16 v24, 4, v27
	v_lshlrev_b32_e32 v22, 3, v22
	v_lshlrev_b32_e32 v27, 3, v29
	v_and_b32_e32 v29, 15, v26
	v_lshlrev_b32_e32 v26, 3, v23
	v_lshlrev_b32_e32 v33, 3, v21
	v_mul_lo_u32 v30, 0x1010101, v32
	v_mul_lo_u32 v31, 0x1010101, v34
	;; [unrolled: 1-line block ×3, first 2 shown]
	v_and_b32_e32 v34, 0xffff, v24
	v_not_b32_e32 v35, v25
	v_not_b32_e32 v36, v20
	s_clause 0x3
	global_load_dwordx2 v[20:21], v22, s[0:1]
	global_load_dwordx2 v[22:23], v27, s[0:1]
	;; [unrolled: 1-line block ×4, first 2 shown]
	v_and_b32_e32 v28, 0xffff, v28
	v_mul_lo_u32 v33, 0x1010101, v34
	v_and_b32_e32 v34, 0x8040201, v35
	v_and_b32_e32 v37, 0x40000, v35
	;; [unrolled: 1-line block ×3, first 2 shown]
	v_not_b32_e32 v30, v30
	v_and_b32_e32 v35, 1, v35
	v_cmp_gt_u32_e32 vcc_lo, 0x1000000, v34
	v_not_b32_e32 v31, v31
	v_not_b32_e32 v32, v32
	v_and_b32_e32 v39, 0x8040201, v30
	v_and_b32_e32 v40, 0x40000, v30
	v_cndmask_b32_e64 v34, 0, -1, vcc_lo
	v_cmp_eq_u32_e32 vcc_lo, 0, v37
	v_and_b32_e32 v41, 0x200, v30
	v_and_b32_e32 v30, 1, v30
	v_and_b32_e32 v42, 0x8040201, v31
	v_and_b32_e32 v43, 0x40000, v31
	v_cndmask_b32_e64 v37, 0, 0xff0000, vcc_lo
	v_cmp_eq_u32_e32 vcc_lo, 0, v38
	v_and_b32_e32 v44, 0x200, v31
	v_and_b32_e32 v31, 1, v31
	v_and_b32_e32 v45, 0x8040201, v32
	v_and_b32_e32 v46, 0x40000, v32
	v_cndmask_b32_e64 v38, 0, 0xff00, vcc_lo
	;; [unrolled: 6-line block ×3, first 2 shown]
	v_cmp_gt_u32_e32 vcc_lo, 0x1000000, v39
	v_mul_lo_u32 v28, 0x1010101, v28
	v_and_b32_e32 v50, 0x200, v36
	v_and_b32_e32 v36, 1, v36
	;; [unrolled: 1-line block ×3, first 2 shown]
	v_cndmask_b32_e64 v39, 0, -1, vcc_lo
	v_cmp_eq_u32_e32 vcc_lo, 0, v40
	v_lshlrev_b32_e32 v34, 24, v34
	v_or_b32_e32 v51, v38, v35
	v_not_b32_e32 v28, v28
	v_mul_lo_u32 v29, 0x1010101, v29
	v_cndmask_b32_e64 v40, 0, 0xff0000, vcc_lo
	v_cmp_eq_u32_e32 vcc_lo, 0, v41
	v_not_b32_e32 v33, v33
	v_and_b32_e32 v52, 0x8040201, v28
	v_and_b32_e32 v53, 0x40000, v28
	;; [unrolled: 1-line block ×3, first 2 shown]
	v_cndmask_b32_e64 v41, 0, 0xff00, vcc_lo
	v_cmp_eq_u32_e32 vcc_lo, 0, v30
	v_not_b32_e32 v29, v29
	v_and_b32_e32 v28, 1, v28
	v_lshlrev_b32_e32 v39, 24, v39
	v_or3_b32 v51, v51, v37, v34
	v_cndmask_b32_e64 v30, 0, 0xff, vcc_lo
	v_cmp_gt_u32_e32 vcc_lo, 0x1000000, v42
	v_and_b32_e32 v60, 0x8040201, v29
	v_and_b32_e32 v61, 0x200, v29
	;; [unrolled: 1-line block ×4, first 2 shown]
	v_cndmask_b32_e64 v42, 0, -1, vcc_lo
	v_cmp_eq_u32_e32 vcc_lo, 0, v43
	v_cmp_gt_u32_e64 s0, 0x1000000, v60
	v_or_b32_e32 v55, v41, v30
	v_and_b32_e32 v58, 0x40000, v33
	v_lshlrev_b32_e32 v42, 24, v42
	v_cndmask_b32_e64 v43, 0, 0xff0000, vcc_lo
	v_cmp_eq_u32_e32 vcc_lo, 0, v44
	v_cndmask_b32_e64 v60, 0, -1, s0
	v_cmp_eq_u32_e64 s0, 0, v61
	v_or3_b32 v55, v55, v40, v39
	v_cndmask_b32_e64 v44, 0, 0xff00, vcc_lo
	v_cmp_eq_u32_e32 vcc_lo, 0, v31
	v_cndmask_b32_e64 v61, 0, 0xff00, s0
	v_cmp_eq_u32_e64 s0, 0, v29
	v_lshlrev_b32_e32 v60, 24, v60
	v_cndmask_b32_e64 v31, 0, 0xff, vcc_lo
	v_cmp_gt_u32_e32 vcc_lo, 0x1000000, v45
	v_cndmask_b32_e64 v29, 0, 0xff, s0
	v_or_b32_e32 v56, v44, v31
	v_cndmask_b32_e64 v45, 0, -1, vcc_lo
	v_cmp_eq_u32_e32 vcc_lo, 0, v46
	v_lshlrev_b32_e32 v45, 24, v45
	v_cndmask_b32_e64 v46, 0, 0xff0000, vcc_lo
	v_cmp_eq_u32_e32 vcc_lo, 0, v47
	v_cndmask_b32_e64 v47, 0, 0xff00, vcc_lo
	v_cmp_eq_u32_e32 vcc_lo, 0, v32
	v_cndmask_b32_e64 v32, 0, 0xff, vcc_lo
	v_cmp_gt_u32_e32 vcc_lo, 0x1000000, v48
	v_or_b32_e32 v57, v47, v32
	v_cndmask_b32_e64 v48, 0, -1, vcc_lo
	v_cmp_eq_u32_e32 vcc_lo, 0, v49
	v_lshlrev_b32_e32 v48, 24, v48
	v_cndmask_b32_e64 v49, 0, 0xff0000, vcc_lo
	v_cmp_eq_u32_e32 vcc_lo, 0, v50
	v_cndmask_b32_e64 v50, 0, 0xff00, vcc_lo
	v_cmp_eq_u32_e32 vcc_lo, 0, v36
	v_cndmask_b32_e64 v36, 0, 0xff, vcc_lo
	v_cmp_gt_u32_e32 vcc_lo, 0x1000000, v52
	v_cndmask_b32_e64 v52, 0, -1, vcc_lo
	v_cmp_eq_u32_e32 vcc_lo, 0, v53
	v_lshlrev_b32_e32 v52, 24, v52
	v_cndmask_b32_e64 v53, 0, 0xff0000, vcc_lo
	v_cmp_eq_u32_e32 vcc_lo, 0, v54
	v_cndmask_b32_e64 v54, 0, 0xff00, vcc_lo
	v_cmp_eq_u32_e32 vcc_lo, 0, v28
	;; [unrolled: 2-line block ×3, first 2 shown]
	v_or_b32_e32 v59, v54, v28
	v_cndmask_b32_e64 v62, 0, 0xff0000, vcc_lo
	v_cmp_eq_u32_e32 vcc_lo, 0, v58
	v_or3_b32 v59, v59, v53, v52
	s_waitcnt vmcnt(3)
	v_xor_b32_e32 v51, v51, v20
	v_xor_b32_e32 v59, v59, v21
	v_or_b32_e32 v20, v61, v29
	v_and_b32_e32 v21, 0x8040201, v33
	s_waitcnt vmcnt(2)
	v_xor_b32_e32 v55, v55, v22
	v_and_b32_e32 v22, 0x200, v33
	v_sub_nc_u32_e32 v35, v51, v35
	v_or3_b32 v20, v20, v62, v60
	v_cmp_gt_u32_e64 s0, 0x1000000, v21
	v_sub_nc_u32_e32 v40, v55, v40
	v_sub_nc_u32_e32 v30, v55, v30
	;; [unrolled: 1-line block ×3, first 2 shown]
	v_xor_b32_e32 v63, v20, v23
	v_and_b32_e32 v23, 1, v33
	v_cndmask_b32_e64 v21, 0, -1, s0
	v_cmp_eq_u32_e64 s0, 0, v22
	v_or3_b32 v33, v56, v43, v42
	v_or3_b32 v56, v57, v46, v45
	v_or_b32_e32 v20, v50, v36
	v_perm_b32 v30, v40, v30, 0xc060c00
	v_cndmask_b32_e64 v57, 0, 0xff00, s0
	v_cmp_eq_u32_e64 s0, 0, v23
	s_waitcnt vmcnt(1)
	v_xor_b32_e32 v24, v33, v24
	v_xor_b32_e32 v25, v56, v25
	v_cndmask_b32_e64 v33, 0, 0xff0000, vcc_lo
	v_lshlrev_b32_e32 v56, 24, v21
	v_cndmask_b32_e64 v58, 0, 0xff, s0
	v_or3_b32 v20, v20, v49, v48
	v_sub_nc_u32_e32 v42, v24, v42
	v_sub_nc_u32_e32 v43, v24, v43
	;; [unrolled: 1-line block ×3, first 2 shown]
	v_or_b32_e32 v21, v57, v58
	s_waitcnt vmcnt(0)
	v_xor_b32_e32 v26, v20, v26
	v_sub_nc_u32_e32 v24, v24, v31
	v_sub_nc_u32_e32 v31, v25, v45
	;; [unrolled: 1-line block ×3, first 2 shown]
	v_or3_b32 v21, v21, v33, v56
	v_sub_nc_u32_e32 v46, v25, v47
	v_sub_nc_u32_e32 v25, v25, v32
	v_and_b32_e32 v40, 0xff000000, v42
	v_and_b32_e32 v42, 0xff00, v44
	v_xor_b32_e32 v27, v21, v27
	global_load_dwordx4 v[20:23], v[10:11], off offset:16
	global_load_ushort v8, v[8:9], off
	v_sub_nc_u32_e32 v10, v51, v34
	v_sub_nc_u32_e32 v11, v51, v37
	;; [unrolled: 1-line block ×3, first 2 shown]
	v_perm_b32 v24, v43, v24, 0xc060c00
	v_mov_b32_e32 v9, 0
	v_sub_nc_u32_e32 v38, v59, v52
	v_sub_nc_u32_e32 v51, v59, v53
	;; [unrolled: 1-line block ×11, first 2 shown]
	v_and_b32_e32 v10, 0xff000000, v10
	v_perm_b32 v11, v11, v35, 0xc060c00
	v_and_b32_e32 v31, 0xff000000, v31
	v_and_b32_e32 v43, 0xff00, v46
	v_perm_b32 v25, v45, v25, 0xc060c00
	v_and_b32_e32 v34, 0xff00, v34
	v_or3_b32 v24, v24, v40, v42
	v_mov_b32_e32 v37, 0
	v_sub_nc_u32_e32 v39, v55, v39
	v_sub_nc_u32_e32 v41, v55, v41
	v_and_b32_e32 v35, 0xff000000, v38
	v_perm_b32 v28, v51, v28, 0xc060c00
	v_and_b32_e32 v32, 0xff000000, v32
	v_and_b32_e32 v44, 0xff00, v48
	v_perm_b32 v26, v47, v26, 0xc060c00
	v_perm_b32 v27, v33, v27, 0xc060c00
	v_and_b32_e32 v33, 0xff00, v52
	v_or3_b32 v25, v25, v31, v43
	v_or3_b32 v10, v11, v10, v34
	v_sub_nc_u32_e32 v54, v63, v60
	v_sub_nc_u32_e32 v55, v63, v62
	v_sub_nc_u32_e32 v59, v63, v61
	v_sub_nc_u32_e32 v29, v63, v29
	v_and_b32_e32 v38, 0xff000000, v39
	v_and_b32_e32 v36, 0xff000000, v36
	;; [unrolled: 1-line block ×4, first 2 shown]
	v_dot4c_i32_i8 v37, v10, v2
	v_lshrrev_b16 v53, 4, v19
	v_and_b32_e32 v39, 0xff000000, v54
	v_perm_b32 v29, v55, v29, 0xc060c00
	v_and_b32_e32 v2, 0xff00, v59
	v_or3_b32 v10, v27, v36, v45
	v_or3_b32 v11, v30, v38, v11
	v_cmp_le_u32_e32 vcc_lo, s11, v12
	v_or3_b32 v2, v29, v39, v2
	s_or_b32 s9, vcc_lo, s9
	s_waitcnt vmcnt(1)
	v_dot4c_i32_i8 v9, v24, v21
	v_or3_b32 v21, v26, v32, v44
	v_or3_b32 v24, v28, v35, v33
	v_dot4c_i32_i8 v9, v25, v22
	v_dot4c_i32_i8 v37, v24, v3
	v_and_b32_e32 v3, 15, v19
	v_cvt_f32_ubyte0_e32 v19, v53
	v_dot4c_i32_i8 v9, v21, v23
	v_dot4c_i32_i8 v37, v11, v4
	s_waitcnt vmcnt(0)
	v_cvt_f32_f16_e32 v4, v8
	v_cvt_f32_ubyte0_e32 v3, v3
	v_dot4c_i32_i8 v9, v10, v18
	v_add_f32_e32 v8, 0.5, v19
	v_dot4c_i32_i8 v37, v2, v20
	v_mul_f32_e32 v1, v4, v1
	v_add_f32_e32 v3, 0.5, v3
	v_cvt_f32_i32_e32 v2, v9
	v_cvt_f32_i32_e32 v4, v37
	v_mul_f32_e32 v1, 0x3e800000, v1
	v_mul_f32_e32 v2, v8, v2
	v_fmac_f32_e32 v2, v3, v4
	v_fmac_f32_e32 v13, v1, v2
	s_andn2_b32 exec_lo, exec_lo, s9
	s_cbranch_execnz .LBB253_3
; %bb.4:
	s_or_b32 exec_lo, exec_lo, s9
.LBB253_5:
	s_or_b32 exec_lo, exec_lo, s10
	v_mbcnt_lo_u32_b32 v1, -1, 0
	v_xor_b32_e32 v2, 16, v1
	v_xor_b32_e32 v3, 8, v1
	v_xor_b32_e32 v4, 4, v1
	v_cmp_gt_i32_e32 vcc_lo, 32, v2
	v_cndmask_b32_e32 v2, v1, v2, vcc_lo
	v_cmp_gt_i32_e32 vcc_lo, 32, v3
	v_lshlrev_b32_e32 v2, 2, v2
	v_cndmask_b32_e32 v3, v1, v3, vcc_lo
	v_cmp_gt_i32_e32 vcc_lo, 32, v4
	ds_bpermute_b32 v2, v2, v13
	v_lshlrev_b32_e32 v3, 2, v3
	v_cndmask_b32_e32 v4, v1, v4, vcc_lo
	v_lshlrev_b32_e32 v4, 2, v4
	s_waitcnt lgkmcnt(0)
	v_add_f32_e32 v2, v13, v2
	ds_bpermute_b32 v3, v3, v2
	s_waitcnt lgkmcnt(0)
	v_add_f32_e32 v2, v2, v3
	ds_bpermute_b32 v3, v4, v2
	v_xor_b32_e32 v4, 2, v1
	v_cmp_gt_i32_e32 vcc_lo, 32, v4
	v_cndmask_b32_e32 v4, v1, v4, vcc_lo
	v_lshlrev_b32_e32 v4, 2, v4
	s_waitcnt lgkmcnt(0)
	v_add_f32_e32 v2, v2, v3
	ds_bpermute_b32 v3, v4, v2
	v_xor_b32_e32 v4, 1, v1
	v_cmp_gt_i32_e32 vcc_lo, 32, v4
	v_cndmask_b32_e32 v4, v1, v4, vcc_lo
	v_cmp_eq_u32_e32 vcc_lo, 0, v0
	s_waitcnt lgkmcnt(0)
	v_add_f32_e32 v1, v2, v3
	v_lshlrev_b32_e32 v2, 2, v4
	ds_bpermute_b32 v2, v2, v1
	s_and_b32 exec_lo, exec_lo, vcc_lo
	s_cbranch_execz .LBB253_7
; %bb.6:
	v_mad_u64_u32 v[3:4], null, s2, s8, v[5:6]
	v_mov_b32_e32 v4, 0
	s_waitcnt lgkmcnt(0)
	v_add_f32_e32 v2, v1, v2
	v_lshlrev_b64 v[3:4], 2, v[3:4]
	v_add_co_u32 v0, vcc_lo, s6, v3
	v_add_co_ci_u32_e64 v1, null, s7, v4, vcc_lo
	global_store_dword v[0:1], v2, off
.LBB253_7:
	s_endpgm
	.section	.rodata,"a",@progbits
	.p2align	6, 0x0
	.amdhsa_kernel _ZL9moe_vec_qIfLi256ELi8E11block_iq2_sLi1EXadL_ZL18vec_dot_iq2_s_q8_1PKvPK10block_q8_1RKiEEEvS2_S2_PT_PS6_iiii
		.amdhsa_group_segment_fixed_size 0
		.amdhsa_private_segment_fixed_size 0
		.amdhsa_kernarg_size 304
		.amdhsa_user_sgpr_count 6
		.amdhsa_user_sgpr_private_segment_buffer 1
		.amdhsa_user_sgpr_dispatch_ptr 0
		.amdhsa_user_sgpr_queue_ptr 0
		.amdhsa_user_sgpr_kernarg_segment_ptr 1
		.amdhsa_user_sgpr_dispatch_id 0
		.amdhsa_user_sgpr_flat_scratch_init 0
		.amdhsa_user_sgpr_private_segment_size 0
		.amdhsa_wavefront_size32 1
		.amdhsa_uses_dynamic_stack 0
		.amdhsa_system_sgpr_private_segment_wavefront_offset 0
		.amdhsa_system_sgpr_workgroup_id_x 1
		.amdhsa_system_sgpr_workgroup_id_y 0
		.amdhsa_system_sgpr_workgroup_id_z 1
		.amdhsa_system_sgpr_workgroup_info 0
		.amdhsa_system_vgpr_workitem_id 1
		.amdhsa_next_free_vgpr 64
		.amdhsa_next_free_sgpr 17
		.amdhsa_reserve_vcc 1
		.amdhsa_reserve_flat_scratch 0
		.amdhsa_float_round_mode_32 0
		.amdhsa_float_round_mode_16_64 0
		.amdhsa_float_denorm_mode_32 3
		.amdhsa_float_denorm_mode_16_64 3
		.amdhsa_dx10_clamp 1
		.amdhsa_ieee_mode 1
		.amdhsa_fp16_overflow 0
		.amdhsa_workgroup_processor_mode 1
		.amdhsa_memory_ordered 1
		.amdhsa_forward_progress 1
		.amdhsa_shared_vgpr_count 0
		.amdhsa_exception_fp_ieee_invalid_op 0
		.amdhsa_exception_fp_denorm_src 0
		.amdhsa_exception_fp_ieee_div_zero 0
		.amdhsa_exception_fp_ieee_overflow 0
		.amdhsa_exception_fp_ieee_underflow 0
		.amdhsa_exception_fp_ieee_inexact 0
		.amdhsa_exception_int_div_zero 0
	.end_amdhsa_kernel
	.section	.text._ZL9moe_vec_qIfLi256ELi8E11block_iq2_sLi1EXadL_ZL18vec_dot_iq2_s_q8_1PKvPK10block_q8_1RKiEEEvS2_S2_PT_PS6_iiii,"axG",@progbits,_ZL9moe_vec_qIfLi256ELi8E11block_iq2_sLi1EXadL_ZL18vec_dot_iq2_s_q8_1PKvPK10block_q8_1RKiEEEvS2_S2_PT_PS6_iiii,comdat
.Lfunc_end253:
	.size	_ZL9moe_vec_qIfLi256ELi8E11block_iq2_sLi1EXadL_ZL18vec_dot_iq2_s_q8_1PKvPK10block_q8_1RKiEEEvS2_S2_PT_PS6_iiii, .Lfunc_end253-_ZL9moe_vec_qIfLi256ELi8E11block_iq2_sLi1EXadL_ZL18vec_dot_iq2_s_q8_1PKvPK10block_q8_1RKiEEEvS2_S2_PT_PS6_iiii
                                        ; -- End function
	.set _ZL9moe_vec_qIfLi256ELi8E11block_iq2_sLi1EXadL_ZL18vec_dot_iq2_s_q8_1PKvPK10block_q8_1RKiEEEvS2_S2_PT_PS6_iiii.num_vgpr, 64
	.set _ZL9moe_vec_qIfLi256ELi8E11block_iq2_sLi1EXadL_ZL18vec_dot_iq2_s_q8_1PKvPK10block_q8_1RKiEEEvS2_S2_PT_PS6_iiii.num_agpr, 0
	.set _ZL9moe_vec_qIfLi256ELi8E11block_iq2_sLi1EXadL_ZL18vec_dot_iq2_s_q8_1PKvPK10block_q8_1RKiEEEvS2_S2_PT_PS6_iiii.numbered_sgpr, 17
	.set _ZL9moe_vec_qIfLi256ELi8E11block_iq2_sLi1EXadL_ZL18vec_dot_iq2_s_q8_1PKvPK10block_q8_1RKiEEEvS2_S2_PT_PS6_iiii.num_named_barrier, 0
	.set _ZL9moe_vec_qIfLi256ELi8E11block_iq2_sLi1EXadL_ZL18vec_dot_iq2_s_q8_1PKvPK10block_q8_1RKiEEEvS2_S2_PT_PS6_iiii.private_seg_size, 0
	.set _ZL9moe_vec_qIfLi256ELi8E11block_iq2_sLi1EXadL_ZL18vec_dot_iq2_s_q8_1PKvPK10block_q8_1RKiEEEvS2_S2_PT_PS6_iiii.uses_vcc, 1
	.set _ZL9moe_vec_qIfLi256ELi8E11block_iq2_sLi1EXadL_ZL18vec_dot_iq2_s_q8_1PKvPK10block_q8_1RKiEEEvS2_S2_PT_PS6_iiii.uses_flat_scratch, 0
	.set _ZL9moe_vec_qIfLi256ELi8E11block_iq2_sLi1EXadL_ZL18vec_dot_iq2_s_q8_1PKvPK10block_q8_1RKiEEEvS2_S2_PT_PS6_iiii.has_dyn_sized_stack, 0
	.set _ZL9moe_vec_qIfLi256ELi8E11block_iq2_sLi1EXadL_ZL18vec_dot_iq2_s_q8_1PKvPK10block_q8_1RKiEEEvS2_S2_PT_PS6_iiii.has_recursion, 0
	.set _ZL9moe_vec_qIfLi256ELi8E11block_iq2_sLi1EXadL_ZL18vec_dot_iq2_s_q8_1PKvPK10block_q8_1RKiEEEvS2_S2_PT_PS6_iiii.has_indirect_call, 0
	.section	.AMDGPU.csdata,"",@progbits
; Kernel info:
; codeLenInByte = 2584
; TotalNumSgprs: 19
; NumVgprs: 64
; ScratchSize: 0
; MemoryBound: 0
; FloatMode: 240
; IeeeMode: 1
; LDSByteSize: 0 bytes/workgroup (compile time only)
; SGPRBlocks: 0
; VGPRBlocks: 7
; NumSGPRsForWavesPerEU: 19
; NumVGPRsForWavesPerEU: 64
; Occupancy: 16
; WaveLimiterHint : 1
; COMPUTE_PGM_RSRC2:SCRATCH_EN: 0
; COMPUTE_PGM_RSRC2:USER_SGPR: 6
; COMPUTE_PGM_RSRC2:TRAP_HANDLER: 0
; COMPUTE_PGM_RSRC2:TGID_X_EN: 1
; COMPUTE_PGM_RSRC2:TGID_Y_EN: 0
; COMPUTE_PGM_RSRC2:TGID_Z_EN: 1
; COMPUTE_PGM_RSRC2:TIDIG_COMP_CNT: 1
	.section	.text._ZL9moe_vec_qIfLi256ELi8E12block_iq4_xsLi1EXadL_ZL19vec_dot_iq4_xs_q8_1PKvPK10block_q8_1RKiEEEvS2_S2_PT_PS6_iiii,"axG",@progbits,_ZL9moe_vec_qIfLi256ELi8E12block_iq4_xsLi1EXadL_ZL19vec_dot_iq4_xs_q8_1PKvPK10block_q8_1RKiEEEvS2_S2_PT_PS6_iiii,comdat
	.globl	_ZL9moe_vec_qIfLi256ELi8E12block_iq4_xsLi1EXadL_ZL19vec_dot_iq4_xs_q8_1PKvPK10block_q8_1RKiEEEvS2_S2_PT_PS6_iiii ; -- Begin function _ZL9moe_vec_qIfLi256ELi8E12block_iq4_xsLi1EXadL_ZL19vec_dot_iq4_xs_q8_1PKvPK10block_q8_1RKiEEEvS2_S2_PT_PS6_iiii
	.p2align	8
	.type	_ZL9moe_vec_qIfLi256ELi8E12block_iq4_xsLi1EXadL_ZL19vec_dot_iq4_xs_q8_1PKvPK10block_q8_1RKiEEEvS2_S2_PT_PS6_iiii,@function
_ZL9moe_vec_qIfLi256ELi8E12block_iq4_xsLi1EXadL_ZL19vec_dot_iq4_xs_q8_1PKvPK10block_q8_1RKiEEEvS2_S2_PT_PS6_iiii: ; @_ZL9moe_vec_qIfLi256ELi8E12block_iq4_xsLi1EXadL_ZL19vec_dot_iq4_xs_q8_1PKvPK10block_q8_1RKiEEEvS2_S2_PT_PS6_iiii
; %bb.0:
	s_mov_b32 s8, s7
	s_clause 0x1
	s_load_dword s7, s[4:5], 0x3c
	s_load_dwordx4 s[0:3], s[4:5], 0x20
	s_waitcnt lgkmcnt(0)
	s_lshr_b32 s7, s7, 16
	v_mad_u64_u32 v[1:2], null, s6, s7, v[1:2]
	s_mov_b32 s6, exec_lo
	v_cmpx_gt_u32_e64 s2, v1
	s_cbranch_execz .LBB254_7
; %bb.1:
	s_load_dwordx2 s[10:11], s[4:5], 0x10
	s_ashr_i32 s6, s1, 31
	v_lshrrev_b32_e32 v4, 3, v0
	s_lshr_b32 s6, s6, 24
	v_mov_b32_e32 v5, 0
	s_add_i32 s1, s1, s6
	s_mov_b32 s12, exec_lo
	s_ashr_i32 s13, s1, 8
	v_cmpx_gt_u32_e64 s13, v4
	s_cbranch_execz .LBB254_5
; %bb.2:
	s_load_dwordx2 s[6:7], s[4:5], 0x18
	s_mov_b32 s9, 0
	v_cvt_f32_u32_e32 v2, s0
	s_lshl_b64 s[14:15], s[8:9], 2
	v_and_b32_e32 v9, 7, v0
	v_lshlrev_b32_e32 v8, 2, v0
	v_mul_lo_u32 v6, v1, s13
	v_rcp_iflag_f32_e32 v2, v2
	v_mov_b32_e32 v5, 0
	v_lshlrev_b32_e32 v11, 2, v9
	v_bfe_u32 v7, v0, 1, 2
	v_and_b32_e32 v8, 4, v8
	v_lshlrev_b32_e32 v10, 3, v4
	v_lshlrev_b32_e32 v11, 2, v11
	v_mul_f32_e32 v2, 0x4f7ffffe, v2
	s_waitcnt lgkmcnt(0)
	s_add_u32 s6, s6, s14
	s_addc_u32 s7, s7, s15
	v_cvt_u32_f32_e32 v2, v2
	s_load_dword s1, s[6:7], 0x0
	s_load_dwordx4 s[4:7], s[4:5], 0x0
	s_mul_i32 s14, s13, s2
	s_waitcnt lgkmcnt(0)
	s_mul_i32 s1, s14, s1
	v_readfirstlane_b32 s14, v2
	s_mul_i32 s15, s1, 0x88
	s_mul_hi_i32 s1, s1, 0x88
	s_add_u32 s4, s4, s15
	s_addc_u32 s5, s5, s1
	s_sub_i32 s1, 0, s0
	s_mul_i32 s1, s1, s14
	s_mul_hi_u32 s1, s14, s1
	s_add_i32 s14, s14, s1
	s_mul_hi_u32 s1, s8, s14
	s_mul_i32 s14, s1, s0
	s_add_i32 s15, s1, 1
	s_sub_i32 s14, s8, s14
	s_sub_i32 s16, s14, s0
	s_cmp_ge_u32 s14, s0
	s_cselect_b32 s1, s15, s1
	s_cselect_b32 s14, s16, s14
	s_add_i32 s15, s1, 1
	s_cmp_ge_u32 s14, s0
	s_cselect_b32 s0, s15, s1
	s_mov_b32 s1, s9
	s_mul_i32 s0, s0, s3
	s_lshl_b64 s[0:1], s[0:1], 2
	s_add_u32 s0, s6, s0
	s_addc_u32 s1, s7, s1
	v_mad_u64_u32 v[2:3], null, v9, 36, s[0:1]
	v_lshlrev_b32_e32 v9, 1, v9
.LBB254_3:                              ; =>This Inner Loop Header: Depth=1
	v_add_nc_u32_e32 v12, v6, v4
	v_mad_i64_i32 v[26:27], null, v10, 36, v[2:3]
	s_getpc_b64 s[0:1]
	s_add_u32 s0, s0, _ZL13kvalues_iq4nl@rel32@lo+4
	s_addc_u32 s1, s1, _ZL13kvalues_iq4nl@rel32@hi+12
	v_mov_b32_e32 v56, 0
	v_mad_i64_i32 v[24:25], null, 0x88, v12, s[4:5]
	v_add_nc_u32_e32 v4, 4, v4
	v_add_nc_u32_e32 v10, 32, v10
	v_add_co_u32 v12, vcc_lo, v24, v11
	v_add_co_ci_u32_e64 v13, null, 0, v25, vcc_lo
	v_add_co_u32 v16, vcc_lo, v24, v7
	v_add_co_ci_u32_e64 v17, null, 0, v25, vcc_lo
	s_clause 0x1
	global_load_dwordx4 v[12:15], v[12:13], off offset:8
	global_load_ubyte v28, v[16:17], off offset:4
	s_clause 0x1
	global_load_dwordx4 v[16:19], v[26:27], off
	global_load_dwordx4 v[20:23], v[26:27], off offset:16
	global_load_dword v24, v[24:25], off
	v_cmp_le_u32_e32 vcc_lo, s13, v4
	s_or_b32 s9, vcc_lo, s9
	s_waitcnt vmcnt(4)
	v_and_b32_e32 v29, 15, v12
	v_bfe_u32 v30, v12, 8, 4
	v_bfe_u32 v31, v12, 16, 4
	;; [unrolled: 1-line block ×5, first 2 shown]
	v_lshrrev_b32_e32 v33, 28, v12
	v_bfe_u32 v12, v12, 12, 4
	v_bfe_u32 v35, v13, 24, 4
	v_and_b32_e32 v36, 15, v13
	v_bfe_u32 v37, v13, 8, 4
	v_bfe_u32 v38, v13, 16, 4
	v_bfe_u32 v39, v13, 20, 4
	v_lshrrev_b32_e32 v40, 28, v13
	v_bfe_u32 v41, v13, 4, 4
	v_bfe_u32 v13, v13, 12, 4
	v_bfe_u32 v42, v14, 24, 4
	v_and_b32_e32 v43, 15, v14
	v_bfe_u32 v44, v14, 8, 4
	v_bfe_u32 v45, v14, 16, 4
	v_bfe_u32 v46, v14, 20, 4
	v_lshrrev_b32_e32 v47, 28, v14
	v_bfe_u32 v48, v14, 4, 4
	;; [unrolled: 8-line block ×3, first 2 shown]
	v_bfe_u32 v15, v15, 12, 4
	s_clause 0x1f
	global_load_ubyte v29, v29, s[0:1]
	global_load_ubyte v30, v30, s[0:1]
	;; [unrolled: 1-line block ×32, first 2 shown]
	global_load_dword v26, v[26:27], off offset:32
	v_mov_b32_e32 v27, 0
	s_waitcnt vmcnt(33)
	v_lshrrev_b32_sdwa v57, v9, v24 dst_sel:DWORD dst_unused:UNUSED_PAD src0_sel:DWORD src1_sel:WORD_1
	v_bfe_u32 v28, v28, v8, 4
	v_lshlrev_b32_e32 v57, 4, v57
	v_and_or_b32 v28, v57, 48, v28
	s_waitcnt vmcnt(31)
	v_lshl_or_b32 v29, v30, 8, v29
	s_waitcnt vmcnt(30)
	v_lshlrev_b32_e32 v31, 16, v31
	s_waitcnt vmcnt(28)
	v_lshl_or_b32 v12, v12, 8, v34
	s_waitcnt vmcnt(27)
	v_lshlrev_b32_e32 v32, 16, v32
	s_waitcnt vmcnt(26)
	v_lshlrev_b32_e32 v30, 24, v33
	;; [unrolled: 2-line block ×4, first 2 shown]
	v_or3_b32 v12, v12, v32, v30
	s_waitcnt vmcnt(20)
	v_lshl_or_b32 v13, v13, 8, v41
	v_or3_b32 v25, v29, v31, v25
	s_waitcnt vmcnt(17)
	v_lshlrev_b32_e32 v33, 24, v35
	v_lshl_or_b32 v35, v37, 8, v36
	v_lshlrev_b32_e32 v36, 24, v40
	v_lshlrev_b32_e32 v37, 16, v39
	s_waitcnt vmcnt(14)
	v_lshlrev_b32_e32 v39, 16, v45
	v_lshl_or_b32 v40, v44, 8, v43
	s_waitcnt vmcnt(12)
	v_lshl_or_b32 v14, v14, 8, v48
	s_waitcnt vmcnt(10)
	v_lshlrev_b32_e32 v41, 24, v47
	s_waitcnt vmcnt(9)
	v_lshlrev_b32_e32 v38, 24, v42
	v_lshlrev_b32_e32 v42, 16, v46
	v_or3_b32 v30, v35, v34, v33
	v_or3_b32 v13, v13, v37, v36
	v_dot4c_i32_i8 v27, v25, v17
	v_dot4c_i32_i8 v56, v12, v21
	s_waitcnt vmcnt(3)
	v_lshlrev_b32_e32 v43, 24, v49
	v_lshlrev_b32_e32 v44, 16, v52
	s_waitcnt vmcnt(2)
	v_lshl_or_b32 v45, v51, 8, v50
	v_lshlrev_b32_e32 v46, 24, v54
	v_lshlrev_b32_e32 v29, 16, v53
	s_waitcnt vmcnt(1)
	v_lshl_or_b32 v12, v15, 8, v55
	v_or3_b32 v15, v40, v39, v38
	v_or3_b32 v14, v14, v42, v41
	v_dot4c_i32_i8 v27, v30, v18
	v_dot4c_i32_i8 v56, v13, v22
	v_subrev_nc_u32_e32 v13, 32, v28
	v_or3_b32 v17, v45, v44, v43
	v_or3_b32 v12, v12, v29, v46
	v_dot4c_i32_i8 v27, v15, v19
	v_dot4c_i32_i8 v56, v14, v23
	v_cvt_f32_f16_e32 v14, v24
	v_cvt_f32_i32_e32 v13, v13
	v_dot4c_i32_i8 v27, v17, v20
	s_waitcnt vmcnt(0)
	v_dot4c_i32_i8 v56, v12, v26
	v_cvt_f32_f16_e32 v12, v16
	v_mul_f32_e32 v13, v14, v13
	v_add_nc_u32_e32 v14, v56, v27
	v_mul_f32_e32 v12, v13, v12
	v_cvt_f32_i32_e32 v13, v14
	v_fmac_f32_e32 v5, v12, v13
	s_andn2_b32 exec_lo, exec_lo, s9
	s_cbranch_execnz .LBB254_3
; %bb.4:
	s_or_b32 exec_lo, exec_lo, s9
.LBB254_5:
	s_or_b32 exec_lo, exec_lo, s12
	v_mbcnt_lo_u32_b32 v2, -1, 0
	v_xor_b32_e32 v3, 16, v2
	v_xor_b32_e32 v4, 8, v2
	v_cmp_gt_i32_e32 vcc_lo, 32, v3
	v_cndmask_b32_e32 v3, v2, v3, vcc_lo
	v_cmp_gt_i32_e32 vcc_lo, 32, v4
	v_lshlrev_b32_e32 v3, 2, v3
	v_cndmask_b32_e32 v4, v2, v4, vcc_lo
	ds_bpermute_b32 v3, v3, v5
	v_lshlrev_b32_e32 v4, 2, v4
	s_waitcnt lgkmcnt(0)
	v_add_f32_e32 v3, v5, v3
	v_xor_b32_e32 v5, 4, v2
	ds_bpermute_b32 v4, v4, v3
	v_cmp_gt_i32_e32 vcc_lo, 32, v5
	v_cndmask_b32_e32 v5, v2, v5, vcc_lo
	v_lshlrev_b32_e32 v5, 2, v5
	s_waitcnt lgkmcnt(0)
	v_add_f32_e32 v3, v3, v4
	ds_bpermute_b32 v4, v5, v3
	v_xor_b32_e32 v5, 2, v2
	v_cmp_gt_i32_e32 vcc_lo, 32, v5
	v_cndmask_b32_e32 v5, v2, v5, vcc_lo
	v_lshlrev_b32_e32 v5, 2, v5
	s_waitcnt lgkmcnt(0)
	v_add_f32_e32 v3, v3, v4
	ds_bpermute_b32 v4, v5, v3
	v_xor_b32_e32 v5, 1, v2
	v_cmp_gt_i32_e32 vcc_lo, 32, v5
	v_cndmask_b32_e32 v5, v2, v5, vcc_lo
	v_cmp_eq_u32_e32 vcc_lo, 0, v0
	s_waitcnt lgkmcnt(0)
	v_add_f32_e32 v2, v3, v4
	v_lshlrev_b32_e32 v3, 2, v5
	ds_bpermute_b32 v3, v3, v2
	s_and_b32 exec_lo, exec_lo, vcc_lo
	s_cbranch_execz .LBB254_7
; %bb.6:
	v_mad_u64_u32 v[0:1], null, s2, s8, v[1:2]
	v_mov_b32_e32 v1, 0
	s_waitcnt lgkmcnt(0)
	v_add_f32_e32 v2, v2, v3
	v_lshlrev_b64 v[0:1], 2, v[0:1]
	v_add_co_u32 v0, vcc_lo, s10, v0
	v_add_co_ci_u32_e64 v1, null, s11, v1, vcc_lo
	global_store_dword v[0:1], v2, off
.LBB254_7:
	s_endpgm
	.section	.rodata,"a",@progbits
	.p2align	6, 0x0
	.amdhsa_kernel _ZL9moe_vec_qIfLi256ELi8E12block_iq4_xsLi1EXadL_ZL19vec_dot_iq4_xs_q8_1PKvPK10block_q8_1RKiEEEvS2_S2_PT_PS6_iiii
		.amdhsa_group_segment_fixed_size 0
		.amdhsa_private_segment_fixed_size 0
		.amdhsa_kernarg_size 304
		.amdhsa_user_sgpr_count 6
		.amdhsa_user_sgpr_private_segment_buffer 1
		.amdhsa_user_sgpr_dispatch_ptr 0
		.amdhsa_user_sgpr_queue_ptr 0
		.amdhsa_user_sgpr_kernarg_segment_ptr 1
		.amdhsa_user_sgpr_dispatch_id 0
		.amdhsa_user_sgpr_flat_scratch_init 0
		.amdhsa_user_sgpr_private_segment_size 0
		.amdhsa_wavefront_size32 1
		.amdhsa_uses_dynamic_stack 0
		.amdhsa_system_sgpr_private_segment_wavefront_offset 0
		.amdhsa_system_sgpr_workgroup_id_x 1
		.amdhsa_system_sgpr_workgroup_id_y 0
		.amdhsa_system_sgpr_workgroup_id_z 1
		.amdhsa_system_sgpr_workgroup_info 0
		.amdhsa_system_vgpr_workitem_id 1
		.amdhsa_next_free_vgpr 58
		.amdhsa_next_free_sgpr 17
		.amdhsa_reserve_vcc 1
		.amdhsa_reserve_flat_scratch 0
		.amdhsa_float_round_mode_32 0
		.amdhsa_float_round_mode_16_64 0
		.amdhsa_float_denorm_mode_32 3
		.amdhsa_float_denorm_mode_16_64 3
		.amdhsa_dx10_clamp 1
		.amdhsa_ieee_mode 1
		.amdhsa_fp16_overflow 0
		.amdhsa_workgroup_processor_mode 1
		.amdhsa_memory_ordered 1
		.amdhsa_forward_progress 1
		.amdhsa_shared_vgpr_count 0
		.amdhsa_exception_fp_ieee_invalid_op 0
		.amdhsa_exception_fp_denorm_src 0
		.amdhsa_exception_fp_ieee_div_zero 0
		.amdhsa_exception_fp_ieee_overflow 0
		.amdhsa_exception_fp_ieee_underflow 0
		.amdhsa_exception_fp_ieee_inexact 0
		.amdhsa_exception_int_div_zero 0
	.end_amdhsa_kernel
	.section	.text._ZL9moe_vec_qIfLi256ELi8E12block_iq4_xsLi1EXadL_ZL19vec_dot_iq4_xs_q8_1PKvPK10block_q8_1RKiEEEvS2_S2_PT_PS6_iiii,"axG",@progbits,_ZL9moe_vec_qIfLi256ELi8E12block_iq4_xsLi1EXadL_ZL19vec_dot_iq4_xs_q8_1PKvPK10block_q8_1RKiEEEvS2_S2_PT_PS6_iiii,comdat
.Lfunc_end254:
	.size	_ZL9moe_vec_qIfLi256ELi8E12block_iq4_xsLi1EXadL_ZL19vec_dot_iq4_xs_q8_1PKvPK10block_q8_1RKiEEEvS2_S2_PT_PS6_iiii, .Lfunc_end254-_ZL9moe_vec_qIfLi256ELi8E12block_iq4_xsLi1EXadL_ZL19vec_dot_iq4_xs_q8_1PKvPK10block_q8_1RKiEEEvS2_S2_PT_PS6_iiii
                                        ; -- End function
	.set _ZL9moe_vec_qIfLi256ELi8E12block_iq4_xsLi1EXadL_ZL19vec_dot_iq4_xs_q8_1PKvPK10block_q8_1RKiEEEvS2_S2_PT_PS6_iiii.num_vgpr, 58
	.set _ZL9moe_vec_qIfLi256ELi8E12block_iq4_xsLi1EXadL_ZL19vec_dot_iq4_xs_q8_1PKvPK10block_q8_1RKiEEEvS2_S2_PT_PS6_iiii.num_agpr, 0
	.set _ZL9moe_vec_qIfLi256ELi8E12block_iq4_xsLi1EXadL_ZL19vec_dot_iq4_xs_q8_1PKvPK10block_q8_1RKiEEEvS2_S2_PT_PS6_iiii.numbered_sgpr, 17
	.set _ZL9moe_vec_qIfLi256ELi8E12block_iq4_xsLi1EXadL_ZL19vec_dot_iq4_xs_q8_1PKvPK10block_q8_1RKiEEEvS2_S2_PT_PS6_iiii.num_named_barrier, 0
	.set _ZL9moe_vec_qIfLi256ELi8E12block_iq4_xsLi1EXadL_ZL19vec_dot_iq4_xs_q8_1PKvPK10block_q8_1RKiEEEvS2_S2_PT_PS6_iiii.private_seg_size, 0
	.set _ZL9moe_vec_qIfLi256ELi8E12block_iq4_xsLi1EXadL_ZL19vec_dot_iq4_xs_q8_1PKvPK10block_q8_1RKiEEEvS2_S2_PT_PS6_iiii.uses_vcc, 1
	.set _ZL9moe_vec_qIfLi256ELi8E12block_iq4_xsLi1EXadL_ZL19vec_dot_iq4_xs_q8_1PKvPK10block_q8_1RKiEEEvS2_S2_PT_PS6_iiii.uses_flat_scratch, 0
	.set _ZL9moe_vec_qIfLi256ELi8E12block_iq4_xsLi1EXadL_ZL19vec_dot_iq4_xs_q8_1PKvPK10block_q8_1RKiEEEvS2_S2_PT_PS6_iiii.has_dyn_sized_stack, 0
	.set _ZL9moe_vec_qIfLi256ELi8E12block_iq4_xsLi1EXadL_ZL19vec_dot_iq4_xs_q8_1PKvPK10block_q8_1RKiEEEvS2_S2_PT_PS6_iiii.has_recursion, 0
	.set _ZL9moe_vec_qIfLi256ELi8E12block_iq4_xsLi1EXadL_ZL19vec_dot_iq4_xs_q8_1PKvPK10block_q8_1RKiEEEvS2_S2_PT_PS6_iiii.has_indirect_call, 0
	.section	.AMDGPU.csdata,"",@progbits
; Kernel info:
; codeLenInByte = 1592
; TotalNumSgprs: 19
; NumVgprs: 58
; ScratchSize: 0
; MemoryBound: 0
; FloatMode: 240
; IeeeMode: 1
; LDSByteSize: 0 bytes/workgroup (compile time only)
; SGPRBlocks: 0
; VGPRBlocks: 7
; NumSGPRsForWavesPerEU: 19
; NumVGPRsForWavesPerEU: 58
; Occupancy: 16
; WaveLimiterHint : 1
; COMPUTE_PGM_RSRC2:SCRATCH_EN: 0
; COMPUTE_PGM_RSRC2:USER_SGPR: 6
; COMPUTE_PGM_RSRC2:TRAP_HANDLER: 0
; COMPUTE_PGM_RSRC2:TGID_X_EN: 1
; COMPUTE_PGM_RSRC2:TGID_Y_EN: 0
; COMPUTE_PGM_RSRC2:TGID_Z_EN: 1
; COMPUTE_PGM_RSRC2:TIDIG_COMP_CNT: 1
	.section	.text._ZL9moe_vec_qIfLi256ELi8E11block_iq1_mLi1EXadL_ZL18vec_dot_iq1_m_q8_1PKvPK10block_q8_1RKiEEEvS2_S2_PT_PS6_iiii,"axG",@progbits,_ZL9moe_vec_qIfLi256ELi8E11block_iq1_mLi1EXadL_ZL18vec_dot_iq1_m_q8_1PKvPK10block_q8_1RKiEEEvS2_S2_PT_PS6_iiii,comdat
	.globl	_ZL9moe_vec_qIfLi256ELi8E11block_iq1_mLi1EXadL_ZL18vec_dot_iq1_m_q8_1PKvPK10block_q8_1RKiEEEvS2_S2_PT_PS6_iiii ; -- Begin function _ZL9moe_vec_qIfLi256ELi8E11block_iq1_mLi1EXadL_ZL18vec_dot_iq1_m_q8_1PKvPK10block_q8_1RKiEEEvS2_S2_PT_PS6_iiii
	.p2align	8
	.type	_ZL9moe_vec_qIfLi256ELi8E11block_iq1_mLi1EXadL_ZL18vec_dot_iq1_m_q8_1PKvPK10block_q8_1RKiEEEvS2_S2_PT_PS6_iiii,@function
_ZL9moe_vec_qIfLi256ELi8E11block_iq1_mLi1EXadL_ZL18vec_dot_iq1_m_q8_1PKvPK10block_q8_1RKiEEEvS2_S2_PT_PS6_iiii: ; @_ZL9moe_vec_qIfLi256ELi8E11block_iq1_mLi1EXadL_ZL18vec_dot_iq1_m_q8_1PKvPK10block_q8_1RKiEEEvS2_S2_PT_PS6_iiii
; %bb.0:
	s_mov_b32 s8, s7
	s_clause 0x1
	s_load_dword s7, s[4:5], 0x3c
	s_load_dwordx4 s[0:3], s[4:5], 0x20
	s_waitcnt lgkmcnt(0)
	s_lshr_b32 s7, s7, 16
	v_mad_u64_u32 v[1:2], null, s6, s7, v[1:2]
	s_mov_b32 s6, exec_lo
	v_cmpx_gt_u32_e64 s2, v1
	s_cbranch_execz .LBB255_7
; %bb.1:
	s_load_dwordx2 s[10:11], s[4:5], 0x10
	s_ashr_i32 s6, s1, 31
	v_lshrrev_b32_e32 v4, 3, v0
	s_lshr_b32 s6, s6, 24
	v_mov_b32_e32 v5, 0
	s_add_i32 s1, s1, s6
	s_ashr_i32 s12, s1, 8
	s_mov_b32 s1, exec_lo
	v_cmpx_gt_u32_e64 s12, v4
	s_cbranch_execz .LBB255_5
; %bb.2:
	s_load_dwordx2 s[6:7], s[4:5], 0x18
	s_mov_b32 s9, 0
	v_cvt_f32_u32_e32 v2, s0
	s_lshl_b64 s[14:15], s[8:9], 2
	v_and_b32_e32 v3, 1, v0
	v_bfe_u32 v11, v0, 1, 2
	v_mul_lo_u32 v6, v1, s12
	v_rcp_iflag_f32_e32 v2, v2
	v_mov_b32_e32 v5, 0
	v_cmp_eq_u32_e32 vcc_lo, 1, v3
	v_lshlrev_b32_e32 v7, 3, v4
	v_lshlrev_b32_e32 v11, 1, v11
	v_mov_b32_e32 v12, 0xf0
	v_mov_b32_e32 v13, 0xffff
	v_cndmask_b32_e64 v9, 0, 6, vcc_lo
	v_mov_b32_e32 v14, 8
	v_mul_f32_e32 v2, 0x4f7ffffe, v2
	s_waitcnt lgkmcnt(0)
	s_add_u32 s6, s6, s14
	s_addc_u32 s7, s7, s15
	v_cvt_u32_f32_e32 v2, v2
	s_load_dword s13, s[6:7], 0x0
	s_load_dwordx4 s[4:7], s[4:5], 0x0
	s_mul_i32 s14, s12, s2
	s_waitcnt lgkmcnt(0)
	s_mul_i32 s13, s14, s13
	v_readfirstlane_b32 s14, v2
	s_mul_i32 s15, s13, 56
	s_mul_hi_i32 s13, s13, 56
	s_add_u32 s4, s4, s15
	s_addc_u32 s5, s5, s13
	s_sub_i32 s13, 0, s0
	v_and_b32_e32 v2, 7, v0
	s_mul_i32 s13, s13, s14
	s_mul_hi_u32 s13, s14, s13
	s_add_i32 s14, s14, s13
	v_lshlrev_b32_e32 v8, 1, v2
	s_mul_hi_u32 s13, s8, s14
	v_lshlrev_b32_e32 v10, 2, v2
	s_mul_i32 s14, s13, s0
	s_add_i32 s15, s13, 1
	s_sub_i32 s14, s8, s14
	s_sub_i32 s16, s14, s0
	s_cmp_ge_u32 s14, s0
	s_cselect_b32 s13, s15, s13
	s_cselect_b32 s14, s16, s14
	s_add_i32 s16, s13, 1
	s_cmp_ge_u32 s14, s0
	s_mov_b32 s15, s9
	s_cselect_b32 s0, s16, s13
	s_mul_i32 s14, s0, s3
	s_mov_b32 s0, 0xbd000000
	s_lshl_b64 s[14:15], s[14:15], 2
	s_add_u32 s6, s6, s14
	s_addc_u32 s7, s7, s15
	v_mad_u64_u32 v[2:3], null, v2, 36, s[6:7]
	s_getpc_b64 s[6:7]
	s_add_u32 s6, s6, _ZL13iq1s_grid_gpu@rel32@lo+4
	s_addc_u32 s7, s7, _ZL13iq1s_grid_gpu@rel32@hi+12
.LBB255_3:                              ; =>This Inner Loop Header: Depth=1
	v_add_nc_u32_e32 v15, v6, v4
	v_mad_i64_i32 v[25:26], null, v7, 36, v[2:3]
	v_mov_b32_e32 v38, 0
	v_mov_b32_e32 v37, 0
	v_mad_i64_i32 v[23:24], null, v15, 56, s[4:5]
	v_add_nc_u32_e32 v4, 4, v4
	v_add_nc_u32_e32 v7, 32, v7
	v_add_co_u32 v15, vcc_lo, v23, v8
	v_add_co_ci_u32_e64 v16, null, 0, v24, vcc_lo
	v_add_co_u32 v17, vcc_lo, v23, v11
	v_add_co_ci_u32_e64 v18, null, 0, v24, vcc_lo
	;; [unrolled: 2-line block ×3, first 2 shown]
	s_clause 0x2
	global_load_ushort v27, v[17:18], off offset:48
	global_load_ushort v28, v[15:16], off offset:32
	global_load_dword v29, v[19:20], off
	s_clause 0x1
	global_load_dwordx4 v[15:18], v[25:26], off
	global_load_dwordx4 v[19:22], v[25:26], off offset:16
	global_load_dwordx2 v[23:24], v[23:24], off offset:48
	v_cmp_le_u32_e32 vcc_lo, s12, v4
	s_or_b32 s9, vcc_lo, s9
	s_waitcnt vmcnt(5)
	v_lshrrev_b32_e32 v27, v9, v27
	s_waitcnt vmcnt(4)
	v_and_b32_sdwa v31, v13, v28 dst_sel:DWORD dst_unused:UNUSED_PAD src0_sel:DWORD src1_sel:BYTE_1
	s_waitcnt vmcnt(3)
	v_and_b32_e32 v30, 0xff, v29
	v_lshlrev_b32_e32 v33, 8, v28
	v_bfe_u32 v35, v29, 16, 8
	v_bfe_u32 v32, v29, 8, 8
	v_lshrrev_b32_e32 v36, 4, v31
	v_lshlrev_b32_e32 v31, 8, v31
	v_lshlrev_b32_e32 v34, 4, v28
	v_and_or_b32 v30, 0x700, v33, v30
	v_bfe_u32 v39, v28, 4, 4
	v_alignbit_b32 v29, v36, v29, 24
	v_and_or_b32 v31, 0x700, v31, v35
	v_and_or_b32 v32, 0x700, v34, v32
	v_lshlrev_b32_e32 v30, 3, v30
	v_mov_b32_e32 v34, 0
	v_and_b32_e32 v29, 0x7ff, v29
	v_lshlrev_b32_e32 v31, 3, v31
	v_lshlrev_b32_e32 v32, 3, v32
	s_clause 0x1
	global_load_dword v30, v30, s[6:7]
	global_load_dword v32, v32, s[6:7]
	v_lshlrev_b32_e32 v29, 3, v29
	s_clause 0x1
	global_load_dword v31, v31, s[6:7]
	global_load_dword v29, v29, s[6:7]
	global_load_dword v25, v[25:26], off offset:32
	v_mov_b32_e32 v26, 0
	s_waitcnt vmcnt(6)
	v_dot4c_i32_i8 v34, 0x1010101, v20
	v_and_b32_sdwa v40, v28, v14 dst_sel:DWORD dst_unused:UNUSED_PAD src0_sel:BYTE_1 src1_sel:DWORD
	v_and_b32_e32 v28, 8, v28
	v_and_b32_e32 v36, 8, v36
	v_dot4c_i32_i8 v26, 0x1010101, v16
	v_dot4c_i32_i8 v34, 0x1010101, v21
	v_cvt_f32_ubyte0_e32 v40, v40
	v_cvt_f32_ubyte0_e32 v28, v28
	v_mov_b32_e32 v35, 0
	v_dot4c_i32_i8 v26, 0x1010101, v17
	v_cvt_f32_i32_e32 v34, v34
	v_fmaak_f32 v40, s0, v40, 0xbf600000
	v_fmaak_f32 v28, s0, v28, 0xbf600000
	v_mov_b32_e32 v33, 0
	v_cvt_f32_i32_e32 v26, v26
	v_dot4c_i32_i8 v35, 0x1010101, v22
	s_waitcnt vmcnt(5)
	v_pk_lshrrev_b16 v23, 0x8000c, v23
	v_pk_lshrrev_b16 v24, 4, v24
	v_dot4c_i32_i8 v33, 0x1010101, v18
	v_fma_f32 v26, v28, v26, 0
	v_fma_f32 v28, v40, v34, 0
	v_cvt_f32_ubyte0_e32 v34, v36
	v_and_b32_sdwa v41, v23, v12 dst_sel:DWORD dst_unused:UNUSED_PAD src0_sel:WORD_1 src1_sel:DWORD
	v_lshlrev_b32_e32 v42, 1, v27
	v_lshrrev_b32_e32 v27, 2, v27
	v_and_b32_e32 v39, 8, v39
	v_dot4c_i32_i8 v33, 0x1010101, v19
	v_and_b32_e32 v24, 0xf0000f00, v24
	v_or_b32_e32 v23, v41, v23
	v_and_b32_e32 v27, 14, v27
	v_cvt_f32_ubyte0_e32 v39, v39
	v_cvt_f32_i32_e32 v33, v33
	v_and_b32_e32 v41, 14, v42
	v_or_b32_e32 v23, v23, v24
	v_cvt_f32_f16_e32 v15, v15
	s_waitcnt vmcnt(4)
	v_lshrrev_b32_e32 v40, 4, v30
	v_and_b32_e32 v30, 0xf0f0f0f, v30
	s_waitcnt vmcnt(2)
	v_lshrrev_b32_e32 v36, 4, v31
	v_and_b32_e32 v31, 0xf0f0f0f, v31
	v_dot4c_i32_i8 v37, v30, v16
	s_waitcnt vmcnt(1)
	v_and_b32_e32 v16, 0xf0f0f0f, v29
	v_lshrrev_b32_e32 v29, 4, v29
	v_and_b32_e32 v36, 0xf0f0f0f, v36
	v_dot4c_i32_i8 v38, v31, v20
	v_and_b32_e32 v20, 0xf0f0f0f, v40
	s_waitcnt vmcnt(0)
	v_dot4c_i32_i8 v35, 0x1010101, v25
	v_lshrrev_b32_e32 v30, 4, v32
	v_dot4c_i32_i8 v38, v36, v21
	v_and_b32_e32 v21, 0xf0f0f0f, v32
	v_dot4c_i32_i8 v37, v20, v17
	v_and_b32_e32 v17, 0xf0f0f0f, v29
	v_cvt_f32_i32_e32 v35, v35
	v_dot4c_i32_i8 v38, v16, v22
	v_fmaak_f32 v20, s0, v34, 0xbf600000
	v_and_b32_e32 v22, 0xf0f0f0f, v30
	v_dot4c_i32_i8 v37, v21, v18
	v_fmaak_f32 v16, s0, v39, 0xbf600000
	v_dot4c_i32_i8 v38, v17, v25
	v_or_b32_e32 v17, 1, v27
	v_fmac_f32_e32 v28, v20, v35
	v_dot4c_i32_i8 v37, v22, v19
	v_or_b32_e32 v18, 1, v41
	v_cvt_f32_i32_e32 v19, v38
	v_or_b32_sdwa v20, v23, v24 dst_sel:DWORD dst_unused:UNUSED_PAD src0_sel:DWORD src1_sel:WORD_1
	v_fmac_f32_e32 v26, v16, v33
	v_cvt_f32_ubyte0_e32 v16, v17
	v_cvt_f32_i32_e32 v17, v37
	v_add_f32_e32 v19, v28, v19
	v_cvt_f32_ubyte0_e32 v18, v18
	v_cvt_f32_f16_e32 v20, v20
	v_add_f32_e32 v17, v26, v17
	v_mul_f32_e32 v16, v19, v16
	v_mul_f32_e32 v15, v15, v20
	v_fmac_f32_e32 v16, v17, v18
	v_fmac_f32_e32 v5, v15, v16
	s_andn2_b32 exec_lo, exec_lo, s9
	s_cbranch_execnz .LBB255_3
; %bb.4:
	s_or_b32 exec_lo, exec_lo, s9
.LBB255_5:
	s_or_b32 exec_lo, exec_lo, s1
	v_mbcnt_lo_u32_b32 v2, -1, 0
	v_xor_b32_e32 v3, 16, v2
	v_xor_b32_e32 v4, 8, v2
	v_cmp_gt_i32_e32 vcc_lo, 32, v3
	v_cndmask_b32_e32 v3, v2, v3, vcc_lo
	v_cmp_gt_i32_e32 vcc_lo, 32, v4
	v_lshlrev_b32_e32 v3, 2, v3
	v_cndmask_b32_e32 v4, v2, v4, vcc_lo
	ds_bpermute_b32 v3, v3, v5
	v_lshlrev_b32_e32 v4, 2, v4
	s_waitcnt lgkmcnt(0)
	v_add_f32_e32 v3, v5, v3
	v_xor_b32_e32 v5, 4, v2
	ds_bpermute_b32 v4, v4, v3
	v_cmp_gt_i32_e32 vcc_lo, 32, v5
	v_cndmask_b32_e32 v5, v2, v5, vcc_lo
	v_lshlrev_b32_e32 v5, 2, v5
	s_waitcnt lgkmcnt(0)
	v_add_f32_e32 v3, v3, v4
	ds_bpermute_b32 v4, v5, v3
	v_xor_b32_e32 v5, 2, v2
	v_cmp_gt_i32_e32 vcc_lo, 32, v5
	v_cndmask_b32_e32 v5, v2, v5, vcc_lo
	v_lshlrev_b32_e32 v5, 2, v5
	s_waitcnt lgkmcnt(0)
	v_add_f32_e32 v3, v3, v4
	ds_bpermute_b32 v4, v5, v3
	v_xor_b32_e32 v5, 1, v2
	v_cmp_gt_i32_e32 vcc_lo, 32, v5
	v_cndmask_b32_e32 v5, v2, v5, vcc_lo
	v_cmp_eq_u32_e32 vcc_lo, 0, v0
	s_waitcnt lgkmcnt(0)
	v_add_f32_e32 v2, v3, v4
	v_lshlrev_b32_e32 v3, 2, v5
	ds_bpermute_b32 v3, v3, v2
	s_and_b32 exec_lo, exec_lo, vcc_lo
	s_cbranch_execz .LBB255_7
; %bb.6:
	v_mad_u64_u32 v[0:1], null, s2, s8, v[1:2]
	v_mov_b32_e32 v1, 0
	s_waitcnt lgkmcnt(0)
	v_add_f32_e32 v2, v2, v3
	v_lshlrev_b64 v[0:1], 2, v[0:1]
	v_add_co_u32 v0, vcc_lo, s10, v0
	v_add_co_ci_u32_e64 v1, null, s11, v1, vcc_lo
	global_store_dword v[0:1], v2, off
.LBB255_7:
	s_endpgm
	.section	.rodata,"a",@progbits
	.p2align	6, 0x0
	.amdhsa_kernel _ZL9moe_vec_qIfLi256ELi8E11block_iq1_mLi1EXadL_ZL18vec_dot_iq1_m_q8_1PKvPK10block_q8_1RKiEEEvS2_S2_PT_PS6_iiii
		.amdhsa_group_segment_fixed_size 0
		.amdhsa_private_segment_fixed_size 0
		.amdhsa_kernarg_size 304
		.amdhsa_user_sgpr_count 6
		.amdhsa_user_sgpr_private_segment_buffer 1
		.amdhsa_user_sgpr_dispatch_ptr 0
		.amdhsa_user_sgpr_queue_ptr 0
		.amdhsa_user_sgpr_kernarg_segment_ptr 1
		.amdhsa_user_sgpr_dispatch_id 0
		.amdhsa_user_sgpr_flat_scratch_init 0
		.amdhsa_user_sgpr_private_segment_size 0
		.amdhsa_wavefront_size32 1
		.amdhsa_uses_dynamic_stack 0
		.amdhsa_system_sgpr_private_segment_wavefront_offset 0
		.amdhsa_system_sgpr_workgroup_id_x 1
		.amdhsa_system_sgpr_workgroup_id_y 0
		.amdhsa_system_sgpr_workgroup_id_z 1
		.amdhsa_system_sgpr_workgroup_info 0
		.amdhsa_system_vgpr_workitem_id 1
		.amdhsa_next_free_vgpr 43
		.amdhsa_next_free_sgpr 17
		.amdhsa_reserve_vcc 1
		.amdhsa_reserve_flat_scratch 0
		.amdhsa_float_round_mode_32 0
		.amdhsa_float_round_mode_16_64 0
		.amdhsa_float_denorm_mode_32 3
		.amdhsa_float_denorm_mode_16_64 3
		.amdhsa_dx10_clamp 1
		.amdhsa_ieee_mode 1
		.amdhsa_fp16_overflow 0
		.amdhsa_workgroup_processor_mode 1
		.amdhsa_memory_ordered 1
		.amdhsa_forward_progress 1
		.amdhsa_shared_vgpr_count 0
		.amdhsa_exception_fp_ieee_invalid_op 0
		.amdhsa_exception_fp_denorm_src 0
		.amdhsa_exception_fp_ieee_div_zero 0
		.amdhsa_exception_fp_ieee_overflow 0
		.amdhsa_exception_fp_ieee_underflow 0
		.amdhsa_exception_fp_ieee_inexact 0
		.amdhsa_exception_int_div_zero 0
	.end_amdhsa_kernel
	.section	.text._ZL9moe_vec_qIfLi256ELi8E11block_iq1_mLi1EXadL_ZL18vec_dot_iq1_m_q8_1PKvPK10block_q8_1RKiEEEvS2_S2_PT_PS6_iiii,"axG",@progbits,_ZL9moe_vec_qIfLi256ELi8E11block_iq1_mLi1EXadL_ZL18vec_dot_iq1_m_q8_1PKvPK10block_q8_1RKiEEEvS2_S2_PT_PS6_iiii,comdat
.Lfunc_end255:
	.size	_ZL9moe_vec_qIfLi256ELi8E11block_iq1_mLi1EXadL_ZL18vec_dot_iq1_m_q8_1PKvPK10block_q8_1RKiEEEvS2_S2_PT_PS6_iiii, .Lfunc_end255-_ZL9moe_vec_qIfLi256ELi8E11block_iq1_mLi1EXadL_ZL18vec_dot_iq1_m_q8_1PKvPK10block_q8_1RKiEEEvS2_S2_PT_PS6_iiii
                                        ; -- End function
	.set _ZL9moe_vec_qIfLi256ELi8E11block_iq1_mLi1EXadL_ZL18vec_dot_iq1_m_q8_1PKvPK10block_q8_1RKiEEEvS2_S2_PT_PS6_iiii.num_vgpr, 43
	.set _ZL9moe_vec_qIfLi256ELi8E11block_iq1_mLi1EXadL_ZL18vec_dot_iq1_m_q8_1PKvPK10block_q8_1RKiEEEvS2_S2_PT_PS6_iiii.num_agpr, 0
	.set _ZL9moe_vec_qIfLi256ELi8E11block_iq1_mLi1EXadL_ZL18vec_dot_iq1_m_q8_1PKvPK10block_q8_1RKiEEEvS2_S2_PT_PS6_iiii.numbered_sgpr, 17
	.set _ZL9moe_vec_qIfLi256ELi8E11block_iq1_mLi1EXadL_ZL18vec_dot_iq1_m_q8_1PKvPK10block_q8_1RKiEEEvS2_S2_PT_PS6_iiii.num_named_barrier, 0
	.set _ZL9moe_vec_qIfLi256ELi8E11block_iq1_mLi1EXadL_ZL18vec_dot_iq1_m_q8_1PKvPK10block_q8_1RKiEEEvS2_S2_PT_PS6_iiii.private_seg_size, 0
	.set _ZL9moe_vec_qIfLi256ELi8E11block_iq1_mLi1EXadL_ZL18vec_dot_iq1_m_q8_1PKvPK10block_q8_1RKiEEEvS2_S2_PT_PS6_iiii.uses_vcc, 1
	.set _ZL9moe_vec_qIfLi256ELi8E11block_iq1_mLi1EXadL_ZL18vec_dot_iq1_m_q8_1PKvPK10block_q8_1RKiEEEvS2_S2_PT_PS6_iiii.uses_flat_scratch, 0
	.set _ZL9moe_vec_qIfLi256ELi8E11block_iq1_mLi1EXadL_ZL18vec_dot_iq1_m_q8_1PKvPK10block_q8_1RKiEEEvS2_S2_PT_PS6_iiii.has_dyn_sized_stack, 0
	.set _ZL9moe_vec_qIfLi256ELi8E11block_iq1_mLi1EXadL_ZL18vec_dot_iq1_m_q8_1PKvPK10block_q8_1RKiEEEvS2_S2_PT_PS6_iiii.has_recursion, 0
	.set _ZL9moe_vec_qIfLi256ELi8E11block_iq1_mLi1EXadL_ZL18vec_dot_iq1_m_q8_1PKvPK10block_q8_1RKiEEEvS2_S2_PT_PS6_iiii.has_indirect_call, 0
	.section	.AMDGPU.csdata,"",@progbits
; Kernel info:
; codeLenInByte = 1420
; TotalNumSgprs: 19
; NumVgprs: 43
; ScratchSize: 0
; MemoryBound: 0
; FloatMode: 240
; IeeeMode: 1
; LDSByteSize: 0 bytes/workgroup (compile time only)
; SGPRBlocks: 0
; VGPRBlocks: 5
; NumSGPRsForWavesPerEU: 19
; NumVGPRsForWavesPerEU: 43
; Occupancy: 16
; WaveLimiterHint : 1
; COMPUTE_PGM_RSRC2:SCRATCH_EN: 0
; COMPUTE_PGM_RSRC2:USER_SGPR: 6
; COMPUTE_PGM_RSRC2:TRAP_HANDLER: 0
; COMPUTE_PGM_RSRC2:TGID_X_EN: 1
; COMPUTE_PGM_RSRC2:TGID_Y_EN: 0
; COMPUTE_PGM_RSRC2:TGID_Z_EN: 1
; COMPUTE_PGM_RSRC2:TIDIG_COMP_CNT: 1
	.section	.text._ZL9moe_vec_qIN3c104HalfELi32ELi4E10block_q4_0Li2EXadL_ZL17vec_dot_q4_0_q8_1PKvPK10block_q8_1RKiEEEvS4_S4_PT_PS8_iiii,"axG",@progbits,_ZL9moe_vec_qIN3c104HalfELi32ELi4E10block_q4_0Li2EXadL_ZL17vec_dot_q4_0_q8_1PKvPK10block_q8_1RKiEEEvS4_S4_PT_PS8_iiii,comdat
	.globl	_ZL9moe_vec_qIN3c104HalfELi32ELi4E10block_q4_0Li2EXadL_ZL17vec_dot_q4_0_q8_1PKvPK10block_q8_1RKiEEEvS4_S4_PT_PS8_iiii ; -- Begin function _ZL9moe_vec_qIN3c104HalfELi32ELi4E10block_q4_0Li2EXadL_ZL17vec_dot_q4_0_q8_1PKvPK10block_q8_1RKiEEEvS4_S4_PT_PS8_iiii
	.p2align	8
	.type	_ZL9moe_vec_qIN3c104HalfELi32ELi4E10block_q4_0Li2EXadL_ZL17vec_dot_q4_0_q8_1PKvPK10block_q8_1RKiEEEvS4_S4_PT_PS8_iiii,@function
_ZL9moe_vec_qIN3c104HalfELi32ELi4E10block_q4_0Li2EXadL_ZL17vec_dot_q4_0_q8_1PKvPK10block_q8_1RKiEEEvS4_S4_PT_PS8_iiii: ; @_ZL9moe_vec_qIN3c104HalfELi32ELi4E10block_q4_0Li2EXadL_ZL17vec_dot_q4_0_q8_1PKvPK10block_q8_1RKiEEEvS4_S4_PT_PS8_iiii
; %bb.0:
	s_mov_b32 s8, s7
	s_clause 0x1
	s_load_dword s7, s[4:5], 0x3c
	s_load_dwordx4 s[0:3], s[4:5], 0x20
	s_waitcnt lgkmcnt(0)
	s_lshr_b32 s7, s7, 16
	v_mad_u64_u32 v[1:2], null, s6, s7, v[1:2]
	s_mov_b32 s6, exec_lo
	v_cmpx_gt_u32_e64 s2, v1
	s_cbranch_execz .LBB256_7
; %bb.1:
	v_cvt_f32_u32_e32 v2, s0
	s_load_dwordx2 s[10:11], s[4:5], 0x10
	s_ashr_i32 s6, s1, 31
	s_mov_b32 s12, exec_lo
	s_lshr_b32 s6, s6, 27
	v_rcp_iflag_f32_e32 v2, v2
	s_add_i32 s1, s1, s6
	s_ashr_i32 s13, s1, 5
	v_mul_f32_e32 v3, 0x4f7ffffe, v2
	v_lshrrev_b32_e32 v2, 1, v0
	v_cvt_u32_f32_e32 v3, v3
	v_readfirstlane_b32 s1, v3
	v_mov_b32_e32 v3, 0
	v_cmpx_gt_u32_e64 s13, v2
	s_cbranch_execz .LBB256_5
; %bb.2:
	s_load_dwordx2 s[6:7], s[4:5], 0x18
	s_sub_i32 s9, 0, s0
	v_lshlrev_b32_e32 v3, 3, v0
	s_mul_i32 s14, s9, s1
	s_mov_b32 s9, 0
	s_mul_hi_u32 s16, s1, s14
	s_lshl_b64 s[14:15], s[8:9], 2
	s_add_i32 s1, s1, s16
	s_mul_i32 s16, s13, s2
	s_mul_hi_u32 s1, s8, s1
	v_mul_lo_u32 v4, v1, s13
	v_and_b32_e32 v5, 8, v3
	v_mov_b32_e32 v3, 0
	s_waitcnt lgkmcnt(0)
	s_add_u32 s6, s6, s14
	s_addc_u32 s7, s7, s15
	s_mul_i32 s15, s1, s0
	s_load_dword s14, s[6:7], 0x0
	s_load_dwordx4 s[4:7], s[4:5], 0x0
	s_sub_i32 s17, s8, s15
	s_add_i32 s18, s1, 1
	s_sub_i32 s19, s17, s0
	s_cmp_ge_u32 s17, s0
	s_mov_b32 s15, s9
	s_cselect_b32 s1, s18, s1
	s_cselect_b32 s17, s19, s17
	s_add_i32 s18, s1, 1
	s_cmp_ge_u32 s17, s0
	s_cselect_b32 s0, s18, s1
	s_waitcnt lgkmcnt(0)
	s_mul_i32 s1, s16, s14
	s_mul_i32 s14, s0, s3
	;; [unrolled: 1-line block ×3, first 2 shown]
	s_mul_hi_i32 s1, s1, 18
	s_add_u32 s0, s4, s0
	s_addc_u32 s1, s5, s1
	s_lshl_b64 s[4:5], s[14:15], 2
	s_add_u32 s4, s6, s4
	s_addc_u32 s5, s7, s5
.LBB256_3:                              ; =>This Inner Loop Header: Depth=1
	v_add_nc_u32_e32 v6, v4, v2
	v_mad_i64_i32 v[8:9], null, v2, 36, s[4:5]
	v_add_nc_u32_e32 v2, 16, v2
	v_mad_i64_i32 v[6:7], null, v6, 18, s[0:1]
	v_add_co_u32 v10, vcc_lo, v6, v5
	v_add_co_ci_u32_e64 v11, null, 0, v7, vcc_lo
	v_add_co_u32 v12, vcc_lo, v8, v5
	v_add_co_ci_u32_e64 v13, null, 0, v9, vcc_lo
	global_load_dwordx2 v[10:11], v[10:11], off offset:2
	s_clause 0x2
	global_load_dwordx2 v[14:15], v[12:13], off offset:4
	global_load_dwordx2 v[12:13], v[12:13], off offset:20
	global_load_dword v8, v[8:9], off
	global_load_ushort v6, v[6:7], off
	v_mov_b32_e32 v7, 0
	v_cmp_le_u32_e32 vcc_lo, s13, v2
	s_or_b32 s9, vcc_lo, s9
	s_waitcnt vmcnt(4)
	v_lshrrev_b32_e32 v9, 4, v10
	v_and_b32_e32 v10, 0xf0f0f0f, v10
	v_and_b32_e32 v9, 0xf0f0f0f, v9
	s_waitcnt vmcnt(3)
	v_dot4c_i32_i8 v7, v10, v14
	v_and_b32_e32 v10, 0xf0f0f0f, v11
	v_lshrrev_b32_e32 v11, 4, v11
	s_waitcnt vmcnt(2)
	v_dot4c_i32_i8 v7, v9, v12
	v_and_b32_e32 v9, 0xf0f0f0f, v11
	v_dot4c_i32_i8 v7, v10, v15
	s_waitcnt vmcnt(1)
	v_cvt_f32_f16_sdwa v10, v8 dst_sel:DWORD dst_unused:UNUSED_PAD src0_sel:WORD_1
	v_dot4c_i32_i8 v7, v9, v13
	v_mul_f32_e32 v9, -4.0, v10
	v_cvt_f32_i32_e32 v7, v7
	v_fma_mix_f32 v7, v7, v8, v9 op_sel_hi:[0,1,0]
	s_waitcnt vmcnt(0)
	v_fma_mix_f32 v3, v7, v6, v3 op_sel_hi:[0,1,0]
	s_andn2_b32 exec_lo, exec_lo, s9
	s_cbranch_execnz .LBB256_3
; %bb.4:
	s_or_b32 exec_lo, exec_lo, s9
.LBB256_5:
	s_or_b32 exec_lo, exec_lo, s12
	v_mbcnt_lo_u32_b32 v2, -1, 0
	v_xor_b32_e32 v4, 16, v2
	v_xor_b32_e32 v5, 8, v2
	v_cmp_gt_i32_e32 vcc_lo, 32, v4
	v_cndmask_b32_e32 v4, v2, v4, vcc_lo
	v_cmp_gt_i32_e32 vcc_lo, 32, v5
	v_lshlrev_b32_e32 v4, 2, v4
	v_cndmask_b32_e32 v5, v2, v5, vcc_lo
	ds_bpermute_b32 v4, v4, v3
	v_lshlrev_b32_e32 v5, 2, v5
	s_waitcnt lgkmcnt(0)
	v_add_f32_e32 v3, v3, v4
	ds_bpermute_b32 v4, v5, v3
	v_xor_b32_e32 v5, 4, v2
	v_cmp_gt_i32_e32 vcc_lo, 32, v5
	v_cndmask_b32_e32 v5, v2, v5, vcc_lo
	v_lshlrev_b32_e32 v5, 2, v5
	s_waitcnt lgkmcnt(0)
	v_add_f32_e32 v3, v3, v4
	ds_bpermute_b32 v4, v5, v3
	v_xor_b32_e32 v5, 2, v2
	v_cmp_gt_i32_e32 vcc_lo, 32, v5
	v_cndmask_b32_e32 v5, v2, v5, vcc_lo
	;; [unrolled: 7-line block ×3, first 2 shown]
	v_cmp_eq_u32_e32 vcc_lo, 0, v0
	s_waitcnt lgkmcnt(0)
	v_add_f32_e32 v2, v3, v4
	v_lshlrev_b32_e32 v3, 2, v5
	ds_bpermute_b32 v3, v3, v2
	s_and_b32 exec_lo, exec_lo, vcc_lo
	s_cbranch_execz .LBB256_7
; %bb.6:
	v_mad_u64_u32 v[0:1], null, s2, s8, v[1:2]
	v_mov_b32_e32 v1, 0
	s_waitcnt lgkmcnt(0)
	v_add_f32_e32 v2, v2, v3
	v_cvt_f16_f32_e32 v2, v2
	v_lshlrev_b64 v[0:1], 1, v[0:1]
	v_add_co_u32 v0, vcc_lo, s10, v0
	v_add_co_ci_u32_e64 v1, null, s11, v1, vcc_lo
	global_store_short v[0:1], v2, off
.LBB256_7:
	s_endpgm
	.section	.rodata,"a",@progbits
	.p2align	6, 0x0
	.amdhsa_kernel _ZL9moe_vec_qIN3c104HalfELi32ELi4E10block_q4_0Li2EXadL_ZL17vec_dot_q4_0_q8_1PKvPK10block_q8_1RKiEEEvS4_S4_PT_PS8_iiii
		.amdhsa_group_segment_fixed_size 0
		.amdhsa_private_segment_fixed_size 0
		.amdhsa_kernarg_size 304
		.amdhsa_user_sgpr_count 6
		.amdhsa_user_sgpr_private_segment_buffer 1
		.amdhsa_user_sgpr_dispatch_ptr 0
		.amdhsa_user_sgpr_queue_ptr 0
		.amdhsa_user_sgpr_kernarg_segment_ptr 1
		.amdhsa_user_sgpr_dispatch_id 0
		.amdhsa_user_sgpr_flat_scratch_init 0
		.amdhsa_user_sgpr_private_segment_size 0
		.amdhsa_wavefront_size32 1
		.amdhsa_uses_dynamic_stack 0
		.amdhsa_system_sgpr_private_segment_wavefront_offset 0
		.amdhsa_system_sgpr_workgroup_id_x 1
		.amdhsa_system_sgpr_workgroup_id_y 0
		.amdhsa_system_sgpr_workgroup_id_z 1
		.amdhsa_system_sgpr_workgroup_info 0
		.amdhsa_system_vgpr_workitem_id 1
		.amdhsa_next_free_vgpr 16
		.amdhsa_next_free_sgpr 20
		.amdhsa_reserve_vcc 1
		.amdhsa_reserve_flat_scratch 0
		.amdhsa_float_round_mode_32 0
		.amdhsa_float_round_mode_16_64 0
		.amdhsa_float_denorm_mode_32 3
		.amdhsa_float_denorm_mode_16_64 3
		.amdhsa_dx10_clamp 1
		.amdhsa_ieee_mode 1
		.amdhsa_fp16_overflow 0
		.amdhsa_workgroup_processor_mode 1
		.amdhsa_memory_ordered 1
		.amdhsa_forward_progress 1
		.amdhsa_shared_vgpr_count 0
		.amdhsa_exception_fp_ieee_invalid_op 0
		.amdhsa_exception_fp_denorm_src 0
		.amdhsa_exception_fp_ieee_div_zero 0
		.amdhsa_exception_fp_ieee_overflow 0
		.amdhsa_exception_fp_ieee_underflow 0
		.amdhsa_exception_fp_ieee_inexact 0
		.amdhsa_exception_int_div_zero 0
	.end_amdhsa_kernel
	.section	.text._ZL9moe_vec_qIN3c104HalfELi32ELi4E10block_q4_0Li2EXadL_ZL17vec_dot_q4_0_q8_1PKvPK10block_q8_1RKiEEEvS4_S4_PT_PS8_iiii,"axG",@progbits,_ZL9moe_vec_qIN3c104HalfELi32ELi4E10block_q4_0Li2EXadL_ZL17vec_dot_q4_0_q8_1PKvPK10block_q8_1RKiEEEvS4_S4_PT_PS8_iiii,comdat
.Lfunc_end256:
	.size	_ZL9moe_vec_qIN3c104HalfELi32ELi4E10block_q4_0Li2EXadL_ZL17vec_dot_q4_0_q8_1PKvPK10block_q8_1RKiEEEvS4_S4_PT_PS8_iiii, .Lfunc_end256-_ZL9moe_vec_qIN3c104HalfELi32ELi4E10block_q4_0Li2EXadL_ZL17vec_dot_q4_0_q8_1PKvPK10block_q8_1RKiEEEvS4_S4_PT_PS8_iiii
                                        ; -- End function
	.set _ZL9moe_vec_qIN3c104HalfELi32ELi4E10block_q4_0Li2EXadL_ZL17vec_dot_q4_0_q8_1PKvPK10block_q8_1RKiEEEvS4_S4_PT_PS8_iiii.num_vgpr, 16
	.set _ZL9moe_vec_qIN3c104HalfELi32ELi4E10block_q4_0Li2EXadL_ZL17vec_dot_q4_0_q8_1PKvPK10block_q8_1RKiEEEvS4_S4_PT_PS8_iiii.num_agpr, 0
	.set _ZL9moe_vec_qIN3c104HalfELi32ELi4E10block_q4_0Li2EXadL_ZL17vec_dot_q4_0_q8_1PKvPK10block_q8_1RKiEEEvS4_S4_PT_PS8_iiii.numbered_sgpr, 20
	.set _ZL9moe_vec_qIN3c104HalfELi32ELi4E10block_q4_0Li2EXadL_ZL17vec_dot_q4_0_q8_1PKvPK10block_q8_1RKiEEEvS4_S4_PT_PS8_iiii.num_named_barrier, 0
	.set _ZL9moe_vec_qIN3c104HalfELi32ELi4E10block_q4_0Li2EXadL_ZL17vec_dot_q4_0_q8_1PKvPK10block_q8_1RKiEEEvS4_S4_PT_PS8_iiii.private_seg_size, 0
	.set _ZL9moe_vec_qIN3c104HalfELi32ELi4E10block_q4_0Li2EXadL_ZL17vec_dot_q4_0_q8_1PKvPK10block_q8_1RKiEEEvS4_S4_PT_PS8_iiii.uses_vcc, 1
	.set _ZL9moe_vec_qIN3c104HalfELi32ELi4E10block_q4_0Li2EXadL_ZL17vec_dot_q4_0_q8_1PKvPK10block_q8_1RKiEEEvS4_S4_PT_PS8_iiii.uses_flat_scratch, 0
	.set _ZL9moe_vec_qIN3c104HalfELi32ELi4E10block_q4_0Li2EXadL_ZL17vec_dot_q4_0_q8_1PKvPK10block_q8_1RKiEEEvS4_S4_PT_PS8_iiii.has_dyn_sized_stack, 0
	.set _ZL9moe_vec_qIN3c104HalfELi32ELi4E10block_q4_0Li2EXadL_ZL17vec_dot_q4_0_q8_1PKvPK10block_q8_1RKiEEEvS4_S4_PT_PS8_iiii.has_recursion, 0
	.set _ZL9moe_vec_qIN3c104HalfELi32ELi4E10block_q4_0Li2EXadL_ZL17vec_dot_q4_0_q8_1PKvPK10block_q8_1RKiEEEvS4_S4_PT_PS8_iiii.has_indirect_call, 0
	.section	.AMDGPU.csdata,"",@progbits
; Kernel info:
; codeLenInByte = 768
; TotalNumSgprs: 22
; NumVgprs: 16
; ScratchSize: 0
; MemoryBound: 0
; FloatMode: 240
; IeeeMode: 1
; LDSByteSize: 0 bytes/workgroup (compile time only)
; SGPRBlocks: 0
; VGPRBlocks: 1
; NumSGPRsForWavesPerEU: 22
; NumVGPRsForWavesPerEU: 16
; Occupancy: 16
; WaveLimiterHint : 1
; COMPUTE_PGM_RSRC2:SCRATCH_EN: 0
; COMPUTE_PGM_RSRC2:USER_SGPR: 6
; COMPUTE_PGM_RSRC2:TRAP_HANDLER: 0
; COMPUTE_PGM_RSRC2:TGID_X_EN: 1
; COMPUTE_PGM_RSRC2:TGID_Y_EN: 0
; COMPUTE_PGM_RSRC2:TGID_Z_EN: 1
; COMPUTE_PGM_RSRC2:TIDIG_COMP_CNT: 1
	.section	.text._ZL9moe_vec_qIN3c104HalfELi32ELi4E10block_q4_1Li2EXadL_ZL17vec_dot_q4_1_q8_1PKvPK10block_q8_1RKiEEEvS4_S4_PT_PS8_iiii,"axG",@progbits,_ZL9moe_vec_qIN3c104HalfELi32ELi4E10block_q4_1Li2EXadL_ZL17vec_dot_q4_1_q8_1PKvPK10block_q8_1RKiEEEvS4_S4_PT_PS8_iiii,comdat
	.globl	_ZL9moe_vec_qIN3c104HalfELi32ELi4E10block_q4_1Li2EXadL_ZL17vec_dot_q4_1_q8_1PKvPK10block_q8_1RKiEEEvS4_S4_PT_PS8_iiii ; -- Begin function _ZL9moe_vec_qIN3c104HalfELi32ELi4E10block_q4_1Li2EXadL_ZL17vec_dot_q4_1_q8_1PKvPK10block_q8_1RKiEEEvS4_S4_PT_PS8_iiii
	.p2align	8
	.type	_ZL9moe_vec_qIN3c104HalfELi32ELi4E10block_q4_1Li2EXadL_ZL17vec_dot_q4_1_q8_1PKvPK10block_q8_1RKiEEEvS4_S4_PT_PS8_iiii,@function
_ZL9moe_vec_qIN3c104HalfELi32ELi4E10block_q4_1Li2EXadL_ZL17vec_dot_q4_1_q8_1PKvPK10block_q8_1RKiEEEvS4_S4_PT_PS8_iiii: ; @_ZL9moe_vec_qIN3c104HalfELi32ELi4E10block_q4_1Li2EXadL_ZL17vec_dot_q4_1_q8_1PKvPK10block_q8_1RKiEEEvS4_S4_PT_PS8_iiii
; %bb.0:
	s_mov_b32 s8, s7
	s_clause 0x1
	s_load_dword s7, s[4:5], 0x3c
	s_load_dwordx4 s[0:3], s[4:5], 0x20
	s_waitcnt lgkmcnt(0)
	s_lshr_b32 s7, s7, 16
	v_mad_u64_u32 v[1:2], null, s6, s7, v[1:2]
	s_mov_b32 s6, exec_lo
	v_cmpx_gt_u32_e64 s2, v1
	s_cbranch_execz .LBB257_7
; %bb.1:
	v_cvt_f32_u32_e32 v2, s0
	s_load_dwordx2 s[10:11], s[4:5], 0x10
	s_ashr_i32 s6, s1, 31
	s_mov_b32 s12, exec_lo
	s_lshr_b32 s6, s6, 27
	v_rcp_iflag_f32_e32 v2, v2
	s_add_i32 s1, s1, s6
	s_ashr_i32 s13, s1, 5
	v_mul_f32_e32 v3, 0x4f7ffffe, v2
	v_lshrrev_b32_e32 v2, 1, v0
	v_cvt_u32_f32_e32 v3, v3
	v_readfirstlane_b32 s1, v3
	v_mov_b32_e32 v3, 0
	v_cmpx_gt_u32_e64 s13, v2
	s_cbranch_execz .LBB257_5
; %bb.2:
	s_load_dwordx2 s[6:7], s[4:5], 0x18
	s_sub_i32 s9, 0, s0
	v_lshlrev_b32_e32 v3, 3, v0
	s_mul_i32 s14, s9, s1
	s_mov_b32 s9, 0
	s_mul_hi_u32 s16, s1, s14
	s_lshl_b64 s[14:15], s[8:9], 2
	s_add_i32 s1, s1, s16
	s_mul_i32 s16, s13, s2
	s_mul_hi_u32 s1, s8, s1
	v_mul_lo_u32 v4, v1, s13
	v_and_b32_e32 v5, 8, v3
	v_mov_b32_e32 v3, 0
	s_waitcnt lgkmcnt(0)
	s_add_u32 s6, s6, s14
	s_addc_u32 s7, s7, s15
	s_mul_i32 s15, s1, s0
	s_load_dword s14, s[6:7], 0x0
	s_load_dwordx4 s[4:7], s[4:5], 0x0
	s_sub_i32 s17, s8, s15
	s_add_i32 s18, s1, 1
	s_sub_i32 s19, s17, s0
	s_cmp_ge_u32 s17, s0
	s_mov_b32 s15, s9
	s_cselect_b32 s1, s18, s1
	s_cselect_b32 s17, s19, s17
	s_add_i32 s18, s1, 1
	s_cmp_ge_u32 s17, s0
	s_cselect_b32 s0, s18, s1
	s_waitcnt lgkmcnt(0)
	s_mul_i32 s1, s16, s14
	s_mul_i32 s14, s0, s3
	;; [unrolled: 1-line block ×3, first 2 shown]
	s_mul_hi_i32 s1, s1, 20
	s_add_u32 s0, s4, s0
	s_addc_u32 s1, s5, s1
	s_lshl_b64 s[4:5], s[14:15], 2
	s_add_u32 s4, s6, s4
	s_addc_u32 s5, s7, s5
.LBB257_3:                              ; =>This Inner Loop Header: Depth=1
	v_add_nc_u32_e32 v6, v4, v2
	v_mad_i64_i32 v[8:9], null, v2, 36, s[4:5]
	v_add_nc_u32_e32 v2, 16, v2
	v_mad_i64_i32 v[6:7], null, v6, 20, s[0:1]
	v_add_co_u32 v10, vcc_lo, v6, v5
	v_add_co_ci_u32_e64 v11, null, 0, v7, vcc_lo
	v_add_co_u32 v12, vcc_lo, v8, v5
	v_add_co_ci_u32_e64 v13, null, 0, v9, vcc_lo
	global_load_dwordx2 v[10:11], v[10:11], off offset:4
	s_clause 0x2
	global_load_dwordx2 v[14:15], v[12:13], off offset:4
	global_load_dwordx2 v[12:13], v[12:13], off offset:20
	global_load_dword v8, v[8:9], off
	global_load_dword v6, v[6:7], off
	v_mov_b32_e32 v7, 0
	v_cmp_le_u32_e32 vcc_lo, s13, v2
	s_or_b32 s9, vcc_lo, s9
	s_waitcnt vmcnt(4)
	v_lshrrev_b32_e32 v9, 4, v10
	v_and_b32_e32 v10, 0xf0f0f0f, v10
	s_waitcnt vmcnt(0)
	v_pk_mul_f16 v6, v6, v8
	v_and_b32_e32 v9, 0xf0f0f0f, v9
	v_dot4c_i32_i8 v7, v10, v14
	v_and_b32_e32 v10, 0xf0f0f0f, v11
	v_lshrrev_b32_e32 v11, 4, v11
	v_dot4c_i32_i8 v7, v9, v12
	v_cvt_f32_f16_sdwa v9, v6 dst_sel:DWORD dst_unused:UNUSED_PAD src0_sel:WORD_1
	v_and_b32_e32 v8, 0xf0f0f0f, v11
	v_dot4c_i32_i8 v7, v10, v15
	v_dot4c_i32_i8 v7, v8, v13
	v_mul_f32_e32 v8, 0.5, v9
	v_cvt_f32_i32_e32 v7, v7
	v_fma_mix_f32 v6, v7, v6, v8 op_sel_hi:[0,1,0]
	v_add_f32_e32 v3, v3, v6
	s_andn2_b32 exec_lo, exec_lo, s9
	s_cbranch_execnz .LBB257_3
; %bb.4:
	s_or_b32 exec_lo, exec_lo, s9
.LBB257_5:
	s_or_b32 exec_lo, exec_lo, s12
	v_mbcnt_lo_u32_b32 v2, -1, 0
	v_xor_b32_e32 v4, 16, v2
	v_xor_b32_e32 v5, 8, v2
	v_cmp_gt_i32_e32 vcc_lo, 32, v4
	v_cndmask_b32_e32 v4, v2, v4, vcc_lo
	v_cmp_gt_i32_e32 vcc_lo, 32, v5
	v_lshlrev_b32_e32 v4, 2, v4
	v_cndmask_b32_e32 v5, v2, v5, vcc_lo
	ds_bpermute_b32 v4, v4, v3
	v_lshlrev_b32_e32 v5, 2, v5
	s_waitcnt lgkmcnt(0)
	v_add_f32_e32 v3, v3, v4
	ds_bpermute_b32 v4, v5, v3
	v_xor_b32_e32 v5, 4, v2
	v_cmp_gt_i32_e32 vcc_lo, 32, v5
	v_cndmask_b32_e32 v5, v2, v5, vcc_lo
	v_lshlrev_b32_e32 v5, 2, v5
	s_waitcnt lgkmcnt(0)
	v_add_f32_e32 v3, v3, v4
	ds_bpermute_b32 v4, v5, v3
	v_xor_b32_e32 v5, 2, v2
	v_cmp_gt_i32_e32 vcc_lo, 32, v5
	v_cndmask_b32_e32 v5, v2, v5, vcc_lo
	;; [unrolled: 7-line block ×3, first 2 shown]
	v_cmp_eq_u32_e32 vcc_lo, 0, v0
	s_waitcnt lgkmcnt(0)
	v_add_f32_e32 v2, v3, v4
	v_lshlrev_b32_e32 v3, 2, v5
	ds_bpermute_b32 v3, v3, v2
	s_and_b32 exec_lo, exec_lo, vcc_lo
	s_cbranch_execz .LBB257_7
; %bb.6:
	v_mad_u64_u32 v[0:1], null, s2, s8, v[1:2]
	v_mov_b32_e32 v1, 0
	s_waitcnt lgkmcnt(0)
	v_add_f32_e32 v2, v2, v3
	v_cvt_f16_f32_e32 v2, v2
	v_lshlrev_b64 v[0:1], 1, v[0:1]
	v_add_co_u32 v0, vcc_lo, s10, v0
	v_add_co_ci_u32_e64 v1, null, s11, v1, vcc_lo
	global_store_short v[0:1], v2, off
.LBB257_7:
	s_endpgm
	.section	.rodata,"a",@progbits
	.p2align	6, 0x0
	.amdhsa_kernel _ZL9moe_vec_qIN3c104HalfELi32ELi4E10block_q4_1Li2EXadL_ZL17vec_dot_q4_1_q8_1PKvPK10block_q8_1RKiEEEvS4_S4_PT_PS8_iiii
		.amdhsa_group_segment_fixed_size 0
		.amdhsa_private_segment_fixed_size 0
		.amdhsa_kernarg_size 304
		.amdhsa_user_sgpr_count 6
		.amdhsa_user_sgpr_private_segment_buffer 1
		.amdhsa_user_sgpr_dispatch_ptr 0
		.amdhsa_user_sgpr_queue_ptr 0
		.amdhsa_user_sgpr_kernarg_segment_ptr 1
		.amdhsa_user_sgpr_dispatch_id 0
		.amdhsa_user_sgpr_flat_scratch_init 0
		.amdhsa_user_sgpr_private_segment_size 0
		.amdhsa_wavefront_size32 1
		.amdhsa_uses_dynamic_stack 0
		.amdhsa_system_sgpr_private_segment_wavefront_offset 0
		.amdhsa_system_sgpr_workgroup_id_x 1
		.amdhsa_system_sgpr_workgroup_id_y 0
		.amdhsa_system_sgpr_workgroup_id_z 1
		.amdhsa_system_sgpr_workgroup_info 0
		.amdhsa_system_vgpr_workitem_id 1
		.amdhsa_next_free_vgpr 16
		.amdhsa_next_free_sgpr 20
		.amdhsa_reserve_vcc 1
		.amdhsa_reserve_flat_scratch 0
		.amdhsa_float_round_mode_32 0
		.amdhsa_float_round_mode_16_64 0
		.amdhsa_float_denorm_mode_32 3
		.amdhsa_float_denorm_mode_16_64 3
		.amdhsa_dx10_clamp 1
		.amdhsa_ieee_mode 1
		.amdhsa_fp16_overflow 0
		.amdhsa_workgroup_processor_mode 1
		.amdhsa_memory_ordered 1
		.amdhsa_forward_progress 1
		.amdhsa_shared_vgpr_count 0
		.amdhsa_exception_fp_ieee_invalid_op 0
		.amdhsa_exception_fp_denorm_src 0
		.amdhsa_exception_fp_ieee_div_zero 0
		.amdhsa_exception_fp_ieee_overflow 0
		.amdhsa_exception_fp_ieee_underflow 0
		.amdhsa_exception_fp_ieee_inexact 0
		.amdhsa_exception_int_div_zero 0
	.end_amdhsa_kernel
	.section	.text._ZL9moe_vec_qIN3c104HalfELi32ELi4E10block_q4_1Li2EXadL_ZL17vec_dot_q4_1_q8_1PKvPK10block_q8_1RKiEEEvS4_S4_PT_PS8_iiii,"axG",@progbits,_ZL9moe_vec_qIN3c104HalfELi32ELi4E10block_q4_1Li2EXadL_ZL17vec_dot_q4_1_q8_1PKvPK10block_q8_1RKiEEEvS4_S4_PT_PS8_iiii,comdat
.Lfunc_end257:
	.size	_ZL9moe_vec_qIN3c104HalfELi32ELi4E10block_q4_1Li2EXadL_ZL17vec_dot_q4_1_q8_1PKvPK10block_q8_1RKiEEEvS4_S4_PT_PS8_iiii, .Lfunc_end257-_ZL9moe_vec_qIN3c104HalfELi32ELi4E10block_q4_1Li2EXadL_ZL17vec_dot_q4_1_q8_1PKvPK10block_q8_1RKiEEEvS4_S4_PT_PS8_iiii
                                        ; -- End function
	.set _ZL9moe_vec_qIN3c104HalfELi32ELi4E10block_q4_1Li2EXadL_ZL17vec_dot_q4_1_q8_1PKvPK10block_q8_1RKiEEEvS4_S4_PT_PS8_iiii.num_vgpr, 16
	.set _ZL9moe_vec_qIN3c104HalfELi32ELi4E10block_q4_1Li2EXadL_ZL17vec_dot_q4_1_q8_1PKvPK10block_q8_1RKiEEEvS4_S4_PT_PS8_iiii.num_agpr, 0
	.set _ZL9moe_vec_qIN3c104HalfELi32ELi4E10block_q4_1Li2EXadL_ZL17vec_dot_q4_1_q8_1PKvPK10block_q8_1RKiEEEvS4_S4_PT_PS8_iiii.numbered_sgpr, 20
	.set _ZL9moe_vec_qIN3c104HalfELi32ELi4E10block_q4_1Li2EXadL_ZL17vec_dot_q4_1_q8_1PKvPK10block_q8_1RKiEEEvS4_S4_PT_PS8_iiii.num_named_barrier, 0
	.set _ZL9moe_vec_qIN3c104HalfELi32ELi4E10block_q4_1Li2EXadL_ZL17vec_dot_q4_1_q8_1PKvPK10block_q8_1RKiEEEvS4_S4_PT_PS8_iiii.private_seg_size, 0
	.set _ZL9moe_vec_qIN3c104HalfELi32ELi4E10block_q4_1Li2EXadL_ZL17vec_dot_q4_1_q8_1PKvPK10block_q8_1RKiEEEvS4_S4_PT_PS8_iiii.uses_vcc, 1
	.set _ZL9moe_vec_qIN3c104HalfELi32ELi4E10block_q4_1Li2EXadL_ZL17vec_dot_q4_1_q8_1PKvPK10block_q8_1RKiEEEvS4_S4_PT_PS8_iiii.uses_flat_scratch, 0
	.set _ZL9moe_vec_qIN3c104HalfELi32ELi4E10block_q4_1Li2EXadL_ZL17vec_dot_q4_1_q8_1PKvPK10block_q8_1RKiEEEvS4_S4_PT_PS8_iiii.has_dyn_sized_stack, 0
	.set _ZL9moe_vec_qIN3c104HalfELi32ELi4E10block_q4_1Li2EXadL_ZL17vec_dot_q4_1_q8_1PKvPK10block_q8_1RKiEEEvS4_S4_PT_PS8_iiii.has_recursion, 0
	.set _ZL9moe_vec_qIN3c104HalfELi32ELi4E10block_q4_1Li2EXadL_ZL17vec_dot_q4_1_q8_1PKvPK10block_q8_1RKiEEEvS4_S4_PT_PS8_iiii.has_indirect_call, 0
	.section	.AMDGPU.csdata,"",@progbits
; Kernel info:
; codeLenInByte = 760
; TotalNumSgprs: 22
; NumVgprs: 16
; ScratchSize: 0
; MemoryBound: 0
; FloatMode: 240
; IeeeMode: 1
; LDSByteSize: 0 bytes/workgroup (compile time only)
; SGPRBlocks: 0
; VGPRBlocks: 1
; NumSGPRsForWavesPerEU: 22
; NumVGPRsForWavesPerEU: 16
; Occupancy: 16
; WaveLimiterHint : 1
; COMPUTE_PGM_RSRC2:SCRATCH_EN: 0
; COMPUTE_PGM_RSRC2:USER_SGPR: 6
; COMPUTE_PGM_RSRC2:TRAP_HANDLER: 0
; COMPUTE_PGM_RSRC2:TGID_X_EN: 1
; COMPUTE_PGM_RSRC2:TGID_Y_EN: 0
; COMPUTE_PGM_RSRC2:TGID_Z_EN: 1
; COMPUTE_PGM_RSRC2:TIDIG_COMP_CNT: 1
	.section	.text._ZL9moe_vec_qIN3c104HalfELi32ELi4E10block_q5_0Li2EXadL_ZL17vec_dot_q5_0_q8_1PKvPK10block_q8_1RKiEEEvS4_S4_PT_PS8_iiii,"axG",@progbits,_ZL9moe_vec_qIN3c104HalfELi32ELi4E10block_q5_0Li2EXadL_ZL17vec_dot_q5_0_q8_1PKvPK10block_q8_1RKiEEEvS4_S4_PT_PS8_iiii,comdat
	.globl	_ZL9moe_vec_qIN3c104HalfELi32ELi4E10block_q5_0Li2EXadL_ZL17vec_dot_q5_0_q8_1PKvPK10block_q8_1RKiEEEvS4_S4_PT_PS8_iiii ; -- Begin function _ZL9moe_vec_qIN3c104HalfELi32ELi4E10block_q5_0Li2EXadL_ZL17vec_dot_q5_0_q8_1PKvPK10block_q8_1RKiEEEvS4_S4_PT_PS8_iiii
	.p2align	8
	.type	_ZL9moe_vec_qIN3c104HalfELi32ELi4E10block_q5_0Li2EXadL_ZL17vec_dot_q5_0_q8_1PKvPK10block_q8_1RKiEEEvS4_S4_PT_PS8_iiii,@function
_ZL9moe_vec_qIN3c104HalfELi32ELi4E10block_q5_0Li2EXadL_ZL17vec_dot_q5_0_q8_1PKvPK10block_q8_1RKiEEEvS4_S4_PT_PS8_iiii: ; @_ZL9moe_vec_qIN3c104HalfELi32ELi4E10block_q5_0Li2EXadL_ZL17vec_dot_q5_0_q8_1PKvPK10block_q8_1RKiEEEvS4_S4_PT_PS8_iiii
; %bb.0:
	s_mov_b32 s8, s7
	s_clause 0x1
	s_load_dword s7, s[4:5], 0x3c
	s_load_dwordx4 s[0:3], s[4:5], 0x20
	s_waitcnt lgkmcnt(0)
	s_lshr_b32 s7, s7, 16
	v_mad_u64_u32 v[1:2], null, s6, s7, v[1:2]
	s_mov_b32 s6, exec_lo
	v_cmpx_gt_u32_e64 s2, v1
	s_cbranch_execz .LBB258_7
; %bb.1:
	v_cvt_f32_u32_e32 v2, s0
	s_load_dwordx2 s[10:11], s[4:5], 0x10
	s_ashr_i32 s6, s1, 31
	s_mov_b32 s12, exec_lo
	s_lshr_b32 s6, s6, 27
	v_rcp_iflag_f32_e32 v2, v2
	s_add_i32 s1, s1, s6
	s_ashr_i32 s13, s1, 5
	v_mul_f32_e32 v3, 0x4f7ffffe, v2
	v_lshrrev_b32_e32 v2, 1, v0
	v_cvt_u32_f32_e32 v3, v3
	v_readfirstlane_b32 s1, v3
	v_mov_b32_e32 v3, 0
	v_cmpx_gt_u32_e64 s13, v2
	s_cbranch_execz .LBB258_5
; %bb.2:
	s_load_dwordx2 s[6:7], s[4:5], 0x18
	s_sub_i32 s9, 0, s0
	v_lshlrev_b32_e32 v5, 3, v0
	s_mul_i32 s14, s9, s1
	s_mov_b32 s9, 0
	s_mul_hi_u32 s16, s1, s14
	s_lshl_b64 s[14:15], s[8:9], 2
	s_add_i32 s1, s1, s16
	s_mul_i32 s16, s13, s2
	s_mul_hi_u32 s1, s8, s1
	v_and_b32_e32 v5, 8, v5
	v_mul_lo_u32 v4, v1, s13
	v_mov_b32_e32 v3, 0
	v_or_b32_e32 v6, 4, v5
	s_waitcnt lgkmcnt(0)
	s_add_u32 s6, s6, s14
	s_addc_u32 s7, s7, s15
	s_mul_i32 s15, s1, s0
	s_load_dword s14, s[6:7], 0x0
	s_load_dwordx4 s[4:7], s[4:5], 0x0
	s_sub_i32 s17, s8, s15
	s_add_i32 s18, s1, 1
	s_sub_i32 s19, s17, s0
	s_cmp_ge_u32 s17, s0
	s_mov_b32 s15, s9
	s_cselect_b32 s1, s18, s1
	s_cselect_b32 s17, s19, s17
	s_add_i32 s18, s1, 1
	s_cmp_ge_u32 s17, s0
	s_cselect_b32 s0, s18, s1
	s_waitcnt lgkmcnt(0)
	s_mul_i32 s1, s16, s14
	s_mul_i32 s14, s0, s3
	;; [unrolled: 1-line block ×3, first 2 shown]
	s_mul_hi_i32 s1, s1, 22
	s_add_u32 s0, s4, s0
	s_addc_u32 s1, s5, s1
	s_lshl_b64 s[4:5], s[14:15], 2
	s_add_u32 s4, s6, s4
	s_addc_u32 s5, s7, s5
.LBB258_3:                              ; =>This Inner Loop Header: Depth=1
	v_add_nc_u32_e32 v7, v4, v2
	v_mad_i64_i32 v[11:12], null, v2, 36, s[4:5]
	v_add_nc_u32_e32 v2, 16, v2
	v_mad_i64_i32 v[7:8], null, v7, 22, s[0:1]
	v_add_co_u32 v9, vcc_lo, v7, v5
	v_add_co_ci_u32_e64 v10, null, 0, v8, vcc_lo
	v_add_co_u32 v13, vcc_lo, v11, v5
	s_clause 0x1
	global_load_dword v17, v[7:8], off offset:2
	global_load_dwordx2 v[9:10], v[9:10], off offset:6
	v_add_co_ci_u32_e64 v14, null, 0, v12, vcc_lo
	s_clause 0x2
	global_load_dwordx2 v[15:16], v[13:14], off offset:4
	global_load_dwordx2 v[13:14], v[13:14], off offset:20
	global_load_dword v11, v[11:12], off
	global_load_ushort v7, v[7:8], off
	v_mov_b32_e32 v8, 0
	v_cmp_le_u32_e32 vcc_lo, s13, v2
	s_or_b32 s9, vcc_lo, s9
	s_waitcnt vmcnt(5)
	v_ashrrev_i32_e32 v12, v5, v17
	v_ashrrev_i32_e32 v17, v6, v17
	s_waitcnt vmcnt(4)
	v_and_b32_e32 v18, 0xf0f0f0f, v9
	v_lshrrev_b32_e32 v9, 4, v9
	v_and_b32_e32 v26, 0xf0f0f0f, v10
	v_lshlrev_b32_e32 v19, 4, v12
	v_lshlrev_b32_e32 v20, 11, v12
	;; [unrolled: 1-line block ×4, first 2 shown]
	v_lshrrev_b32_e32 v23, 12, v12
	v_lshrrev_b32_e32 v24, 5, v12
	v_lshlrev_b32_e32 v25, 2, v12
	v_and_b32_e32 v19, 16, v19
	v_and_b32_e32 v20, 0x1000, v20
	v_lshlrev_b32_e32 v12, 9, v12
	v_lshlrev_b32_e32 v27, 4, v17
	;; [unrolled: 1-line block ×4, first 2 shown]
	v_and_b32_e32 v21, 0x100000, v21
	v_and_b32_e32 v22, 0x10000000, v22
	;; [unrolled: 1-line block ×5, first 2 shown]
	v_or3_b32 v18, v19, v18, v20
	v_lshlrev_b32_e32 v30, 25, v17
	v_lshrrev_b32_e32 v31, 12, v17
	v_lshrrev_b32_e32 v32, 5, v17
	v_lshlrev_b32_e32 v33, 2, v17
	v_and_b32_e32 v9, 0xf0f0f0f, v9
	v_and_b32_e32 v12, 0x10000000, v12
	;; [unrolled: 1-line block ×5, first 2 shown]
	v_or3_b32 v23, v24, v23, v25
	v_or3_b32 v18, v18, v21, v22
	v_lshrrev_b32_e32 v10, 4, v10
	v_lshlrev_b32_e32 v17, 9, v17
	v_and_b32_e32 v20, 0x10000000, v30
	v_and_b32_e32 v29, 16, v31
	;; [unrolled: 1-line block ×4, first 2 shown]
	v_or3_b32 v19, v28, v27, v19
	v_or3_b32 v9, v23, v12, v9
	s_waitcnt vmcnt(3)
	v_dot4c_i32_i8 v8, v18, v15
	v_and_b32_e32 v10, 0xf0f0f0f, v10
	v_and_b32_e32 v12, 0x10000000, v17
	v_or3_b32 v15, v21, v29, v22
	v_or3_b32 v17, v19, v20, v26
	s_waitcnt vmcnt(2)
	v_dot4c_i32_i8 v8, v9, v13
	v_or3_b32 v9, v15, v12, v10
	s_waitcnt vmcnt(1)
	v_cvt_f32_f16_sdwa v10, v11 dst_sel:DWORD dst_unused:UNUSED_PAD src0_sel:WORD_1
	v_dot4c_i32_i8 v8, v17, v16
	v_dot4c_i32_i8 v8, v9, v14
	v_mul_f32_e32 v9, 0xc1000000, v10
	v_cvt_f32_i32_e32 v8, v8
	v_fma_mix_f32 v8, v11, v8, v9 op_sel_hi:[1,0,0]
	s_waitcnt vmcnt(0)
	v_fma_mix_f32 v3, v8, v7, v3 op_sel_hi:[0,1,0]
	s_andn2_b32 exec_lo, exec_lo, s9
	s_cbranch_execnz .LBB258_3
; %bb.4:
	s_or_b32 exec_lo, exec_lo, s9
.LBB258_5:
	s_or_b32 exec_lo, exec_lo, s12
	v_mbcnt_lo_u32_b32 v2, -1, 0
	v_xor_b32_e32 v4, 16, v2
	v_xor_b32_e32 v5, 8, v2
	v_cmp_gt_i32_e32 vcc_lo, 32, v4
	v_cndmask_b32_e32 v4, v2, v4, vcc_lo
	v_cmp_gt_i32_e32 vcc_lo, 32, v5
	v_lshlrev_b32_e32 v4, 2, v4
	v_cndmask_b32_e32 v5, v2, v5, vcc_lo
	ds_bpermute_b32 v4, v4, v3
	v_lshlrev_b32_e32 v5, 2, v5
	s_waitcnt lgkmcnt(0)
	v_add_f32_e32 v3, v3, v4
	ds_bpermute_b32 v4, v5, v3
	v_xor_b32_e32 v5, 4, v2
	v_cmp_gt_i32_e32 vcc_lo, 32, v5
	v_cndmask_b32_e32 v5, v2, v5, vcc_lo
	v_lshlrev_b32_e32 v5, 2, v5
	s_waitcnt lgkmcnt(0)
	v_add_f32_e32 v3, v3, v4
	ds_bpermute_b32 v4, v5, v3
	v_xor_b32_e32 v5, 2, v2
	v_cmp_gt_i32_e32 vcc_lo, 32, v5
	v_cndmask_b32_e32 v5, v2, v5, vcc_lo
	;; [unrolled: 7-line block ×3, first 2 shown]
	v_cmp_eq_u32_e32 vcc_lo, 0, v0
	s_waitcnt lgkmcnt(0)
	v_add_f32_e32 v2, v3, v4
	v_lshlrev_b32_e32 v3, 2, v5
	ds_bpermute_b32 v3, v3, v2
	s_and_b32 exec_lo, exec_lo, vcc_lo
	s_cbranch_execz .LBB258_7
; %bb.6:
	v_mad_u64_u32 v[0:1], null, s2, s8, v[1:2]
	v_mov_b32_e32 v1, 0
	s_waitcnt lgkmcnt(0)
	v_add_f32_e32 v2, v2, v3
	v_cvt_f16_f32_e32 v2, v2
	v_lshlrev_b64 v[0:1], 1, v[0:1]
	v_add_co_u32 v0, vcc_lo, s10, v0
	v_add_co_ci_u32_e64 v1, null, s11, v1, vcc_lo
	global_store_short v[0:1], v2, off
.LBB258_7:
	s_endpgm
	.section	.rodata,"a",@progbits
	.p2align	6, 0x0
	.amdhsa_kernel _ZL9moe_vec_qIN3c104HalfELi32ELi4E10block_q5_0Li2EXadL_ZL17vec_dot_q5_0_q8_1PKvPK10block_q8_1RKiEEEvS4_S4_PT_PS8_iiii
		.amdhsa_group_segment_fixed_size 0
		.amdhsa_private_segment_fixed_size 0
		.amdhsa_kernarg_size 304
		.amdhsa_user_sgpr_count 6
		.amdhsa_user_sgpr_private_segment_buffer 1
		.amdhsa_user_sgpr_dispatch_ptr 0
		.amdhsa_user_sgpr_queue_ptr 0
		.amdhsa_user_sgpr_kernarg_segment_ptr 1
		.amdhsa_user_sgpr_dispatch_id 0
		.amdhsa_user_sgpr_flat_scratch_init 0
		.amdhsa_user_sgpr_private_segment_size 0
		.amdhsa_wavefront_size32 1
		.amdhsa_uses_dynamic_stack 0
		.amdhsa_system_sgpr_private_segment_wavefront_offset 0
		.amdhsa_system_sgpr_workgroup_id_x 1
		.amdhsa_system_sgpr_workgroup_id_y 0
		.amdhsa_system_sgpr_workgroup_id_z 1
		.amdhsa_system_sgpr_workgroup_info 0
		.amdhsa_system_vgpr_workitem_id 1
		.amdhsa_next_free_vgpr 34
		.amdhsa_next_free_sgpr 20
		.amdhsa_reserve_vcc 1
		.amdhsa_reserve_flat_scratch 0
		.amdhsa_float_round_mode_32 0
		.amdhsa_float_round_mode_16_64 0
		.amdhsa_float_denorm_mode_32 3
		.amdhsa_float_denorm_mode_16_64 3
		.amdhsa_dx10_clamp 1
		.amdhsa_ieee_mode 1
		.amdhsa_fp16_overflow 0
		.amdhsa_workgroup_processor_mode 1
		.amdhsa_memory_ordered 1
		.amdhsa_forward_progress 1
		.amdhsa_shared_vgpr_count 0
		.amdhsa_exception_fp_ieee_invalid_op 0
		.amdhsa_exception_fp_denorm_src 0
		.amdhsa_exception_fp_ieee_div_zero 0
		.amdhsa_exception_fp_ieee_overflow 0
		.amdhsa_exception_fp_ieee_underflow 0
		.amdhsa_exception_fp_ieee_inexact 0
		.amdhsa_exception_int_div_zero 0
	.end_amdhsa_kernel
	.section	.text._ZL9moe_vec_qIN3c104HalfELi32ELi4E10block_q5_0Li2EXadL_ZL17vec_dot_q5_0_q8_1PKvPK10block_q8_1RKiEEEvS4_S4_PT_PS8_iiii,"axG",@progbits,_ZL9moe_vec_qIN3c104HalfELi32ELi4E10block_q5_0Li2EXadL_ZL17vec_dot_q5_0_q8_1PKvPK10block_q8_1RKiEEEvS4_S4_PT_PS8_iiii,comdat
.Lfunc_end258:
	.size	_ZL9moe_vec_qIN3c104HalfELi32ELi4E10block_q5_0Li2EXadL_ZL17vec_dot_q5_0_q8_1PKvPK10block_q8_1RKiEEEvS4_S4_PT_PS8_iiii, .Lfunc_end258-_ZL9moe_vec_qIN3c104HalfELi32ELi4E10block_q5_0Li2EXadL_ZL17vec_dot_q5_0_q8_1PKvPK10block_q8_1RKiEEEvS4_S4_PT_PS8_iiii
                                        ; -- End function
	.set _ZL9moe_vec_qIN3c104HalfELi32ELi4E10block_q5_0Li2EXadL_ZL17vec_dot_q5_0_q8_1PKvPK10block_q8_1RKiEEEvS4_S4_PT_PS8_iiii.num_vgpr, 34
	.set _ZL9moe_vec_qIN3c104HalfELi32ELi4E10block_q5_0Li2EXadL_ZL17vec_dot_q5_0_q8_1PKvPK10block_q8_1RKiEEEvS4_S4_PT_PS8_iiii.num_agpr, 0
	.set _ZL9moe_vec_qIN3c104HalfELi32ELi4E10block_q5_0Li2EXadL_ZL17vec_dot_q5_0_q8_1PKvPK10block_q8_1RKiEEEvS4_S4_PT_PS8_iiii.numbered_sgpr, 20
	.set _ZL9moe_vec_qIN3c104HalfELi32ELi4E10block_q5_0Li2EXadL_ZL17vec_dot_q5_0_q8_1PKvPK10block_q8_1RKiEEEvS4_S4_PT_PS8_iiii.num_named_barrier, 0
	.set _ZL9moe_vec_qIN3c104HalfELi32ELi4E10block_q5_0Li2EXadL_ZL17vec_dot_q5_0_q8_1PKvPK10block_q8_1RKiEEEvS4_S4_PT_PS8_iiii.private_seg_size, 0
	.set _ZL9moe_vec_qIN3c104HalfELi32ELi4E10block_q5_0Li2EXadL_ZL17vec_dot_q5_0_q8_1PKvPK10block_q8_1RKiEEEvS4_S4_PT_PS8_iiii.uses_vcc, 1
	.set _ZL9moe_vec_qIN3c104HalfELi32ELi4E10block_q5_0Li2EXadL_ZL17vec_dot_q5_0_q8_1PKvPK10block_q8_1RKiEEEvS4_S4_PT_PS8_iiii.uses_flat_scratch, 0
	.set _ZL9moe_vec_qIN3c104HalfELi32ELi4E10block_q5_0Li2EXadL_ZL17vec_dot_q5_0_q8_1PKvPK10block_q8_1RKiEEEvS4_S4_PT_PS8_iiii.has_dyn_sized_stack, 0
	.set _ZL9moe_vec_qIN3c104HalfELi32ELi4E10block_q5_0Li2EXadL_ZL17vec_dot_q5_0_q8_1PKvPK10block_q8_1RKiEEEvS4_S4_PT_PS8_iiii.has_recursion, 0
	.set _ZL9moe_vec_qIN3c104HalfELi32ELi4E10block_q5_0Li2EXadL_ZL17vec_dot_q5_0_q8_1PKvPK10block_q8_1RKiEEEvS4_S4_PT_PS8_iiii.has_indirect_call, 0
	.section	.AMDGPU.csdata,"",@progbits
; Kernel info:
; codeLenInByte = 1040
; TotalNumSgprs: 22
; NumVgprs: 34
; ScratchSize: 0
; MemoryBound: 0
; FloatMode: 240
; IeeeMode: 1
; LDSByteSize: 0 bytes/workgroup (compile time only)
; SGPRBlocks: 0
; VGPRBlocks: 4
; NumSGPRsForWavesPerEU: 22
; NumVGPRsForWavesPerEU: 34
; Occupancy: 16
; WaveLimiterHint : 1
; COMPUTE_PGM_RSRC2:SCRATCH_EN: 0
; COMPUTE_PGM_RSRC2:USER_SGPR: 6
; COMPUTE_PGM_RSRC2:TRAP_HANDLER: 0
; COMPUTE_PGM_RSRC2:TGID_X_EN: 1
; COMPUTE_PGM_RSRC2:TGID_Y_EN: 0
; COMPUTE_PGM_RSRC2:TGID_Z_EN: 1
; COMPUTE_PGM_RSRC2:TIDIG_COMP_CNT: 1
	.section	.text._ZL9moe_vec_qIN3c104HalfELi32ELi4E10block_q5_1Li2EXadL_ZL17vec_dot_q5_1_q8_1PKvPK10block_q8_1RKiEEEvS4_S4_PT_PS8_iiii,"axG",@progbits,_ZL9moe_vec_qIN3c104HalfELi32ELi4E10block_q5_1Li2EXadL_ZL17vec_dot_q5_1_q8_1PKvPK10block_q8_1RKiEEEvS4_S4_PT_PS8_iiii,comdat
	.globl	_ZL9moe_vec_qIN3c104HalfELi32ELi4E10block_q5_1Li2EXadL_ZL17vec_dot_q5_1_q8_1PKvPK10block_q8_1RKiEEEvS4_S4_PT_PS8_iiii ; -- Begin function _ZL9moe_vec_qIN3c104HalfELi32ELi4E10block_q5_1Li2EXadL_ZL17vec_dot_q5_1_q8_1PKvPK10block_q8_1RKiEEEvS4_S4_PT_PS8_iiii
	.p2align	8
	.type	_ZL9moe_vec_qIN3c104HalfELi32ELi4E10block_q5_1Li2EXadL_ZL17vec_dot_q5_1_q8_1PKvPK10block_q8_1RKiEEEvS4_S4_PT_PS8_iiii,@function
_ZL9moe_vec_qIN3c104HalfELi32ELi4E10block_q5_1Li2EXadL_ZL17vec_dot_q5_1_q8_1PKvPK10block_q8_1RKiEEEvS4_S4_PT_PS8_iiii: ; @_ZL9moe_vec_qIN3c104HalfELi32ELi4E10block_q5_1Li2EXadL_ZL17vec_dot_q5_1_q8_1PKvPK10block_q8_1RKiEEEvS4_S4_PT_PS8_iiii
; %bb.0:
	s_mov_b32 s8, s7
	s_clause 0x1
	s_load_dword s7, s[4:5], 0x3c
	s_load_dwordx4 s[0:3], s[4:5], 0x20
	s_waitcnt lgkmcnt(0)
	s_lshr_b32 s7, s7, 16
	v_mad_u64_u32 v[1:2], null, s6, s7, v[1:2]
	s_mov_b32 s6, exec_lo
	v_cmpx_gt_u32_e64 s2, v1
	s_cbranch_execz .LBB259_7
; %bb.1:
	v_cvt_f32_u32_e32 v2, s0
	s_load_dwordx2 s[10:11], s[4:5], 0x10
	s_ashr_i32 s6, s1, 31
	s_mov_b32 s12, exec_lo
	s_lshr_b32 s6, s6, 27
	v_rcp_iflag_f32_e32 v2, v2
	s_add_i32 s1, s1, s6
	s_ashr_i32 s13, s1, 5
	v_mul_f32_e32 v3, 0x4f7ffffe, v2
	v_lshrrev_b32_e32 v2, 1, v0
	v_cvt_u32_f32_e32 v3, v3
	v_readfirstlane_b32 s1, v3
	v_mov_b32_e32 v3, 0
	v_cmpx_gt_u32_e64 s13, v2
	s_cbranch_execz .LBB259_5
; %bb.2:
	s_load_dwordx2 s[6:7], s[4:5], 0x18
	s_sub_i32 s9, 0, s0
	v_lshlrev_b32_e32 v5, 3, v0
	s_mul_i32 s14, s9, s1
	s_mov_b32 s9, 0
	s_mul_hi_u32 s16, s1, s14
	s_lshl_b64 s[14:15], s[8:9], 2
	s_add_i32 s1, s1, s16
	s_mul_i32 s16, s13, s2
	s_mul_hi_u32 s1, s8, s1
	v_and_b32_e32 v5, 8, v5
	v_mul_lo_u32 v4, v1, s13
	v_mov_b32_e32 v3, 0
	v_or_b32_e32 v6, 4, v5
	s_waitcnt lgkmcnt(0)
	s_add_u32 s6, s6, s14
	s_addc_u32 s7, s7, s15
	s_mul_i32 s15, s1, s0
	s_load_dword s14, s[6:7], 0x0
	s_load_dwordx4 s[4:7], s[4:5], 0x0
	s_sub_i32 s17, s8, s15
	s_add_i32 s18, s1, 1
	s_sub_i32 s19, s17, s0
	s_cmp_ge_u32 s17, s0
	s_mov_b32 s15, s9
	s_cselect_b32 s1, s18, s1
	s_cselect_b32 s17, s19, s17
	s_add_i32 s18, s1, 1
	s_cmp_ge_u32 s17, s0
	s_cselect_b32 s0, s18, s1
	s_waitcnt lgkmcnt(0)
	s_mul_i32 s1, s16, s14
	s_mul_i32 s14, s0, s3
	;; [unrolled: 1-line block ×3, first 2 shown]
	s_mul_hi_i32 s1, s1, 24
	s_add_u32 s0, s4, s0
	s_addc_u32 s1, s5, s1
	s_lshl_b64 s[4:5], s[14:15], 2
	s_add_u32 s4, s6, s4
	s_addc_u32 s5, s7, s5
.LBB259_3:                              ; =>This Inner Loop Header: Depth=1
	v_add_nc_u32_e32 v7, v4, v2
	v_mad_i64_i32 v[11:12], null, v2, 36, s[4:5]
	v_add_nc_u32_e32 v2, 16, v2
	v_mad_i64_i32 v[7:8], null, v7, 24, s[0:1]
	v_add_co_u32 v9, vcc_lo, v7, v5
	v_add_co_ci_u32_e64 v10, null, 0, v8, vcc_lo
	v_add_co_u32 v13, vcc_lo, v11, v5
	s_clause 0x1
	global_load_dwordx2 v[7:8], v[7:8], off
	global_load_dwordx2 v[9:10], v[9:10], off offset:8
	v_add_co_ci_u32_e64 v14, null, 0, v12, vcc_lo
	s_clause 0x2
	global_load_dwordx2 v[15:16], v[13:14], off offset:4
	global_load_dwordx2 v[13:14], v[13:14], off offset:20
	global_load_dword v11, v[11:12], off
	v_mov_b32_e32 v12, 0
	v_cmp_le_u32_e32 vcc_lo, s13, v2
	s_or_b32 s9, vcc_lo, s9
	s_waitcnt vmcnt(4)
	v_ashrrev_i32_e32 v17, v5, v8
	v_ashrrev_i32_e32 v8, v6, v8
	s_waitcnt vmcnt(3)
	v_and_b32_e32 v18, 0xf0f0f0f, v9
	v_lshrrev_b32_e32 v9, 4, v9
	v_and_b32_e32 v26, 0xf0f0f0f, v10
	v_lshlrev_b32_e32 v19, 4, v17
	v_lshlrev_b32_e32 v20, 11, v17
	;; [unrolled: 1-line block ×4, first 2 shown]
	v_lshrrev_b32_e32 v23, 12, v17
	v_lshrrev_b32_e32 v24, 5, v17
	v_lshlrev_b32_e32 v25, 2, v17
	v_and_b32_e32 v19, 16, v19
	v_and_b32_e32 v20, 0x1000, v20
	v_lshlrev_b32_e32 v17, 9, v17
	v_lshlrev_b32_e32 v27, 4, v8
	;; [unrolled: 1-line block ×4, first 2 shown]
	v_and_b32_e32 v21, 0x100000, v21
	v_and_b32_e32 v22, 0x10000000, v22
	v_and_b32_e32 v23, 16, v23
	v_and_b32_e32 v24, 0x1000, v24
	v_and_b32_e32 v25, 0x100000, v25
	v_or3_b32 v18, v19, v18, v20
	v_lshlrev_b32_e32 v30, 25, v8
	v_lshrrev_b32_e32 v31, 12, v8
	v_lshrrev_b32_e32 v32, 5, v8
	v_lshlrev_b32_e32 v33, 2, v8
	v_and_b32_e32 v9, 0xf0f0f0f, v9
	v_and_b32_e32 v17, 0x10000000, v17
	;; [unrolled: 1-line block ×5, first 2 shown]
	v_or3_b32 v23, v24, v23, v25
	v_or3_b32 v18, v18, v21, v22
	v_lshrrev_b32_e32 v10, 4, v10
	v_lshlrev_b32_e32 v8, 9, v8
	v_and_b32_e32 v20, 0x10000000, v30
	v_and_b32_e32 v29, 16, v31
	;; [unrolled: 1-line block ×4, first 2 shown]
	v_or3_b32 v19, v28, v27, v19
	v_or3_b32 v9, v23, v17, v9
	s_waitcnt vmcnt(2)
	v_dot4c_i32_i8 v12, v18, v15
	v_and_b32_e32 v10, 0xf0f0f0f, v10
	v_and_b32_e32 v8, 0x10000000, v8
	v_or3_b32 v15, v21, v29, v22
	v_or3_b32 v17, v19, v20, v26
	s_waitcnt vmcnt(1)
	v_dot4c_i32_i8 v12, v9, v13
	s_waitcnt vmcnt(0)
	v_pk_mul_f16 v7, v7, v11
	v_or3_b32 v8, v15, v8, v10
	v_dot4c_i32_i8 v12, v17, v16
	v_cvt_f32_f16_sdwa v9, v7 dst_sel:DWORD dst_unused:UNUSED_PAD src0_sel:WORD_1
	v_dot4c_i32_i8 v12, v8, v14
	v_mul_f32_e32 v8, 0.5, v9
	v_cvt_f32_i32_e32 v9, v12
	v_fma_mix_f32 v7, v9, v7, v8 op_sel_hi:[0,1,0]
	v_add_f32_e32 v3, v3, v7
	s_andn2_b32 exec_lo, exec_lo, s9
	s_cbranch_execnz .LBB259_3
; %bb.4:
	s_or_b32 exec_lo, exec_lo, s9
.LBB259_5:
	s_or_b32 exec_lo, exec_lo, s12
	v_mbcnt_lo_u32_b32 v2, -1, 0
	v_xor_b32_e32 v4, 16, v2
	v_xor_b32_e32 v5, 8, v2
	v_cmp_gt_i32_e32 vcc_lo, 32, v4
	v_cndmask_b32_e32 v4, v2, v4, vcc_lo
	v_cmp_gt_i32_e32 vcc_lo, 32, v5
	v_lshlrev_b32_e32 v4, 2, v4
	v_cndmask_b32_e32 v5, v2, v5, vcc_lo
	ds_bpermute_b32 v4, v4, v3
	v_lshlrev_b32_e32 v5, 2, v5
	s_waitcnt lgkmcnt(0)
	v_add_f32_e32 v3, v3, v4
	ds_bpermute_b32 v4, v5, v3
	v_xor_b32_e32 v5, 4, v2
	v_cmp_gt_i32_e32 vcc_lo, 32, v5
	v_cndmask_b32_e32 v5, v2, v5, vcc_lo
	v_lshlrev_b32_e32 v5, 2, v5
	s_waitcnt lgkmcnt(0)
	v_add_f32_e32 v3, v3, v4
	ds_bpermute_b32 v4, v5, v3
	v_xor_b32_e32 v5, 2, v2
	v_cmp_gt_i32_e32 vcc_lo, 32, v5
	v_cndmask_b32_e32 v5, v2, v5, vcc_lo
	;; [unrolled: 7-line block ×3, first 2 shown]
	v_cmp_eq_u32_e32 vcc_lo, 0, v0
	s_waitcnt lgkmcnt(0)
	v_add_f32_e32 v2, v3, v4
	v_lshlrev_b32_e32 v3, 2, v5
	ds_bpermute_b32 v3, v3, v2
	s_and_b32 exec_lo, exec_lo, vcc_lo
	s_cbranch_execz .LBB259_7
; %bb.6:
	v_mad_u64_u32 v[0:1], null, s2, s8, v[1:2]
	v_mov_b32_e32 v1, 0
	s_waitcnt lgkmcnt(0)
	v_add_f32_e32 v2, v2, v3
	v_cvt_f16_f32_e32 v2, v2
	v_lshlrev_b64 v[0:1], 1, v[0:1]
	v_add_co_u32 v0, vcc_lo, s10, v0
	v_add_co_ci_u32_e64 v1, null, s11, v1, vcc_lo
	global_store_short v[0:1], v2, off
.LBB259_7:
	s_endpgm
	.section	.rodata,"a",@progbits
	.p2align	6, 0x0
	.amdhsa_kernel _ZL9moe_vec_qIN3c104HalfELi32ELi4E10block_q5_1Li2EXadL_ZL17vec_dot_q5_1_q8_1PKvPK10block_q8_1RKiEEEvS4_S4_PT_PS8_iiii
		.amdhsa_group_segment_fixed_size 0
		.amdhsa_private_segment_fixed_size 0
		.amdhsa_kernarg_size 304
		.amdhsa_user_sgpr_count 6
		.amdhsa_user_sgpr_private_segment_buffer 1
		.amdhsa_user_sgpr_dispatch_ptr 0
		.amdhsa_user_sgpr_queue_ptr 0
		.amdhsa_user_sgpr_kernarg_segment_ptr 1
		.amdhsa_user_sgpr_dispatch_id 0
		.amdhsa_user_sgpr_flat_scratch_init 0
		.amdhsa_user_sgpr_private_segment_size 0
		.amdhsa_wavefront_size32 1
		.amdhsa_uses_dynamic_stack 0
		.amdhsa_system_sgpr_private_segment_wavefront_offset 0
		.amdhsa_system_sgpr_workgroup_id_x 1
		.amdhsa_system_sgpr_workgroup_id_y 0
		.amdhsa_system_sgpr_workgroup_id_z 1
		.amdhsa_system_sgpr_workgroup_info 0
		.amdhsa_system_vgpr_workitem_id 1
		.amdhsa_next_free_vgpr 34
		.amdhsa_next_free_sgpr 20
		.amdhsa_reserve_vcc 1
		.amdhsa_reserve_flat_scratch 0
		.amdhsa_float_round_mode_32 0
		.amdhsa_float_round_mode_16_64 0
		.amdhsa_float_denorm_mode_32 3
		.amdhsa_float_denorm_mode_16_64 3
		.amdhsa_dx10_clamp 1
		.amdhsa_ieee_mode 1
		.amdhsa_fp16_overflow 0
		.amdhsa_workgroup_processor_mode 1
		.amdhsa_memory_ordered 1
		.amdhsa_forward_progress 1
		.amdhsa_shared_vgpr_count 0
		.amdhsa_exception_fp_ieee_invalid_op 0
		.amdhsa_exception_fp_denorm_src 0
		.amdhsa_exception_fp_ieee_div_zero 0
		.amdhsa_exception_fp_ieee_overflow 0
		.amdhsa_exception_fp_ieee_underflow 0
		.amdhsa_exception_fp_ieee_inexact 0
		.amdhsa_exception_int_div_zero 0
	.end_amdhsa_kernel
	.section	.text._ZL9moe_vec_qIN3c104HalfELi32ELi4E10block_q5_1Li2EXadL_ZL17vec_dot_q5_1_q8_1PKvPK10block_q8_1RKiEEEvS4_S4_PT_PS8_iiii,"axG",@progbits,_ZL9moe_vec_qIN3c104HalfELi32ELi4E10block_q5_1Li2EXadL_ZL17vec_dot_q5_1_q8_1PKvPK10block_q8_1RKiEEEvS4_S4_PT_PS8_iiii,comdat
.Lfunc_end259:
	.size	_ZL9moe_vec_qIN3c104HalfELi32ELi4E10block_q5_1Li2EXadL_ZL17vec_dot_q5_1_q8_1PKvPK10block_q8_1RKiEEEvS4_S4_PT_PS8_iiii, .Lfunc_end259-_ZL9moe_vec_qIN3c104HalfELi32ELi4E10block_q5_1Li2EXadL_ZL17vec_dot_q5_1_q8_1PKvPK10block_q8_1RKiEEEvS4_S4_PT_PS8_iiii
                                        ; -- End function
	.set _ZL9moe_vec_qIN3c104HalfELi32ELi4E10block_q5_1Li2EXadL_ZL17vec_dot_q5_1_q8_1PKvPK10block_q8_1RKiEEEvS4_S4_PT_PS8_iiii.num_vgpr, 34
	.set _ZL9moe_vec_qIN3c104HalfELi32ELi4E10block_q5_1Li2EXadL_ZL17vec_dot_q5_1_q8_1PKvPK10block_q8_1RKiEEEvS4_S4_PT_PS8_iiii.num_agpr, 0
	.set _ZL9moe_vec_qIN3c104HalfELi32ELi4E10block_q5_1Li2EXadL_ZL17vec_dot_q5_1_q8_1PKvPK10block_q8_1RKiEEEvS4_S4_PT_PS8_iiii.numbered_sgpr, 20
	.set _ZL9moe_vec_qIN3c104HalfELi32ELi4E10block_q5_1Li2EXadL_ZL17vec_dot_q5_1_q8_1PKvPK10block_q8_1RKiEEEvS4_S4_PT_PS8_iiii.num_named_barrier, 0
	.set _ZL9moe_vec_qIN3c104HalfELi32ELi4E10block_q5_1Li2EXadL_ZL17vec_dot_q5_1_q8_1PKvPK10block_q8_1RKiEEEvS4_S4_PT_PS8_iiii.private_seg_size, 0
	.set _ZL9moe_vec_qIN3c104HalfELi32ELi4E10block_q5_1Li2EXadL_ZL17vec_dot_q5_1_q8_1PKvPK10block_q8_1RKiEEEvS4_S4_PT_PS8_iiii.uses_vcc, 1
	.set _ZL9moe_vec_qIN3c104HalfELi32ELi4E10block_q5_1Li2EXadL_ZL17vec_dot_q5_1_q8_1PKvPK10block_q8_1RKiEEEvS4_S4_PT_PS8_iiii.uses_flat_scratch, 0
	.set _ZL9moe_vec_qIN3c104HalfELi32ELi4E10block_q5_1Li2EXadL_ZL17vec_dot_q5_1_q8_1PKvPK10block_q8_1RKiEEEvS4_S4_PT_PS8_iiii.has_dyn_sized_stack, 0
	.set _ZL9moe_vec_qIN3c104HalfELi32ELi4E10block_q5_1Li2EXadL_ZL17vec_dot_q5_1_q8_1PKvPK10block_q8_1RKiEEEvS4_S4_PT_PS8_iiii.has_recursion, 0
	.set _ZL9moe_vec_qIN3c104HalfELi32ELi4E10block_q5_1Li2EXadL_ZL17vec_dot_q5_1_q8_1PKvPK10block_q8_1RKiEEEvS4_S4_PT_PS8_iiii.has_indirect_call, 0
	.section	.AMDGPU.csdata,"",@progbits
; Kernel info:
; codeLenInByte = 1028
; TotalNumSgprs: 22
; NumVgprs: 34
; ScratchSize: 0
; MemoryBound: 0
; FloatMode: 240
; IeeeMode: 1
; LDSByteSize: 0 bytes/workgroup (compile time only)
; SGPRBlocks: 0
; VGPRBlocks: 4
; NumSGPRsForWavesPerEU: 22
; NumVGPRsForWavesPerEU: 34
; Occupancy: 16
; WaveLimiterHint : 1
; COMPUTE_PGM_RSRC2:SCRATCH_EN: 0
; COMPUTE_PGM_RSRC2:USER_SGPR: 6
; COMPUTE_PGM_RSRC2:TRAP_HANDLER: 0
; COMPUTE_PGM_RSRC2:TGID_X_EN: 1
; COMPUTE_PGM_RSRC2:TGID_Y_EN: 0
; COMPUTE_PGM_RSRC2:TGID_Z_EN: 1
; COMPUTE_PGM_RSRC2:TIDIG_COMP_CNT: 1
	.section	.text._ZL9moe_vec_qIN3c104HalfELi32ELi8E10block_q8_0Li2EXadL_ZL17vec_dot_q8_0_q8_1PKvPK10block_q8_1RKiEEEvS4_S4_PT_PS8_iiii,"axG",@progbits,_ZL9moe_vec_qIN3c104HalfELi32ELi8E10block_q8_0Li2EXadL_ZL17vec_dot_q8_0_q8_1PKvPK10block_q8_1RKiEEEvS4_S4_PT_PS8_iiii,comdat
	.globl	_ZL9moe_vec_qIN3c104HalfELi32ELi8E10block_q8_0Li2EXadL_ZL17vec_dot_q8_0_q8_1PKvPK10block_q8_1RKiEEEvS4_S4_PT_PS8_iiii ; -- Begin function _ZL9moe_vec_qIN3c104HalfELi32ELi8E10block_q8_0Li2EXadL_ZL17vec_dot_q8_0_q8_1PKvPK10block_q8_1RKiEEEvS4_S4_PT_PS8_iiii
	.p2align	8
	.type	_ZL9moe_vec_qIN3c104HalfELi32ELi8E10block_q8_0Li2EXadL_ZL17vec_dot_q8_0_q8_1PKvPK10block_q8_1RKiEEEvS4_S4_PT_PS8_iiii,@function
_ZL9moe_vec_qIN3c104HalfELi32ELi8E10block_q8_0Li2EXadL_ZL17vec_dot_q8_0_q8_1PKvPK10block_q8_1RKiEEEvS4_S4_PT_PS8_iiii: ; @_ZL9moe_vec_qIN3c104HalfELi32ELi8E10block_q8_0Li2EXadL_ZL17vec_dot_q8_0_q8_1PKvPK10block_q8_1RKiEEEvS4_S4_PT_PS8_iiii
; %bb.0:
	s_mov_b32 s8, s7
	s_clause 0x1
	s_load_dword s7, s[4:5], 0x3c
	s_load_dwordx4 s[0:3], s[4:5], 0x20
	s_waitcnt lgkmcnt(0)
	s_lshr_b32 s7, s7, 16
	v_mad_u64_u32 v[1:2], null, s6, s7, v[1:2]
	s_mov_b32 s6, exec_lo
	v_cmpx_gt_u32_e64 s2, v1
	s_cbranch_execz .LBB260_7
; %bb.1:
	v_cvt_f32_u32_e32 v2, s0
	s_load_dwordx2 s[10:11], s[4:5], 0x10
	s_ashr_i32 s6, s1, 31
	s_mov_b32 s12, exec_lo
	s_lshr_b32 s6, s6, 27
	v_rcp_iflag_f32_e32 v2, v2
	s_add_i32 s1, s1, s6
	s_ashr_i32 s13, s1, 5
	v_mul_f32_e32 v3, 0x4f7ffffe, v2
	v_lshrrev_b32_e32 v2, 2, v0
	v_cvt_u32_f32_e32 v3, v3
	v_readfirstlane_b32 s1, v3
	v_mov_b32_e32 v3, 0
	v_cmpx_gt_u32_e64 s13, v2
	s_cbranch_execz .LBB260_5
; %bb.2:
	s_load_dwordx2 s[6:7], s[4:5], 0x18
	s_sub_i32 s9, 0, s0
	v_lshlrev_b32_e32 v3, 3, v0
	s_mul_i32 s14, s9, s1
	s_mov_b32 s9, 0
	s_mul_hi_u32 s16, s1, s14
	s_lshl_b64 s[14:15], s[8:9], 2
	s_add_i32 s1, s1, s16
	s_mul_i32 s16, s13, s2
	s_mul_hi_u32 s1, s8, s1
	v_mul_lo_u32 v4, v1, s13
	v_and_b32_e32 v5, 24, v3
	v_mov_b32_e32 v3, 0
	s_waitcnt lgkmcnt(0)
	s_add_u32 s6, s6, s14
	s_addc_u32 s7, s7, s15
	s_mul_i32 s15, s1, s0
	s_load_dword s14, s[6:7], 0x0
	s_load_dwordx4 s[4:7], s[4:5], 0x0
	s_sub_i32 s17, s8, s15
	s_add_i32 s18, s1, 1
	s_sub_i32 s19, s17, s0
	s_cmp_ge_u32 s17, s0
	s_mov_b32 s15, s9
	s_cselect_b32 s1, s18, s1
	s_cselect_b32 s17, s19, s17
	s_add_i32 s18, s1, 1
	s_cmp_ge_u32 s17, s0
	s_cselect_b32 s0, s18, s1
	s_waitcnt lgkmcnt(0)
	s_mul_i32 s1, s16, s14
	s_mul_i32 s14, s0, s3
	;; [unrolled: 1-line block ×3, first 2 shown]
	s_mul_hi_i32 s1, s1, 34
	s_add_u32 s0, s4, s0
	s_addc_u32 s1, s5, s1
	s_lshl_b64 s[4:5], s[14:15], 2
	s_add_u32 s4, s6, s4
	s_addc_u32 s5, s7, s5
	s_inst_prefetch 0x1
	.p2align	6
.LBB260_3:                              ; =>This Inner Loop Header: Depth=1
	v_add_nc_u32_e32 v8, v4, v2
	v_mad_i64_i32 v[6:7], null, v2, 36, s[4:5]
	v_add_nc_u32_e32 v2, 8, v2
	v_mad_i64_i32 v[8:9], null, v8, 34, s[0:1]
	v_add_co_u32 v10, vcc_lo, v6, v5
	v_add_co_ci_u32_e64 v11, null, 0, v7, vcc_lo
	v_add_co_u32 v12, vcc_lo, v8, v5
	v_add_co_ci_u32_e64 v13, null, 0, v9, vcc_lo
	v_cmp_le_u32_e32 vcc_lo, s13, v2
	global_load_dwordx2 v[10:11], v[10:11], off offset:4
	global_load_dwordx2 v[12:13], v[12:13], off offset:2
	global_load_dword v6, v[6:7], off
	global_load_ushort v7, v[8:9], off
	v_mov_b32_e32 v8, 0
	s_or_b32 s9, vcc_lo, s9
	s_waitcnt vmcnt(2)
	v_dot4c_i32_i8 v8, v12, v10
	s_waitcnt vmcnt(1)
	v_cvt_f32_f16_e32 v6, v6
	s_waitcnt vmcnt(0)
	v_cvt_f32_f16_e32 v7, v7
	v_dot4c_i32_i8 v8, v13, v11
	v_mul_f32_e32 v6, v7, v6
	v_cvt_f32_i32_e32 v7, v8
	v_fmac_f32_e32 v3, v6, v7
	s_andn2_b32 exec_lo, exec_lo, s9
	s_cbranch_execnz .LBB260_3
; %bb.4:
	s_inst_prefetch 0x2
	s_or_b32 exec_lo, exec_lo, s9
.LBB260_5:
	s_or_b32 exec_lo, exec_lo, s12
	v_mbcnt_lo_u32_b32 v2, -1, 0
	v_xor_b32_e32 v4, 16, v2
	v_xor_b32_e32 v5, 8, v2
	v_cmp_gt_i32_e32 vcc_lo, 32, v4
	v_cndmask_b32_e32 v4, v2, v4, vcc_lo
	v_cmp_gt_i32_e32 vcc_lo, 32, v5
	v_lshlrev_b32_e32 v4, 2, v4
	v_cndmask_b32_e32 v5, v2, v5, vcc_lo
	ds_bpermute_b32 v4, v4, v3
	v_lshlrev_b32_e32 v5, 2, v5
	s_waitcnt lgkmcnt(0)
	v_add_f32_e32 v3, v3, v4
	ds_bpermute_b32 v4, v5, v3
	v_xor_b32_e32 v5, 4, v2
	v_cmp_gt_i32_e32 vcc_lo, 32, v5
	v_cndmask_b32_e32 v5, v2, v5, vcc_lo
	v_lshlrev_b32_e32 v5, 2, v5
	s_waitcnt lgkmcnt(0)
	v_add_f32_e32 v3, v3, v4
	ds_bpermute_b32 v4, v5, v3
	v_xor_b32_e32 v5, 2, v2
	v_cmp_gt_i32_e32 vcc_lo, 32, v5
	v_cndmask_b32_e32 v5, v2, v5, vcc_lo
	;; [unrolled: 7-line block ×3, first 2 shown]
	v_cmp_eq_u32_e32 vcc_lo, 0, v0
	s_waitcnt lgkmcnt(0)
	v_add_f32_e32 v2, v3, v4
	v_lshlrev_b32_e32 v3, 2, v5
	ds_bpermute_b32 v3, v3, v2
	s_and_b32 exec_lo, exec_lo, vcc_lo
	s_cbranch_execz .LBB260_7
; %bb.6:
	v_mad_u64_u32 v[0:1], null, s2, s8, v[1:2]
	v_mov_b32_e32 v1, 0
	s_waitcnt lgkmcnt(0)
	v_add_f32_e32 v2, v2, v3
	v_cvt_f16_f32_e32 v2, v2
	v_lshlrev_b64 v[0:1], 1, v[0:1]
	v_add_co_u32 v0, vcc_lo, s10, v0
	v_add_co_ci_u32_e64 v1, null, s11, v1, vcc_lo
	global_store_short v[0:1], v2, off
.LBB260_7:
	s_endpgm
	.section	.rodata,"a",@progbits
	.p2align	6, 0x0
	.amdhsa_kernel _ZL9moe_vec_qIN3c104HalfELi32ELi8E10block_q8_0Li2EXadL_ZL17vec_dot_q8_0_q8_1PKvPK10block_q8_1RKiEEEvS4_S4_PT_PS8_iiii
		.amdhsa_group_segment_fixed_size 0
		.amdhsa_private_segment_fixed_size 0
		.amdhsa_kernarg_size 304
		.amdhsa_user_sgpr_count 6
		.amdhsa_user_sgpr_private_segment_buffer 1
		.amdhsa_user_sgpr_dispatch_ptr 0
		.amdhsa_user_sgpr_queue_ptr 0
		.amdhsa_user_sgpr_kernarg_segment_ptr 1
		.amdhsa_user_sgpr_dispatch_id 0
		.amdhsa_user_sgpr_flat_scratch_init 0
		.amdhsa_user_sgpr_private_segment_size 0
		.amdhsa_wavefront_size32 1
		.amdhsa_uses_dynamic_stack 0
		.amdhsa_system_sgpr_private_segment_wavefront_offset 0
		.amdhsa_system_sgpr_workgroup_id_x 1
		.amdhsa_system_sgpr_workgroup_id_y 0
		.amdhsa_system_sgpr_workgroup_id_z 1
		.amdhsa_system_sgpr_workgroup_info 0
		.amdhsa_system_vgpr_workitem_id 1
		.amdhsa_next_free_vgpr 14
		.amdhsa_next_free_sgpr 20
		.amdhsa_reserve_vcc 1
		.amdhsa_reserve_flat_scratch 0
		.amdhsa_float_round_mode_32 0
		.amdhsa_float_round_mode_16_64 0
		.amdhsa_float_denorm_mode_32 3
		.amdhsa_float_denorm_mode_16_64 3
		.amdhsa_dx10_clamp 1
		.amdhsa_ieee_mode 1
		.amdhsa_fp16_overflow 0
		.amdhsa_workgroup_processor_mode 1
		.amdhsa_memory_ordered 1
		.amdhsa_forward_progress 1
		.amdhsa_shared_vgpr_count 0
		.amdhsa_exception_fp_ieee_invalid_op 0
		.amdhsa_exception_fp_denorm_src 0
		.amdhsa_exception_fp_ieee_div_zero 0
		.amdhsa_exception_fp_ieee_overflow 0
		.amdhsa_exception_fp_ieee_underflow 0
		.amdhsa_exception_fp_ieee_inexact 0
		.amdhsa_exception_int_div_zero 0
	.end_amdhsa_kernel
	.section	.text._ZL9moe_vec_qIN3c104HalfELi32ELi8E10block_q8_0Li2EXadL_ZL17vec_dot_q8_0_q8_1PKvPK10block_q8_1RKiEEEvS4_S4_PT_PS8_iiii,"axG",@progbits,_ZL9moe_vec_qIN3c104HalfELi32ELi8E10block_q8_0Li2EXadL_ZL17vec_dot_q8_0_q8_1PKvPK10block_q8_1RKiEEEvS4_S4_PT_PS8_iiii,comdat
.Lfunc_end260:
	.size	_ZL9moe_vec_qIN3c104HalfELi32ELi8E10block_q8_0Li2EXadL_ZL17vec_dot_q8_0_q8_1PKvPK10block_q8_1RKiEEEvS4_S4_PT_PS8_iiii, .Lfunc_end260-_ZL9moe_vec_qIN3c104HalfELi32ELi8E10block_q8_0Li2EXadL_ZL17vec_dot_q8_0_q8_1PKvPK10block_q8_1RKiEEEvS4_S4_PT_PS8_iiii
                                        ; -- End function
	.set _ZL9moe_vec_qIN3c104HalfELi32ELi8E10block_q8_0Li2EXadL_ZL17vec_dot_q8_0_q8_1PKvPK10block_q8_1RKiEEEvS4_S4_PT_PS8_iiii.num_vgpr, 14
	.set _ZL9moe_vec_qIN3c104HalfELi32ELi8E10block_q8_0Li2EXadL_ZL17vec_dot_q8_0_q8_1PKvPK10block_q8_1RKiEEEvS4_S4_PT_PS8_iiii.num_agpr, 0
	.set _ZL9moe_vec_qIN3c104HalfELi32ELi8E10block_q8_0Li2EXadL_ZL17vec_dot_q8_0_q8_1PKvPK10block_q8_1RKiEEEvS4_S4_PT_PS8_iiii.numbered_sgpr, 20
	.set _ZL9moe_vec_qIN3c104HalfELi32ELi8E10block_q8_0Li2EXadL_ZL17vec_dot_q8_0_q8_1PKvPK10block_q8_1RKiEEEvS4_S4_PT_PS8_iiii.num_named_barrier, 0
	.set _ZL9moe_vec_qIN3c104HalfELi32ELi8E10block_q8_0Li2EXadL_ZL17vec_dot_q8_0_q8_1PKvPK10block_q8_1RKiEEEvS4_S4_PT_PS8_iiii.private_seg_size, 0
	.set _ZL9moe_vec_qIN3c104HalfELi32ELi8E10block_q8_0Li2EXadL_ZL17vec_dot_q8_0_q8_1PKvPK10block_q8_1RKiEEEvS4_S4_PT_PS8_iiii.uses_vcc, 1
	.set _ZL9moe_vec_qIN3c104HalfELi32ELi8E10block_q8_0Li2EXadL_ZL17vec_dot_q8_0_q8_1PKvPK10block_q8_1RKiEEEvS4_S4_PT_PS8_iiii.uses_flat_scratch, 0
	.set _ZL9moe_vec_qIN3c104HalfELi32ELi8E10block_q8_0Li2EXadL_ZL17vec_dot_q8_0_q8_1PKvPK10block_q8_1RKiEEEvS4_S4_PT_PS8_iiii.has_dyn_sized_stack, 0
	.set _ZL9moe_vec_qIN3c104HalfELi32ELi8E10block_q8_0Li2EXadL_ZL17vec_dot_q8_0_q8_1PKvPK10block_q8_1RKiEEEvS4_S4_PT_PS8_iiii.has_recursion, 0
	.set _ZL9moe_vec_qIN3c104HalfELi32ELi8E10block_q8_0Li2EXadL_ZL17vec_dot_q8_0_q8_1PKvPK10block_q8_1RKiEEEvS4_S4_PT_PS8_iiii.has_indirect_call, 0
	.section	.AMDGPU.csdata,"",@progbits
; Kernel info:
; codeLenInByte = 712
; TotalNumSgprs: 22
; NumVgprs: 14
; ScratchSize: 0
; MemoryBound: 0
; FloatMode: 240
; IeeeMode: 1
; LDSByteSize: 0 bytes/workgroup (compile time only)
; SGPRBlocks: 0
; VGPRBlocks: 1
; NumSGPRsForWavesPerEU: 22
; NumVGPRsForWavesPerEU: 14
; Occupancy: 16
; WaveLimiterHint : 1
; COMPUTE_PGM_RSRC2:SCRATCH_EN: 0
; COMPUTE_PGM_RSRC2:USER_SGPR: 6
; COMPUTE_PGM_RSRC2:TRAP_HANDLER: 0
; COMPUTE_PGM_RSRC2:TGID_X_EN: 1
; COMPUTE_PGM_RSRC2:TGID_Y_EN: 0
; COMPUTE_PGM_RSRC2:TGID_Z_EN: 1
; COMPUTE_PGM_RSRC2:TIDIG_COMP_CNT: 1
	.section	.text._ZL9moe_vec_qIN3c104HalfELi256ELi16E10block_q2_KLi1EXadL_ZL17vec_dot_q2_K_q8_1PKvPK10block_q8_1RKiEEEvS4_S4_PT_PS8_iiii,"axG",@progbits,_ZL9moe_vec_qIN3c104HalfELi256ELi16E10block_q2_KLi1EXadL_ZL17vec_dot_q2_K_q8_1PKvPK10block_q8_1RKiEEEvS4_S4_PT_PS8_iiii,comdat
	.globl	_ZL9moe_vec_qIN3c104HalfELi256ELi16E10block_q2_KLi1EXadL_ZL17vec_dot_q2_K_q8_1PKvPK10block_q8_1RKiEEEvS4_S4_PT_PS8_iiii ; -- Begin function _ZL9moe_vec_qIN3c104HalfELi256ELi16E10block_q2_KLi1EXadL_ZL17vec_dot_q2_K_q8_1PKvPK10block_q8_1RKiEEEvS4_S4_PT_PS8_iiii
	.p2align	8
	.type	_ZL9moe_vec_qIN3c104HalfELi256ELi16E10block_q2_KLi1EXadL_ZL17vec_dot_q2_K_q8_1PKvPK10block_q8_1RKiEEEvS4_S4_PT_PS8_iiii,@function
_ZL9moe_vec_qIN3c104HalfELi256ELi16E10block_q2_KLi1EXadL_ZL17vec_dot_q2_K_q8_1PKvPK10block_q8_1RKiEEEvS4_S4_PT_PS8_iiii: ; @_ZL9moe_vec_qIN3c104HalfELi256ELi16E10block_q2_KLi1EXadL_ZL17vec_dot_q2_K_q8_1PKvPK10block_q8_1RKiEEEvS4_S4_PT_PS8_iiii
; %bb.0:
	s_mov_b32 s8, s7
	s_clause 0x1
	s_load_dword s7, s[4:5], 0x3c
	s_load_dwordx4 s[0:3], s[4:5], 0x20
	s_waitcnt lgkmcnt(0)
	s_lshr_b32 s7, s7, 16
	v_mad_u64_u32 v[1:2], null, s6, s7, v[1:2]
	s_mov_b32 s6, exec_lo
	v_cmpx_gt_u32_e64 s2, v1
	s_cbranch_execz .LBB261_7
; %bb.1:
	s_load_dwordx2 s[10:11], s[4:5], 0x10
	s_ashr_i32 s6, s1, 31
	v_lshrrev_b32_e32 v8, 4, v0
	s_lshr_b32 s6, s6, 24
	v_mov_b32_e32 v3, 0
	s_add_i32 s1, s1, s6
	s_ashr_i32 s12, s1, 8
	s_mov_b32 s1, exec_lo
	v_cmpx_gt_u32_e64 s12, v8
	s_cbranch_execz .LBB261_5
; %bb.2:
	s_load_dwordx2 s[6:7], s[4:5], 0x18
	s_mov_b32 s9, 0
	v_cvt_f32_u32_e32 v2, s0
	s_lshl_b64 s[14:15], s[8:9], 2
	v_and_b32_e32 v4, 15, v0
	v_lshrrev_b32_e32 v5, 1, v0
	v_mov_b32_e32 v3, 0
	v_rcp_iflag_f32_e32 v2, v2
	v_mul_lo_u32 v9, v1, s12
	v_lshlrev_b32_e32 v11, 2, v4
	v_and_b32_e32 v5, 4, v5
	v_lshlrev_b32_e32 v12, 3, v8
	v_mul_f32_e32 v2, 0x4f7ffffe, v2
	s_waitcnt lgkmcnt(0)
	s_add_u32 s6, s6, s14
	s_addc_u32 s7, s7, s15
	v_cvt_u32_f32_e32 v2, v2
	s_load_dword s13, s[6:7], 0x0
	s_load_dwordx4 s[4:7], s[4:5], 0x0
	s_mul_i32 s14, s12, s2
	s_waitcnt lgkmcnt(0)
	s_mul_i32 s13, s14, s13
	v_readfirstlane_b32 s14, v2
	s_mul_i32 s15, s13, 0x54
	s_mul_hi_i32 s13, s13, 0x54
	s_add_u32 s4, s4, s15
	s_addc_u32 s5, s5, s13
	s_sub_i32 s13, 0, s0
	v_sub_co_u32 v2, vcc_lo, v4, 8
	s_mul_i32 s13, s13, s14
	s_mul_hi_u32 s13, s14, s13
	v_cndmask_b32_e32 v2, v2, v4, vcc_lo
	s_add_i32 s14, s14, s13
	s_mul_hi_u32 s13, s8, s14
	s_mul_i32 s14, s13, s0
	s_add_i32 s15, s13, 1
	s_sub_i32 s14, s8, s14
	v_sub_nc_u32_e32 v6, v4, v2
	s_sub_i32 s16, s14, s0
	s_cmp_ge_u32 s14, s0
	v_cmp_lt_u32_e32 vcc_lo, 3, v2
	s_cselect_b32 s13, s15, s13
	s_cselect_b32 s14, s16, s14
	s_add_i32 s16, s13, 1
	s_cmp_ge_u32 s14, s0
	s_mov_b32 s15, s9
	s_cselect_b32 s0, s16, s13
	v_add_co_ci_u32_e64 v10, null, 0, v6, vcc_lo
	s_mul_i32 s14, s0, s3
	v_lshlrev_b64 v[6:7], 2, v[2:3]
	s_lshl_b64 s[14:15], s[14:15], 2
	v_ashrrev_i32_e32 v2, 31, v10
	s_add_u32 s6, s6, s14
	s_addc_u32 s7, s7, s15
	v_mad_u64_u32 v[4:5], null, v5, 36, s[6:7]
.LBB261_3:                              ; =>This Inner Loop Header: Depth=1
	v_add_nc_u32_e32 v15, v9, v8
	v_mad_i64_i32 v[13:14], null, v12, 36, v[4:5]
	v_mov_b32_e32 v29, 0
	v_mov_b32_e32 v30, 0
	v_mad_i64_i32 v[15:16], null, 0x54, v15, s[4:5]
	v_mov_b32_e32 v31, 0
	v_mov_b32_e32 v33, 0
	v_add_co_u32 v17, vcc_lo, v13, v6
	v_add_co_ci_u32_e64 v18, null, v14, v7, vcc_lo
	v_add_co_u32 v19, vcc_lo, v15, v11
	v_add_co_ci_u32_e64 v20, null, 0, v16, vcc_lo
	;; [unrolled: 2-line block ×3, first 2 shown]
	s_clause 0x3
	global_load_dword v23, v[13:14], off
	global_load_dword v24, v[17:18], off offset:4
	global_load_dword v25, v[17:18], off offset:40
	;; [unrolled: 1-line block ×3, first 2 shown]
	s_clause 0x4
	global_load_dword v19, v[19:20], off offset:16
	global_load_ubyte v20, v[21:22], off
	global_load_ubyte v27, v[21:22], off offset:2
	global_load_ubyte v28, v[21:22], off offset:4
	global_load_ubyte v21, v[21:22], off offset:6
	s_clause 0x3
	global_load_dword v17, v[17:18], off offset:112
	global_load_dword v18, v[13:14], off offset:36
	;; [unrolled: 1-line block ×5, first 2 shown]
	v_mov_b32_e32 v15, 0
	v_mov_b32_e32 v16, 0
	;; [unrolled: 1-line block ×4, first 2 shown]
	v_add_nc_u32_e32 v8, 2, v8
	v_add_nc_u32_e32 v12, 16, v12
	v_cmp_le_u32_e32 vcc_lo, s12, v8
	s_or_b32 s9, vcc_lo, s9
	s_waitcnt vmcnt(9)
	v_and_b32_e32 v35, 0x3030303, v19
	s_waitcnt vmcnt(8)
	v_and_b32_e32 v36, 15, v20
	v_lshrrev_b32_e32 v20, 4, v20
	v_lshrrev_b32_e32 v37, 2, v19
	s_waitcnt vmcnt(7)
	v_and_b32_e32 v38, 15, v27
	v_lshrrev_b32_e32 v27, 4, v27
	s_waitcnt vmcnt(5)
	v_and_b32_e32 v41, 15, v21
	v_mul_lo_u32 v20, 0x1010101, v20
	v_lshrrev_b32_e32 v21, 4, v21
	v_lshrrev_b32_e32 v39, 4, v19
	v_and_b32_e32 v40, 15, v28
	v_lshrrev_b32_e32 v28, 4, v28
	v_lshrrev_b32_e32 v19, 6, v19
	v_dot4c_i32_i8 v15, v35, v24
	v_and_b32_e32 v35, 0x3030303, v37
	v_mul_lo_u32 v27, 0x1010101, v27
	v_mul_lo_u32 v21, 0x1010101, v21
	v_dot4c_i32_i8 v16, v20, v24
	v_and_b32_e32 v37, 0x3030303, v39
	v_mul_lo_u32 v28, 0x1010101, v28
	v_and_b32_e32 v19, 0x3030303, v19
	v_mul_lo_u32 v15, v36, v15
	v_dot4c_i32_i8 v29, v35, v25
	v_dot4c_i32_i8 v30, v27, v25
	v_cvt_f32_i32_e32 v16, v16
	v_dot4c_i32_i8 v31, v37, v26
	s_waitcnt vmcnt(4)
	v_dot4c_i32_i8 v33, v19, v17
	v_dot4c_i32_i8 v34, v21, v17
	v_mul_lo_u32 v17, v38, v29
	v_dot4c_i32_i8 v32, v28, v26
	v_cvt_f32_i32_e32 v15, v15
	v_cvt_f32_i32_e32 v20, v30
	v_fma_mix_f32 v16, v23, v16, 0 op_sel_hi:[1,0,0]
	v_mul_lo_u32 v19, v40, v31
	v_cvt_f32_i32_e32 v21, v32
	v_fma_mix_f32 v15, v23, v15, 0 op_sel_hi:[1,0,0]
	v_cvt_f32_i32_e32 v17, v17
	s_waitcnt vmcnt(3)
	v_fma_mix_f32 v16, v18, v20, v16 op_sel_hi:[1,0,0]
	v_mul_lo_u32 v20, v41, v33
	v_cvt_f32_i32_e32 v23, v34
	v_cvt_f32_i32_e32 v19, v19
	v_fma_mix_f32 v15, v18, v17, v15 op_sel_hi:[1,0,0]
	s_waitcnt vmcnt(2)
	v_fma_mix_f32 v16, v22, v21, v16 op_sel_hi:[1,0,0]
	s_waitcnt vmcnt(0)
	v_cvt_f32_f16_sdwa v17, v14 dst_sel:DWORD dst_unused:UNUSED_PAD src0_sel:WORD_1
	v_cvt_f32_i32_e32 v18, v20
	v_fma_mix_f32 v15, v22, v19, v15 op_sel_hi:[1,0,0]
	v_fma_mix_f32 v16, v13, v23, v16 op_sel_hi:[1,0,0]
	;; [unrolled: 1-line block ×3, first 2 shown]
	v_mul_f32_e32 v15, v16, v17
	v_fma_mix_f32 v13, v13, v14, -v15 op_sel_hi:[0,1,0]
	v_add_f32_e32 v3, v3, v13
	s_andn2_b32 exec_lo, exec_lo, s9
	s_cbranch_execnz .LBB261_3
; %bb.4:
	s_or_b32 exec_lo, exec_lo, s9
.LBB261_5:
	s_or_b32 exec_lo, exec_lo, s1
	v_mbcnt_lo_u32_b32 v2, -1, 0
	v_xor_b32_e32 v4, 16, v2
	v_xor_b32_e32 v5, 8, v2
	v_cmp_gt_i32_e32 vcc_lo, 32, v4
	v_cndmask_b32_e32 v4, v2, v4, vcc_lo
	v_cmp_gt_i32_e32 vcc_lo, 32, v5
	v_lshlrev_b32_e32 v4, 2, v4
	v_cndmask_b32_e32 v5, v2, v5, vcc_lo
	ds_bpermute_b32 v4, v4, v3
	v_lshlrev_b32_e32 v5, 2, v5
	s_waitcnt lgkmcnt(0)
	v_add_f32_e32 v3, v3, v4
	ds_bpermute_b32 v4, v5, v3
	v_xor_b32_e32 v5, 4, v2
	v_cmp_gt_i32_e32 vcc_lo, 32, v5
	v_cndmask_b32_e32 v5, v2, v5, vcc_lo
	v_lshlrev_b32_e32 v5, 2, v5
	s_waitcnt lgkmcnt(0)
	v_add_f32_e32 v3, v3, v4
	ds_bpermute_b32 v4, v5, v3
	v_xor_b32_e32 v5, 2, v2
	v_cmp_gt_i32_e32 vcc_lo, 32, v5
	v_cndmask_b32_e32 v5, v2, v5, vcc_lo
	;; [unrolled: 7-line block ×3, first 2 shown]
	v_cmp_eq_u32_e32 vcc_lo, 0, v0
	s_waitcnt lgkmcnt(0)
	v_add_f32_e32 v2, v3, v4
	v_lshlrev_b32_e32 v3, 2, v5
	ds_bpermute_b32 v3, v3, v2
	s_and_b32 exec_lo, exec_lo, vcc_lo
	s_cbranch_execz .LBB261_7
; %bb.6:
	v_mad_u64_u32 v[0:1], null, s2, s8, v[1:2]
	v_mov_b32_e32 v1, 0
	s_waitcnt lgkmcnt(0)
	v_add_f32_e32 v2, v2, v3
	v_cvt_f16_f32_e32 v2, v2
	v_lshlrev_b64 v[0:1], 1, v[0:1]
	v_add_co_u32 v0, vcc_lo, s10, v0
	v_add_co_ci_u32_e64 v1, null, s11, v1, vcc_lo
	global_store_short v[0:1], v2, off
.LBB261_7:
	s_endpgm
	.section	.rodata,"a",@progbits
	.p2align	6, 0x0
	.amdhsa_kernel _ZL9moe_vec_qIN3c104HalfELi256ELi16E10block_q2_KLi1EXadL_ZL17vec_dot_q2_K_q8_1PKvPK10block_q8_1RKiEEEvS4_S4_PT_PS8_iiii
		.amdhsa_group_segment_fixed_size 0
		.amdhsa_private_segment_fixed_size 0
		.amdhsa_kernarg_size 304
		.amdhsa_user_sgpr_count 6
		.amdhsa_user_sgpr_private_segment_buffer 1
		.amdhsa_user_sgpr_dispatch_ptr 0
		.amdhsa_user_sgpr_queue_ptr 0
		.amdhsa_user_sgpr_kernarg_segment_ptr 1
		.amdhsa_user_sgpr_dispatch_id 0
		.amdhsa_user_sgpr_flat_scratch_init 0
		.amdhsa_user_sgpr_private_segment_size 0
		.amdhsa_wavefront_size32 1
		.amdhsa_uses_dynamic_stack 0
		.amdhsa_system_sgpr_private_segment_wavefront_offset 0
		.amdhsa_system_sgpr_workgroup_id_x 1
		.amdhsa_system_sgpr_workgroup_id_y 0
		.amdhsa_system_sgpr_workgroup_id_z 1
		.amdhsa_system_sgpr_workgroup_info 0
		.amdhsa_system_vgpr_workitem_id 1
		.amdhsa_next_free_vgpr 42
		.amdhsa_next_free_sgpr 17
		.amdhsa_reserve_vcc 1
		.amdhsa_reserve_flat_scratch 0
		.amdhsa_float_round_mode_32 0
		.amdhsa_float_round_mode_16_64 0
		.amdhsa_float_denorm_mode_32 3
		.amdhsa_float_denorm_mode_16_64 3
		.amdhsa_dx10_clamp 1
		.amdhsa_ieee_mode 1
		.amdhsa_fp16_overflow 0
		.amdhsa_workgroup_processor_mode 1
		.amdhsa_memory_ordered 1
		.amdhsa_forward_progress 1
		.amdhsa_shared_vgpr_count 0
		.amdhsa_exception_fp_ieee_invalid_op 0
		.amdhsa_exception_fp_denorm_src 0
		.amdhsa_exception_fp_ieee_div_zero 0
		.amdhsa_exception_fp_ieee_overflow 0
		.amdhsa_exception_fp_ieee_underflow 0
		.amdhsa_exception_fp_ieee_inexact 0
		.amdhsa_exception_int_div_zero 0
	.end_amdhsa_kernel
	.section	.text._ZL9moe_vec_qIN3c104HalfELi256ELi16E10block_q2_KLi1EXadL_ZL17vec_dot_q2_K_q8_1PKvPK10block_q8_1RKiEEEvS4_S4_PT_PS8_iiii,"axG",@progbits,_ZL9moe_vec_qIN3c104HalfELi256ELi16E10block_q2_KLi1EXadL_ZL17vec_dot_q2_K_q8_1PKvPK10block_q8_1RKiEEEvS4_S4_PT_PS8_iiii,comdat
.Lfunc_end261:
	.size	_ZL9moe_vec_qIN3c104HalfELi256ELi16E10block_q2_KLi1EXadL_ZL17vec_dot_q2_K_q8_1PKvPK10block_q8_1RKiEEEvS4_S4_PT_PS8_iiii, .Lfunc_end261-_ZL9moe_vec_qIN3c104HalfELi256ELi16E10block_q2_KLi1EXadL_ZL17vec_dot_q2_K_q8_1PKvPK10block_q8_1RKiEEEvS4_S4_PT_PS8_iiii
                                        ; -- End function
	.set _ZL9moe_vec_qIN3c104HalfELi256ELi16E10block_q2_KLi1EXadL_ZL17vec_dot_q2_K_q8_1PKvPK10block_q8_1RKiEEEvS4_S4_PT_PS8_iiii.num_vgpr, 42
	.set _ZL9moe_vec_qIN3c104HalfELi256ELi16E10block_q2_KLi1EXadL_ZL17vec_dot_q2_K_q8_1PKvPK10block_q8_1RKiEEEvS4_S4_PT_PS8_iiii.num_agpr, 0
	.set _ZL9moe_vec_qIN3c104HalfELi256ELi16E10block_q2_KLi1EXadL_ZL17vec_dot_q2_K_q8_1PKvPK10block_q8_1RKiEEEvS4_S4_PT_PS8_iiii.numbered_sgpr, 17
	.set _ZL9moe_vec_qIN3c104HalfELi256ELi16E10block_q2_KLi1EXadL_ZL17vec_dot_q2_K_q8_1PKvPK10block_q8_1RKiEEEvS4_S4_PT_PS8_iiii.num_named_barrier, 0
	.set _ZL9moe_vec_qIN3c104HalfELi256ELi16E10block_q2_KLi1EXadL_ZL17vec_dot_q2_K_q8_1PKvPK10block_q8_1RKiEEEvS4_S4_PT_PS8_iiii.private_seg_size, 0
	.set _ZL9moe_vec_qIN3c104HalfELi256ELi16E10block_q2_KLi1EXadL_ZL17vec_dot_q2_K_q8_1PKvPK10block_q8_1RKiEEEvS4_S4_PT_PS8_iiii.uses_vcc, 1
	.set _ZL9moe_vec_qIN3c104HalfELi256ELi16E10block_q2_KLi1EXadL_ZL17vec_dot_q2_K_q8_1PKvPK10block_q8_1RKiEEEvS4_S4_PT_PS8_iiii.uses_flat_scratch, 0
	.set _ZL9moe_vec_qIN3c104HalfELi256ELi16E10block_q2_KLi1EXadL_ZL17vec_dot_q2_K_q8_1PKvPK10block_q8_1RKiEEEvS4_S4_PT_PS8_iiii.has_dyn_sized_stack, 0
	.set _ZL9moe_vec_qIN3c104HalfELi256ELi16E10block_q2_KLi1EXadL_ZL17vec_dot_q2_K_q8_1PKvPK10block_q8_1RKiEEEvS4_S4_PT_PS8_iiii.has_recursion, 0
	.set _ZL9moe_vec_qIN3c104HalfELi256ELi16E10block_q2_KLi1EXadL_ZL17vec_dot_q2_K_q8_1PKvPK10block_q8_1RKiEEEvS4_S4_PT_PS8_iiii.has_indirect_call, 0
	.section	.AMDGPU.csdata,"",@progbits
; Kernel info:
; codeLenInByte = 1200
; TotalNumSgprs: 19
; NumVgprs: 42
; ScratchSize: 0
; MemoryBound: 0
; FloatMode: 240
; IeeeMode: 1
; LDSByteSize: 0 bytes/workgroup (compile time only)
; SGPRBlocks: 0
; VGPRBlocks: 5
; NumSGPRsForWavesPerEU: 19
; NumVGPRsForWavesPerEU: 42
; Occupancy: 16
; WaveLimiterHint : 1
; COMPUTE_PGM_RSRC2:SCRATCH_EN: 0
; COMPUTE_PGM_RSRC2:USER_SGPR: 6
; COMPUTE_PGM_RSRC2:TRAP_HANDLER: 0
; COMPUTE_PGM_RSRC2:TGID_X_EN: 1
; COMPUTE_PGM_RSRC2:TGID_Y_EN: 0
; COMPUTE_PGM_RSRC2:TGID_Z_EN: 1
; COMPUTE_PGM_RSRC2:TIDIG_COMP_CNT: 1
	.section	.text._ZL9moe_vec_qIN3c104HalfELi256ELi16E10block_q3_KLi1EXadL_ZL17vec_dot_q3_K_q8_1PKvPK10block_q8_1RKiEEEvS4_S4_PT_PS8_iiii,"axG",@progbits,_ZL9moe_vec_qIN3c104HalfELi256ELi16E10block_q3_KLi1EXadL_ZL17vec_dot_q3_K_q8_1PKvPK10block_q8_1RKiEEEvS4_S4_PT_PS8_iiii,comdat
	.globl	_ZL9moe_vec_qIN3c104HalfELi256ELi16E10block_q3_KLi1EXadL_ZL17vec_dot_q3_K_q8_1PKvPK10block_q8_1RKiEEEvS4_S4_PT_PS8_iiii ; -- Begin function _ZL9moe_vec_qIN3c104HalfELi256ELi16E10block_q3_KLi1EXadL_ZL17vec_dot_q3_K_q8_1PKvPK10block_q8_1RKiEEEvS4_S4_PT_PS8_iiii
	.p2align	8
	.type	_ZL9moe_vec_qIN3c104HalfELi256ELi16E10block_q3_KLi1EXadL_ZL17vec_dot_q3_K_q8_1PKvPK10block_q8_1RKiEEEvS4_S4_PT_PS8_iiii,@function
_ZL9moe_vec_qIN3c104HalfELi256ELi16E10block_q3_KLi1EXadL_ZL17vec_dot_q3_K_q8_1PKvPK10block_q8_1RKiEEEvS4_S4_PT_PS8_iiii: ; @_ZL9moe_vec_qIN3c104HalfELi256ELi16E10block_q3_KLi1EXadL_ZL17vec_dot_q3_K_q8_1PKvPK10block_q8_1RKiEEEvS4_S4_PT_PS8_iiii
; %bb.0:
	s_mov_b32 s8, s7
	s_clause 0x1
	s_load_dword s7, s[4:5], 0x3c
	s_load_dwordx4 s[0:3], s[4:5], 0x20
	s_waitcnt lgkmcnt(0)
	s_lshr_b32 s7, s7, 16
	v_mad_u64_u32 v[1:2], null, s6, s7, v[1:2]
	s_mov_b32 s6, exec_lo
	v_cmpx_gt_u32_e64 s2, v1
	s_cbranch_execz .LBB262_7
; %bb.1:
	s_load_dwordx2 s[10:11], s[4:5], 0x10
	s_ashr_i32 s6, s1, 31
	v_lshrrev_b32_e32 v10, 4, v0
	s_lshr_b32 s6, s6, 24
	v_mov_b32_e32 v3, 0
	s_add_i32 s1, s1, s6
	s_mov_b32 s12, exec_lo
	s_ashr_i32 s13, s1, 8
	v_cmpx_gt_u32_e64 s13, v10
	s_cbranch_execz .LBB262_5
; %bb.2:
	v_and_b32_e32 v4, 15, v0
	v_cvt_f32_u32_e32 v5, s0
	s_load_dwordx2 s[14:15], s[4:5], 0x18
	v_lshrrev_b32_e32 v7, 1, v0
	v_mov_b32_e32 v3, 0
	v_sub_co_u32 v2, vcc_lo, v4, 8
	v_rcp_iflag_f32_e32 v5, v5
	v_and_b32_e32 v11, 4, v7
	v_lshlrev_b32_e32 v12, 2, v4
	v_cndmask_b32_e32 v2, v2, v4, vcc_lo
	s_mov_b32 s9, 0
	s_load_dwordx4 s[4:7], s[4:5], 0x0
	s_lshl_b64 s[16:17], s[8:9], 2
	v_mov_b32_e32 v32, 1
	v_sub_nc_u32_e32 v6, v4, v2
	v_cmp_lt_u32_e32 vcc_lo, 3, v2
	v_mul_f32_e32 v7, 0x4f7ffffe, v5
	v_lshlrev_b64 v[4:5], 2, v[2:3]
	v_mov_b32_e32 v9, 2
	s_mul_i32 s18, s13, s2
	v_add_co_ci_u32_e64 v8, null, 0, v6, vcc_lo
	v_cvt_u32_f32_e32 v2, v7
	s_waitcnt lgkmcnt(0)
	s_add_u32 s14, s14, s16
	s_addc_u32 s15, s15, s17
	v_bfe_i32 v6, v8, 0, 8
	v_add_nc_u16 v18, v8, 2
	v_add_nc_u16 v25, v8, 4
	s_load_dword s14, s[14:15], 0x0
	v_readfirstlane_b32 s15, v2
	v_lshrrev_b16 v6, 7, v6
	v_bfe_i32 v13, v18, 0, 8
	v_bfe_i32 v15, v25, 0, 8
	s_mov_b32 s1, s9
	v_lshlrev_b32_e32 v34, 3, v10
	v_and_b32_e32 v6, 0xff, v6
	v_lshrrev_b16 v7, 7, v13
	v_lshrrev_b16 v13, 5, v6
	v_lshrrev_b16 v6, 6, v6
	v_and_b32_e32 v14, 0xff, v7
	v_add_nc_u16 v2, v8, v13
	v_add_nc_u16 v6, v8, v6
	v_lshrrev_b16 v7, 5, v14
	v_lshrrev_b16 v21, 6, v14
	s_waitcnt lgkmcnt(0)
	s_mul_i32 s14, s18, s14
	v_bfe_i32 v13, v2, 0, 8
	v_bfe_i32 v16, v6, 0, 8
	v_add_nc_u16 v17, v18, v7
	v_and_b32_e32 v2, 0xf8, v2
	v_and_b32_e32 v6, 0xfc, v6
	v_add_nc_u16 v21, v18, v21
	v_ashrrev_i16 v16, 2, v16
	v_bfe_i32 v20, v17, 0, 8
	v_sub_nc_u16 v2, v8, v2
	v_sub_nc_u16 v19, v8, v6
	v_add_nc_u16 v8, v8, 6
	v_lshlrev_b32_sdwa v14, v32, sext(v16) dst_sel:DWORD dst_unused:UNUSED_PAD src0_sel:DWORD src1_sel:WORD_0
	v_lshrrev_b16 v16, 7, v15
	v_lshrrev_b16 v20, 3, v20
	v_bfe_i32 v15, v19, 0, 8
	v_bfe_i32 v19, v21, 0, 8
	v_and_b32_e32 v21, 0xfc, v21
	v_and_b32_e32 v22, 0xff, v16
	v_lshlrev_b32_sdwa v16, v9, v20 dst_sel:DWORD dst_unused:UNUSED_PAD src0_sel:DWORD src1_sel:BYTE_0
	v_bfe_i32 v23, v8, 0, 8
	s_mul_i32 s16, s14, 0x6e
	s_mul_hi_i32 s14, s14, 0x6e
	v_lshrrev_b16 v20, 5, v22
	s_add_u32 s4, s4, s16
	s_addc_u32 s5, s5, s14
	s_sub_i32 s14, 0, s0
	v_lshrrev_b16 v22, 6, v22
	v_add_nc_u16 v24, v25, v20
	v_sub_nc_u16 v20, v18, v21
	v_lshrrev_b16 v21, 7, v23
	s_mul_i32 s14, s14, s15
	v_add_nc_u16 v27, v25, v22
	s_mul_hi_u32 s14, s15, s14
	v_and_b32_e32 v17, 0xf8, v17
	v_and_b32_e32 v26, 0xff, v21
	s_add_i32 s15, s15, s14
	v_bfe_i32 v29, v27, 0, 8
	s_mul_hi_u32 s14, s8, s15
	v_bfe_i32 v23, v24, 0, 8
	v_lshrrev_b16 v28, 5, v26
	v_lshrrev_b16 v26, 6, v26
	s_mul_i32 s15, s14, s0
	s_add_i32 s16, s14, 1
	s_sub_i32 s15, s8, s15
	v_add_nc_u16 v28, v8, v28
	s_sub_i32 s17, s15, s0
	v_add_nc_u16 v26, v8, v26
	s_cmp_ge_u32 s15, s0
	v_and_b32_e32 v24, 0xf8, v24
	s_cselect_b32 s14, s16, s14
	s_cselect_b32 s15, s17, s15
	s_add_i32 s16, s14, 1
	v_and_b32_e32 v27, 0xfc, v27
	v_lshrrev_b16 v29, 2, v29
	v_and_b32_e32 v30, 0xf8, v28
	v_and_b32_e32 v31, 0xfc, v26
	s_cmp_ge_u32 s15, s0
	v_sub_nc_u16 v17, v18, v17
	s_cselect_b32 s0, s16, s14
	v_lshrrev_b16 v23, 3, v23
	s_mul_i32 s0, s0, s3
	v_sub_nc_u16 v24, v25, v24
	v_sub_nc_u16 v27, v25, v27
	v_lshlrev_b32_sdwa v25, v32, v29 dst_sel:DWORD dst_unused:UNUSED_PAD src0_sel:DWORD src1_sel:BYTE_0
	v_bfe_i32 v28, v28, 0, 8
	v_sub_nc_u16 v29, v8, v30
	v_bfe_i32 v30, v26, 0, 8
	v_sub_nc_u16 v8, v8, v31
	v_lshrrev_b16 v7, 3, v13
	s_lshl_b64 s[0:1], s[0:1], 2
	v_bfe_i32 v17, v17, 0, 8
	s_add_u32 s0, s6, s0
	s_addc_u32 s1, s7, s1
	v_ashrrev_i16 v19, 2, v19
	v_bfe_i32 v20, v20, 0, 8
	v_lshlrev_b32_sdwa v22, v9, v23 dst_sel:DWORD dst_unused:UNUSED_PAD src0_sel:DWORD src1_sel:BYTE_0
	v_bfe_i32 v23, v24, 0, 8
	v_bfe_i32 v26, v27, 0, 8
	v_lshrrev_b16 v31, 3, v28
	v_bfe_i32 v27, v29, 0, 8
	v_lshrrev_b16 v33, 2, v30
	v_bfe_i32 v28, v8, 0, 8
	v_lshlrev_b32_sdwa v13, v9, v7 dst_sel:DWORD dst_unused:UNUSED_PAD src0_sel:DWORD src1_sel:BYTE_0
	v_mad_u64_u32 v[6:7], null, v11, 36, s[0:1]
	v_bfe_i32 v2, v2, 0, 8
	v_ashrrev_i32_e32 v18, 31, v17
	v_lshlrev_b32_sdwa v19, v32, sext(v19) dst_sel:DWORD dst_unused:UNUSED_PAD src0_sel:DWORD src1_sel:WORD_0
	v_ashrrev_i32_e32 v21, 31, v20
	v_ashrrev_i32_e32 v24, 31, v23
	;; [unrolled: 1-line block ×3, first 2 shown]
	v_lshlrev_b32_sdwa v30, v9, v31 dst_sel:DWORD dst_unused:UNUSED_PAD src0_sel:DWORD src1_sel:BYTE_0
	v_ashrrev_i32_e32 v31, 31, v27
	v_lshlrev_b32_sdwa v32, v32, v33 dst_sel:DWORD dst_unused:UNUSED_PAD src0_sel:DWORD src1_sel:BYTE_0
	v_ashrrev_i32_e32 v33, 31, v28
.LBB262_3:                              ; =>This Inner Loop Header: Depth=1
	v_mul_lo_u32 v35, v1, s13
	v_ashrrev_i32_e32 v42, 31, v2
	v_ashrrev_i32_e32 v44, 31, v15
	v_mad_i64_i32 v[8:9], null, v34, 36, v[6:7]
	v_add_nc_u32_e32 v34, 16, v34
	v_add_nc_u32_e32 v35, v35, v10
	v_add_nc_u32_e32 v10, 2, v10
	v_mad_i64_i32 v[35:36], null, 0x6e, v35, s[4:5]
	v_add_co_u32 v37, vcc_lo, v35, v4
	v_add_co_ci_u32_e64 v38, null, v36, v5, vcc_lo
	v_add_co_u32 v39, vcc_lo, v35, v12
	v_add_co_ci_u32_e64 v40, null, 0, v36, vcc_lo
	;; [unrolled: 2-line block ×10, first 2 shown]
	s_clause 0x9
	global_load_dword v57, v[37:38], off
	global_load_dword v39, v[39:40], off offset:32
	global_load_ubyte v40, v[43:44], off offset:104
	global_load_ubyte v43, v[49:50], off offset:96
	global_load_ubyte v44, v[51:52], off offset:104
	global_load_ubyte v49, v[55:56], off offset:96
	global_load_ubyte v45, v[45:46], off offset:96
	global_load_ubyte v41, v[41:42], off offset:96
	global_load_ubyte v42, v[47:48], off offset:104
	global_load_ubyte v46, v[53:54], off offset:104
	v_add_co_u32 v37, vcc_lo, v8, v4
	v_add_co_ci_u32_e64 v38, null, v9, v5, vcc_lo
	s_clause 0x7
	global_load_dword v47, v[37:38], off offset:4
	global_load_dword v48, v[37:38], off offset:40
	global_load_dword v50, v[37:38], off offset:76
	global_load_dword v37, v[37:38], off offset:112
	global_load_dword v38, v[8:9], off
	global_load_dword v51, v[8:9], off offset:36
	global_load_dword v52, v[8:9], off offset:72
	;; [unrolled: 1-line block ×3, first 2 shown]
	global_load_ushort v9, v[35:36], off offset:108
	v_cmp_le_u32_e32 vcc_lo, s13, v10
	s_or_b32 s9, vcc_lo, s9
	s_waitcnt vmcnt(18)
	v_ashrrev_i32_e32 v35, v11, v57
	s_waitcnt vmcnt(17)
	v_lshrrev_b32_e32 v55, 4, v39
	s_waitcnt vmcnt(16)
	v_lshrrev_b32_e32 v40, v14, v40
	s_waitcnt vmcnt(15)
	v_bfe_u32 v43, v43, v22, 4
	s_waitcnt vmcnt(14)
	v_lshrrev_b32_e32 v44, v25, v44
	v_not_b32_e32 v35, v35
	s_waitcnt vmcnt(12)
	v_bfe_u32 v45, v45, v16, 4
	s_waitcnt vmcnt(11)
	v_bfe_u32 v41, v41, v13, 4
	s_waitcnt vmcnt(10)
	v_lshrrev_b32_e32 v42, v19, v42
	s_waitcnt vmcnt(9)
	v_lshrrev_b32_e32 v46, v32, v46
	v_lshlrev_b32_e32 v40, 4, v40
	v_bfe_u32 v49, v49, v30, 4
	v_lshlrev_b32_e32 v44, 4, v44
	v_lshlrev_b32_e32 v42, 4, v42
	;; [unrolled: 1-line block ×3, first 2 shown]
	v_and_b32_e32 v57, 0x3030303, v55
	v_and_or_b32 v40, v40, 48, v41
	v_and_or_b32 v43, v44, 48, v43
	;; [unrolled: 1-line block ×3, first 2 shown]
	v_and_b32_e32 v42, 0x4040404, v35
	v_and_or_b32 v44, v46, 48, v49
	v_lshrrev_b16 v46, 8, v57
	v_bfe_u32 v55, v55, 24, 2
	v_lshlrev_b32_e32 v45, 2, v35
	v_lshrrev_b16 v49, 8, v42
	v_and_b32_e32 v36, 0x3030303, v39
	v_bfe_u32 v53, v39, 24, 2
	v_lshrrev_b32_e32 v54, 2, v39
	v_and_b32_e32 v45, 0x4040404, v45
	v_sub_nc_u16 v46, v46, v49
	v_lshrrev_b32_e32 v49, 24, v42
	v_lshrrev_b16 v56, 8, v36
	v_lshrrev_b32_e32 v58, 16, v36
	v_sub_nc_u16 v36, v36, v45
	v_lshlrev_b16 v46, 8, v46
	v_sub_nc_u16 v49, v55, v49
	v_lshrrev_b32_e32 v55, 16, v57
	v_sub_nc_u16 v57, v57, v42
	v_lshrrev_b32_e32 v42, 16, v42
	v_subrev_nc_u32_e32 v40, 32, v40
	v_lshlrev_b16 v49, 8, v49
	v_subrev_nc_u32_e32 v41, 32, v41
	v_or_b32_sdwa v46, v57, v46 dst_sel:DWORD dst_unused:UNUSED_PAD src0_sel:BYTE_0 src1_sel:DWORD
	v_sub_nc_u16 v42, v55, v42
	v_lshrrev_b16 v55, 8, v45
	v_or_b32_sdwa v42, v42, v49 dst_sel:WORD_1 dst_unused:UNUSED_PAD src0_sel:BYTE_0 src1_sel:DWORD
	v_sub_nc_u16 v55, v56, v55
	v_lshrrev_b32_e32 v56, 24, v45
	v_lshrrev_b32_e32 v45, 16, v45
	v_lshlrev_b16 v49, 8, v55
	v_sub_nc_u16 v53, v53, v56
	v_sub_nc_u16 v45, v58, v45
	v_lshlrev_b32_e32 v58, 1, v35
	v_and_b32_e32 v56, 0x3030303, v54
	v_bfe_u32 v54, v54, 24, 2
	v_lshrrev_b32_e32 v35, 1, v35
	v_or_b32_sdwa v36, v36, v49 dst_sel:DWORD dst_unused:UNUSED_PAD src0_sel:BYTE_0 src1_sel:DWORD
	v_and_b32_e32 v58, 0x4040404, v58
	v_lshrrev_b16 v59, 8, v56
	v_lshlrev_b16 v49, 8, v53
	v_and_b32_e32 v35, 0x4040404, v35
	v_mov_b32_e32 v55, 0
	v_lshrrev_b16 v60, 8, v58
	v_or_b32_sdwa v45, v45, v49 dst_sel:WORD_1 dst_unused:UNUSED_PAD src0_sel:BYTE_0 src1_sel:DWORD
	v_lshrrev_b16 v62, 8, v35
	v_mov_b32_e32 v49, 0
	v_sub_nc_u16 v59, v59, v60
	v_lshrrev_b32_e32 v60, 24, v58
	v_or_b32_sdwa v36, v36, v45 dst_sel:DWORD dst_unused:UNUSED_PAD src0_sel:WORD_0 src1_sel:DWORD
	v_mov_b32_e32 v45, 0
	v_lshlrev_b16 v53, 8, v59
	v_sub_nc_u16 v54, v54, v60
	v_lshrrev_b32_e32 v60, 16, v56
	v_sub_nc_u16 v56, v56, v58
	v_lshrrev_b32_e32 v58, 16, v58
	s_waitcnt vmcnt(8)
	v_dot4c_i32_i8 v49, v36, v47
	v_lshlrev_b16 v54, 8, v54
	v_or_b32_sdwa v36, v46, v42 dst_sel:DWORD dst_unused:UNUSED_PAD src0_sel:WORD_0 src1_sel:DWORD
	v_or_b32_sdwa v53, v56, v53 dst_sel:DWORD dst_unused:UNUSED_PAD src0_sel:BYTE_0 src1_sel:DWORD
	v_sub_nc_u16 v58, v60, v58
	v_lshrrev_b32_e32 v60, 6, v39
	v_lshrrev_b32_e32 v39, 30, v39
	v_mov_b32_e32 v56, 0
	v_or_b32_sdwa v54, v58, v54 dst_sel:WORD_1 dst_unused:UNUSED_PAD src0_sel:BYTE_0 src1_sel:DWORD
	v_and_b32_e32 v60, 0x3030303, v60
	s_waitcnt vmcnt(6)
	v_dot4c_i32_i8 v56, v36, v50
	v_or_b32_sdwa v53, v53, v54 dst_sel:DWORD dst_unused:UNUSED_PAD src0_sel:WORD_0 src1_sel:DWORD
	v_lshrrev_b16 v61, 8, v60
	v_dot4c_i32_i8 v55, v53, v48
	v_sub_nc_u16 v61, v61, v62
	v_lshrrev_b32_e32 v62, 24, v35
	v_mul_lo_u32 v36, v41, v55
	v_lshlrev_b16 v57, 8, v61
	v_sub_nc_u16 v39, v39, v62
	v_lshrrev_b32_e32 v62, 16, v60
	v_sub_nc_u16 v60, v60, v35
	v_lshrrev_b32_e32 v35, 16, v35
	v_subrev_nc_u32_e32 v41, 32, v44
	v_lshlrev_b16 v39, 8, v39
	v_or_b32_sdwa v42, v60, v57 dst_sel:DWORD dst_unused:UNUSED_PAD src0_sel:BYTE_0 src1_sel:DWORD
	v_sub_nc_u16 v35, v62, v35
	v_or_b32_sdwa v35, v35, v39 dst_sel:WORD_1 dst_unused:UNUSED_PAD src0_sel:BYTE_0 src1_sel:DWORD
	v_mul_lo_u32 v39, v40, v49
	v_subrev_nc_u32_e32 v40, 32, v43
	v_or_b32_sdwa v35, v42, v35 dst_sel:DWORD dst_unused:UNUSED_PAD src0_sel:WORD_0 src1_sel:DWORD
	v_mul_lo_u32 v40, v40, v56
	v_cvt_f32_i32_e32 v39, v39
	s_waitcnt vmcnt(5)
	v_dot4c_i32_i8 v45, v35, v37
	v_cvt_f32_i32_e32 v35, v36
	s_waitcnt vmcnt(4)
	v_fma_mix_f32 v36, v38, v39, 0 op_sel_hi:[1,0,0]
	v_mul_lo_u32 v37, v41, v45
	v_cvt_f32_i32_e32 v38, v40
	s_waitcnt vmcnt(3)
	v_fma_mix_f32 v35, v51, v35, v36 op_sel_hi:[1,0,0]
	v_cvt_f32_i32_e32 v36, v37
	s_waitcnt vmcnt(2)
	v_fma_mix_f32 v35, v52, v38, v35 op_sel_hi:[1,0,0]
	s_waitcnt vmcnt(1)
	v_fma_mix_f32 v8, v8, v36, v35 op_sel_hi:[1,0,0]
	;; [unrolled: 2-line block ×3, first 2 shown]
	s_andn2_b32 exec_lo, exec_lo, s9
	s_cbranch_execnz .LBB262_3
; %bb.4:
	s_or_b32 exec_lo, exec_lo, s9
.LBB262_5:
	s_or_b32 exec_lo, exec_lo, s12
	v_mbcnt_lo_u32_b32 v2, -1, 0
	v_xor_b32_e32 v4, 16, v2
	v_xor_b32_e32 v5, 8, v2
	v_cmp_gt_i32_e32 vcc_lo, 32, v4
	v_cndmask_b32_e32 v4, v2, v4, vcc_lo
	v_cmp_gt_i32_e32 vcc_lo, 32, v5
	v_lshlrev_b32_e32 v4, 2, v4
	v_cndmask_b32_e32 v5, v2, v5, vcc_lo
	ds_bpermute_b32 v4, v4, v3
	v_lshlrev_b32_e32 v5, 2, v5
	s_waitcnt lgkmcnt(0)
	v_add_f32_e32 v3, v3, v4
	ds_bpermute_b32 v4, v5, v3
	v_xor_b32_e32 v5, 4, v2
	v_cmp_gt_i32_e32 vcc_lo, 32, v5
	v_cndmask_b32_e32 v5, v2, v5, vcc_lo
	v_lshlrev_b32_e32 v5, 2, v5
	s_waitcnt lgkmcnt(0)
	v_add_f32_e32 v3, v3, v4
	ds_bpermute_b32 v4, v5, v3
	v_xor_b32_e32 v5, 2, v2
	v_cmp_gt_i32_e32 vcc_lo, 32, v5
	v_cndmask_b32_e32 v5, v2, v5, vcc_lo
	v_lshlrev_b32_e32 v5, 2, v5
	s_waitcnt lgkmcnt(0)
	v_add_f32_e32 v3, v3, v4
	ds_bpermute_b32 v4, v5, v3
	v_xor_b32_e32 v5, 1, v2
	v_cmp_gt_i32_e32 vcc_lo, 32, v5
	v_cndmask_b32_e32 v5, v2, v5, vcc_lo
	v_cmp_eq_u32_e32 vcc_lo, 0, v0
	s_waitcnt lgkmcnt(0)
	v_add_f32_e32 v2, v3, v4
	v_lshlrev_b32_e32 v3, 2, v5
	ds_bpermute_b32 v3, v3, v2
	s_and_b32 exec_lo, exec_lo, vcc_lo
	s_cbranch_execz .LBB262_7
; %bb.6:
	v_mad_u64_u32 v[0:1], null, s2, s8, v[1:2]
	v_mov_b32_e32 v1, 0
	s_waitcnt lgkmcnt(0)
	v_add_f32_e32 v2, v2, v3
	v_cvt_f16_f32_e32 v2, v2
	v_lshlrev_b64 v[0:1], 1, v[0:1]
	v_add_co_u32 v0, vcc_lo, s10, v0
	v_add_co_ci_u32_e64 v1, null, s11, v1, vcc_lo
	global_store_short v[0:1], v2, off
.LBB262_7:
	s_endpgm
	.section	.rodata,"a",@progbits
	.p2align	6, 0x0
	.amdhsa_kernel _ZL9moe_vec_qIN3c104HalfELi256ELi16E10block_q3_KLi1EXadL_ZL17vec_dot_q3_K_q8_1PKvPK10block_q8_1RKiEEEvS4_S4_PT_PS8_iiii
		.amdhsa_group_segment_fixed_size 0
		.amdhsa_private_segment_fixed_size 0
		.amdhsa_kernarg_size 304
		.amdhsa_user_sgpr_count 6
		.amdhsa_user_sgpr_private_segment_buffer 1
		.amdhsa_user_sgpr_dispatch_ptr 0
		.amdhsa_user_sgpr_queue_ptr 0
		.amdhsa_user_sgpr_kernarg_segment_ptr 1
		.amdhsa_user_sgpr_dispatch_id 0
		.amdhsa_user_sgpr_flat_scratch_init 0
		.amdhsa_user_sgpr_private_segment_size 0
		.amdhsa_wavefront_size32 1
		.amdhsa_uses_dynamic_stack 0
		.amdhsa_system_sgpr_private_segment_wavefront_offset 0
		.amdhsa_system_sgpr_workgroup_id_x 1
		.amdhsa_system_sgpr_workgroup_id_y 0
		.amdhsa_system_sgpr_workgroup_id_z 1
		.amdhsa_system_sgpr_workgroup_info 0
		.amdhsa_system_vgpr_workitem_id 1
		.amdhsa_next_free_vgpr 63
		.amdhsa_next_free_sgpr 19
		.amdhsa_reserve_vcc 1
		.amdhsa_reserve_flat_scratch 0
		.amdhsa_float_round_mode_32 0
		.amdhsa_float_round_mode_16_64 0
		.amdhsa_float_denorm_mode_32 3
		.amdhsa_float_denorm_mode_16_64 3
		.amdhsa_dx10_clamp 1
		.amdhsa_ieee_mode 1
		.amdhsa_fp16_overflow 0
		.amdhsa_workgroup_processor_mode 1
		.amdhsa_memory_ordered 1
		.amdhsa_forward_progress 1
		.amdhsa_shared_vgpr_count 0
		.amdhsa_exception_fp_ieee_invalid_op 0
		.amdhsa_exception_fp_denorm_src 0
		.amdhsa_exception_fp_ieee_div_zero 0
		.amdhsa_exception_fp_ieee_overflow 0
		.amdhsa_exception_fp_ieee_underflow 0
		.amdhsa_exception_fp_ieee_inexact 0
		.amdhsa_exception_int_div_zero 0
	.end_amdhsa_kernel
	.section	.text._ZL9moe_vec_qIN3c104HalfELi256ELi16E10block_q3_KLi1EXadL_ZL17vec_dot_q3_K_q8_1PKvPK10block_q8_1RKiEEEvS4_S4_PT_PS8_iiii,"axG",@progbits,_ZL9moe_vec_qIN3c104HalfELi256ELi16E10block_q3_KLi1EXadL_ZL17vec_dot_q3_K_q8_1PKvPK10block_q8_1RKiEEEvS4_S4_PT_PS8_iiii,comdat
.Lfunc_end262:
	.size	_ZL9moe_vec_qIN3c104HalfELi256ELi16E10block_q3_KLi1EXadL_ZL17vec_dot_q3_K_q8_1PKvPK10block_q8_1RKiEEEvS4_S4_PT_PS8_iiii, .Lfunc_end262-_ZL9moe_vec_qIN3c104HalfELi256ELi16E10block_q3_KLi1EXadL_ZL17vec_dot_q3_K_q8_1PKvPK10block_q8_1RKiEEEvS4_S4_PT_PS8_iiii
                                        ; -- End function
	.set _ZL9moe_vec_qIN3c104HalfELi256ELi16E10block_q3_KLi1EXadL_ZL17vec_dot_q3_K_q8_1PKvPK10block_q8_1RKiEEEvS4_S4_PT_PS8_iiii.num_vgpr, 63
	.set _ZL9moe_vec_qIN3c104HalfELi256ELi16E10block_q3_KLi1EXadL_ZL17vec_dot_q3_K_q8_1PKvPK10block_q8_1RKiEEEvS4_S4_PT_PS8_iiii.num_agpr, 0
	.set _ZL9moe_vec_qIN3c104HalfELi256ELi16E10block_q3_KLi1EXadL_ZL17vec_dot_q3_K_q8_1PKvPK10block_q8_1RKiEEEvS4_S4_PT_PS8_iiii.numbered_sgpr, 19
	.set _ZL9moe_vec_qIN3c104HalfELi256ELi16E10block_q3_KLi1EXadL_ZL17vec_dot_q3_K_q8_1PKvPK10block_q8_1RKiEEEvS4_S4_PT_PS8_iiii.num_named_barrier, 0
	.set _ZL9moe_vec_qIN3c104HalfELi256ELi16E10block_q3_KLi1EXadL_ZL17vec_dot_q3_K_q8_1PKvPK10block_q8_1RKiEEEvS4_S4_PT_PS8_iiii.private_seg_size, 0
	.set _ZL9moe_vec_qIN3c104HalfELi256ELi16E10block_q3_KLi1EXadL_ZL17vec_dot_q3_K_q8_1PKvPK10block_q8_1RKiEEEvS4_S4_PT_PS8_iiii.uses_vcc, 1
	.set _ZL9moe_vec_qIN3c104HalfELi256ELi16E10block_q3_KLi1EXadL_ZL17vec_dot_q3_K_q8_1PKvPK10block_q8_1RKiEEEvS4_S4_PT_PS8_iiii.uses_flat_scratch, 0
	.set _ZL9moe_vec_qIN3c104HalfELi256ELi16E10block_q3_KLi1EXadL_ZL17vec_dot_q3_K_q8_1PKvPK10block_q8_1RKiEEEvS4_S4_PT_PS8_iiii.has_dyn_sized_stack, 0
	.set _ZL9moe_vec_qIN3c104HalfELi256ELi16E10block_q3_KLi1EXadL_ZL17vec_dot_q3_K_q8_1PKvPK10block_q8_1RKiEEEvS4_S4_PT_PS8_iiii.has_recursion, 0
	.set _ZL9moe_vec_qIN3c104HalfELi256ELi16E10block_q3_KLi1EXadL_ZL17vec_dot_q3_K_q8_1PKvPK10block_q8_1RKiEEEvS4_S4_PT_PS8_iiii.has_indirect_call, 0
	.section	.AMDGPU.csdata,"",@progbits
; Kernel info:
; codeLenInByte = 2484
; TotalNumSgprs: 21
; NumVgprs: 63
; ScratchSize: 0
; MemoryBound: 0
; FloatMode: 240
; IeeeMode: 1
; LDSByteSize: 0 bytes/workgroup (compile time only)
; SGPRBlocks: 0
; VGPRBlocks: 7
; NumSGPRsForWavesPerEU: 21
; NumVGPRsForWavesPerEU: 63
; Occupancy: 16
; WaveLimiterHint : 1
; COMPUTE_PGM_RSRC2:SCRATCH_EN: 0
; COMPUTE_PGM_RSRC2:USER_SGPR: 6
; COMPUTE_PGM_RSRC2:TRAP_HANDLER: 0
; COMPUTE_PGM_RSRC2:TGID_X_EN: 1
; COMPUTE_PGM_RSRC2:TGID_Y_EN: 0
; COMPUTE_PGM_RSRC2:TGID_Z_EN: 1
; COMPUTE_PGM_RSRC2:TIDIG_COMP_CNT: 1
	.section	.text._ZL9moe_vec_qIN3c104HalfELi256ELi32E10block_q4_KLi2EXadL_ZL17vec_dot_q4_K_q8_1PKvPK10block_q8_1RKiEEEvS4_S4_PT_PS8_iiii,"axG",@progbits,_ZL9moe_vec_qIN3c104HalfELi256ELi32E10block_q4_KLi2EXadL_ZL17vec_dot_q4_K_q8_1PKvPK10block_q8_1RKiEEEvS4_S4_PT_PS8_iiii,comdat
	.globl	_ZL9moe_vec_qIN3c104HalfELi256ELi32E10block_q4_KLi2EXadL_ZL17vec_dot_q4_K_q8_1PKvPK10block_q8_1RKiEEEvS4_S4_PT_PS8_iiii ; -- Begin function _ZL9moe_vec_qIN3c104HalfELi256ELi32E10block_q4_KLi2EXadL_ZL17vec_dot_q4_K_q8_1PKvPK10block_q8_1RKiEEEvS4_S4_PT_PS8_iiii
	.p2align	8
	.type	_ZL9moe_vec_qIN3c104HalfELi256ELi32E10block_q4_KLi2EXadL_ZL17vec_dot_q4_K_q8_1PKvPK10block_q8_1RKiEEEvS4_S4_PT_PS8_iiii,@function
_ZL9moe_vec_qIN3c104HalfELi256ELi32E10block_q4_KLi2EXadL_ZL17vec_dot_q4_K_q8_1PKvPK10block_q8_1RKiEEEvS4_S4_PT_PS8_iiii: ; @_ZL9moe_vec_qIN3c104HalfELi256ELi32E10block_q4_KLi2EXadL_ZL17vec_dot_q4_K_q8_1PKvPK10block_q8_1RKiEEEvS4_S4_PT_PS8_iiii
; %bb.0:
	s_mov_b32 s8, s7
	s_clause 0x1
	s_load_dword s7, s[4:5], 0x3c
	s_load_dwordx4 s[0:3], s[4:5], 0x20
	s_waitcnt lgkmcnt(0)
	s_lshr_b32 s7, s7, 16
	v_mad_u64_u32 v[1:2], null, s6, s7, v[1:2]
	s_mov_b32 s6, exec_lo
	v_cmpx_gt_u32_e64 s2, v1
	s_cbranch_execz .LBB263_11
; %bb.1:
	s_load_dwordx2 s[10:11], s[4:5], 0x10
	s_ashr_i32 s6, s1, 31
	v_lshrrev_b32_e32 v8, 4, v0
	s_lshr_b32 s6, s6, 24
	v_mov_b32_e32 v9, 0
	s_add_i32 s1, s1, s6
	s_ashr_i32 s12, s1, 8
	s_mov_b32 s1, exec_lo
	v_cmpx_gt_u32_e64 s12, v8
	s_cbranch_execz .LBB263_9
; %bb.2:
	s_load_dwordx2 s[6:7], s[4:5], 0x18
	s_mov_b32 s9, 0
	v_cvt_f32_u32_e32 v2, s0
	s_lshl_b64 s[14:15], s[8:9], 2
	v_and_b32_e32 v4, 3, v0
	v_mul_lo_u32 v10, v1, s12
	v_mov_b32_e32 v9, 0
	v_rcp_iflag_f32_e32 v2, v2
	v_lshlrev_b32_e32 v13, 3, v8
	v_lshlrev_b32_e32 v11, 2, v4
	;; [unrolled: 1-line block ×3, first 2 shown]
	v_mov_b32_e32 v16, 0xffff
	v_mul_f32_e32 v2, 0x4f7ffffe, v2
	s_waitcnt lgkmcnt(0)
	s_add_u32 s6, s6, s14
	s_addc_u32 s7, s7, s15
	v_cvt_u32_f32_e32 v2, v2
	s_load_dword s13, s[6:7], 0x0
	s_load_dwordx4 s[4:7], s[4:5], 0x0
	s_mul_i32 s14, s12, s2
	s_waitcnt lgkmcnt(0)
	s_mul_i32 s13, s14, s13
	v_readfirstlane_b32 s14, v2
	s_mul_i32 s15, s13, 0x90
	s_mul_hi_i32 s13, s13, 0x90
	s_add_u32 s4, s4, s15
	s_addc_u32 s5, s5, s13
	s_sub_i32 s13, 0, s0
	v_lshlrev_b32_e32 v2, 1, v0
	s_mul_i32 s13, s13, s14
	s_mov_b32 s15, s9
	s_mul_hi_u32 s13, s14, s13
	s_add_i32 s14, s14, s13
	v_bfe_u32 v5, v2, 3, 2
	s_mul_hi_u32 s13, s8, s14
	v_and_b32_e32 v3, 30, v2
	s_mul_i32 s14, s13, s0
	s_add_i32 s16, s13, 1
	s_sub_i32 s14, s8, s14
	v_lshlrev_b32_e32 v2, 1, v5
	s_sub_i32 s17, s14, s0
	s_cmp_ge_u32 s14, s0
	v_cmp_lt_u32_e32 vcc_lo, 15, v3
	s_cselect_b32 s13, s16, s13
	s_cselect_b32 s14, s17, s14
	s_add_i32 s16, s13, 1
	s_cmp_ge_u32 s14, s0
	v_lshlrev_b32_e32 v12, 5, v5
	s_cselect_b32 s0, s16, s13
	v_lshlrev_b32_e32 v14, 1, v5
	s_mul_i32 s14, s0, s3
	s_lshl_b64 s[14:15], s[14:15], 2
	s_add_u32 s6, s6, s14
	s_addc_u32 s7, s7, s15
	v_mad_u64_u32 v[2:3], null, v2, 36, s[6:7]
	s_branch .LBB263_4
.LBB263_3:                              ;   in Loop: Header=BB263_4 Depth=1
	s_or_b32 exec_lo, exec_lo, s0
	v_mad_i64_i32 v[6:7], null, v13, 36, v[2:3]
	v_mov_b32_e32 v27, 0
	v_mov_b32_e32 v26, 0
	;; [unrolled: 1-line block ×3, first 2 shown]
	s_waitcnt vmcnt(0)
	v_and_b32_e32 v25, 0xf0f0f0f, v17
	v_and_b32_e32 v28, 0xff, v18
	v_lshrrev_b32_e32 v17, 4, v17
	v_add_co_u32 v20, s0, v6, v15
	v_add_co_ci_u32_e64 v21, null, 0, v7, s0
	v_mov_b32_e32 v29, 0
	v_bfe_u32 v31, v18, 16, 8
	v_add_nc_u32_e32 v8, 2, v8
	s_clause 0x4
	global_load_dword v22, v[20:21], off offset:4
	global_load_dword v23, v[20:21], off offset:40
	;; [unrolled: 1-line block ×4, first 2 shown]
	global_load_dword v21, v[6:7], off
	global_load_dword v4, v[4:5], off
	global_load_dword v5, v[6:7], off offset:36
	v_and_b32_e32 v7, 0xf0f0f0f, v19
	v_lshrrev_b32_e32 v19, 4, v19
	v_and_b32_sdwa v6, v16, v18 dst_sel:DWORD dst_unused:UNUSED_PAD src0_sel:DWORD src1_sel:BYTE_1
	v_lshrrev_b32_e32 v18, 24, v18
	v_cmp_le_u32_e64 s0, s12, v8
	v_add_nc_u32_e32 v13, 16, v13
	v_and_b32_e32 v19, 0xf0f0f0f, v19
	s_or_b32 s9, s0, s9
	s_waitcnt vmcnt(6)
	v_dot4c_i32_i8 v27, 0x1010101, v22
	v_dot4c_i32_i8 v26, v7, v22
	s_waitcnt vmcnt(5)
	v_dot4c_i32_i8 v30, 0x1010101, v23
	v_and_b32_e32 v7, 0xf0f0f0f, v17
	v_dot4c_i32_i8 v29, v19, v23
	s_waitcnt vmcnt(4)
	v_dot4c_i32_i8 v27, 0x1010101, v24
	v_dot4c_i32_i8 v26, v25, v24
	s_waitcnt vmcnt(3)
	v_dot4c_i32_i8 v30, 0x1010101, v20
	s_waitcnt vmcnt(1)
	v_cvt_f32_f16_sdwa v19, v4 dst_sel:DWORD dst_unused:UNUSED_PAD src0_sel:WORD_1
	v_dot4c_i32_i8 v29, v7, v20
	v_mul_lo_u32 v17, v27, v28
	v_mul_lo_u32 v7, v26, v31
	;; [unrolled: 1-line block ×4, first 2 shown]
	v_cvt_f32_i32_e32 v17, v17
	v_cvt_f32_i32_e32 v7, v7
	;; [unrolled: 1-line block ×4, first 2 shown]
	v_fma_mix_f32 v17, v21, v17, 0 op_sel_hi:[1,0,0]
	v_fma_mix_f32 v7, v21, v7, 0 op_sel_hi:[1,0,0]
	s_waitcnt vmcnt(0)
	v_fma_mix_f32 v6, v5, v6, v17 op_sel_hi:[1,0,0]
	v_fma_mix_f32 v5, v5, v18, v7 op_sel_hi:[1,0,0]
	v_mul_f32_e32 v6, v6, v19
	v_fma_mix_f32 v4, v5, v4, -v6 op_sel_hi:[0,1,0]
	v_add_f32_e32 v9, v9, v4
	s_andn2_b32 exec_lo, exec_lo, s9
	s_cbranch_execz .LBB263_8
.LBB263_4:                              ; =>This Inner Loop Header: Depth=1
	v_add_nc_u32_e32 v4, v10, v8
                                        ; implicit-def: $vgpr18
	v_mad_i64_i32 v[4:5], null, 0x90, v4, s[4:5]
	v_add_co_u32 v6, s0, v4, v12
	v_add_co_ci_u32_e64 v7, null, 0, v5, s0
	v_add_co_u32 v6, s0, v6, v11
	v_add_co_ci_u32_e64 v7, null, 0, v7, s0
	s_clause 0x1
	global_load_dword v19, v[6:7], off offset:16
	global_load_dword v17, v[6:7], off offset:32
	v_add_co_u32 v6, s0, v4, v14
	v_add_co_ci_u32_e64 v7, null, 0, v5, s0
	s_and_saveexec_b32 s0, vcc_lo
	s_xor_b32 s0, exec_lo, s0
	s_cbranch_execz .LBB263_6
; %bb.5:                                ;   in Loop: Header=BB263_4 Depth=1
	s_clause 0x1
	global_load_ushort v18, v[6:7], off offset:8
	global_load_ushort v20, v[6:7], off offset:4
	s_waitcnt vmcnt(1)
	v_mov_b32_e32 v21, v18
	global_load_short_d16_hi v21, v[6:7], off
	s_waitcnt vmcnt(1)
	v_perm_b32 v6, v18, v20, 0x5040100
	v_pk_lshrrev_b16 v6, 2, v6
	v_and_b32_e32 v6, 0xf0f3030, v6
	s_waitcnt vmcnt(0)
	v_pk_lshrrev_b16 v7, 0x20004, v21
	v_and_or_b32 v18, 0x30300f0f, v7, v6
                                        ; implicit-def: $vgpr6_vgpr7
.LBB263_6:                              ;   in Loop: Header=BB263_4 Depth=1
	s_andn2_saveexec_b32 s0, s0
	s_cbranch_execz .LBB263_3
; %bb.7:                                ;   in Loop: Header=BB263_4 Depth=1
	s_clause 0x1
	global_load_ushort v18, v[6:7], off offset:8
	global_load_short_d16_hi v18, v[6:7], off offset:4
	s_waitcnt vmcnt(0)
	v_and_b32_e32 v18, 0x3f3f3f3f, v18
	s_branch .LBB263_3
.LBB263_8:
	s_or_b32 exec_lo, exec_lo, s9
.LBB263_9:
	s_or_b32 exec_lo, exec_lo, s1
	v_mbcnt_lo_u32_b32 v2, -1, 0
	v_xor_b32_e32 v3, 16, v2
	v_xor_b32_e32 v4, 8, v2
	;; [unrolled: 1-line block ×3, first 2 shown]
	v_cmp_gt_i32_e32 vcc_lo, 32, v3
	v_cndmask_b32_e32 v3, v2, v3, vcc_lo
	v_cmp_gt_i32_e32 vcc_lo, 32, v4
	v_lshlrev_b32_e32 v3, 2, v3
	v_cndmask_b32_e32 v4, v2, v4, vcc_lo
	v_cmp_gt_i32_e32 vcc_lo, 32, v5
	ds_bpermute_b32 v3, v3, v9
	v_lshlrev_b32_e32 v4, 2, v4
	v_cndmask_b32_e32 v5, v2, v5, vcc_lo
	v_lshlrev_b32_e32 v5, 2, v5
	s_waitcnt lgkmcnt(0)
	v_add_f32_e32 v3, v9, v3
	ds_bpermute_b32 v4, v4, v3
	s_waitcnt lgkmcnt(0)
	v_add_f32_e32 v3, v3, v4
	ds_bpermute_b32 v4, v5, v3
	v_xor_b32_e32 v5, 2, v2
	v_cmp_gt_i32_e32 vcc_lo, 32, v5
	v_cndmask_b32_e32 v5, v2, v5, vcc_lo
	v_lshlrev_b32_e32 v5, 2, v5
	s_waitcnt lgkmcnt(0)
	v_add_f32_e32 v3, v3, v4
	ds_bpermute_b32 v4, v5, v3
	v_xor_b32_e32 v5, 1, v2
	v_cmp_gt_i32_e32 vcc_lo, 32, v5
	v_cndmask_b32_e32 v5, v2, v5, vcc_lo
	v_cmp_eq_u32_e32 vcc_lo, 0, v0
	s_waitcnt lgkmcnt(0)
	v_add_f32_e32 v2, v3, v4
	v_lshlrev_b32_e32 v3, 2, v5
	ds_bpermute_b32 v3, v3, v2
	s_and_b32 exec_lo, exec_lo, vcc_lo
	s_cbranch_execz .LBB263_11
; %bb.10:
	v_mad_u64_u32 v[0:1], null, s2, s8, v[1:2]
	v_mov_b32_e32 v1, 0
	s_waitcnt lgkmcnt(0)
	v_add_f32_e32 v2, v2, v3
	v_cvt_f16_f32_e32 v2, v2
	v_lshlrev_b64 v[0:1], 1, v[0:1]
	v_add_co_u32 v0, vcc_lo, s10, v0
	v_add_co_ci_u32_e64 v1, null, s11, v1, vcc_lo
	global_store_short v[0:1], v2, off
.LBB263_11:
	s_endpgm
	.section	.rodata,"a",@progbits
	.p2align	6, 0x0
	.amdhsa_kernel _ZL9moe_vec_qIN3c104HalfELi256ELi32E10block_q4_KLi2EXadL_ZL17vec_dot_q4_K_q8_1PKvPK10block_q8_1RKiEEEvS4_S4_PT_PS8_iiii
		.amdhsa_group_segment_fixed_size 0
		.amdhsa_private_segment_fixed_size 0
		.amdhsa_kernarg_size 304
		.amdhsa_user_sgpr_count 6
		.amdhsa_user_sgpr_private_segment_buffer 1
		.amdhsa_user_sgpr_dispatch_ptr 0
		.amdhsa_user_sgpr_queue_ptr 0
		.amdhsa_user_sgpr_kernarg_segment_ptr 1
		.amdhsa_user_sgpr_dispatch_id 0
		.amdhsa_user_sgpr_flat_scratch_init 0
		.amdhsa_user_sgpr_private_segment_size 0
		.amdhsa_wavefront_size32 1
		.amdhsa_uses_dynamic_stack 0
		.amdhsa_system_sgpr_private_segment_wavefront_offset 0
		.amdhsa_system_sgpr_workgroup_id_x 1
		.amdhsa_system_sgpr_workgroup_id_y 0
		.amdhsa_system_sgpr_workgroup_id_z 1
		.amdhsa_system_sgpr_workgroup_info 0
		.amdhsa_system_vgpr_workitem_id 1
		.amdhsa_next_free_vgpr 32
		.amdhsa_next_free_sgpr 18
		.amdhsa_reserve_vcc 1
		.amdhsa_reserve_flat_scratch 0
		.amdhsa_float_round_mode_32 0
		.amdhsa_float_round_mode_16_64 0
		.amdhsa_float_denorm_mode_32 3
		.amdhsa_float_denorm_mode_16_64 3
		.amdhsa_dx10_clamp 1
		.amdhsa_ieee_mode 1
		.amdhsa_fp16_overflow 0
		.amdhsa_workgroup_processor_mode 1
		.amdhsa_memory_ordered 1
		.amdhsa_forward_progress 1
		.amdhsa_shared_vgpr_count 0
		.amdhsa_exception_fp_ieee_invalid_op 0
		.amdhsa_exception_fp_denorm_src 0
		.amdhsa_exception_fp_ieee_div_zero 0
		.amdhsa_exception_fp_ieee_overflow 0
		.amdhsa_exception_fp_ieee_underflow 0
		.amdhsa_exception_fp_ieee_inexact 0
		.amdhsa_exception_int_div_zero 0
	.end_amdhsa_kernel
	.section	.text._ZL9moe_vec_qIN3c104HalfELi256ELi32E10block_q4_KLi2EXadL_ZL17vec_dot_q4_K_q8_1PKvPK10block_q8_1RKiEEEvS4_S4_PT_PS8_iiii,"axG",@progbits,_ZL9moe_vec_qIN3c104HalfELi256ELi32E10block_q4_KLi2EXadL_ZL17vec_dot_q4_K_q8_1PKvPK10block_q8_1RKiEEEvS4_S4_PT_PS8_iiii,comdat
.Lfunc_end263:
	.size	_ZL9moe_vec_qIN3c104HalfELi256ELi32E10block_q4_KLi2EXadL_ZL17vec_dot_q4_K_q8_1PKvPK10block_q8_1RKiEEEvS4_S4_PT_PS8_iiii, .Lfunc_end263-_ZL9moe_vec_qIN3c104HalfELi256ELi32E10block_q4_KLi2EXadL_ZL17vec_dot_q4_K_q8_1PKvPK10block_q8_1RKiEEEvS4_S4_PT_PS8_iiii
                                        ; -- End function
	.set _ZL9moe_vec_qIN3c104HalfELi256ELi32E10block_q4_KLi2EXadL_ZL17vec_dot_q4_K_q8_1PKvPK10block_q8_1RKiEEEvS4_S4_PT_PS8_iiii.num_vgpr, 32
	.set _ZL9moe_vec_qIN3c104HalfELi256ELi32E10block_q4_KLi2EXadL_ZL17vec_dot_q4_K_q8_1PKvPK10block_q8_1RKiEEEvS4_S4_PT_PS8_iiii.num_agpr, 0
	.set _ZL9moe_vec_qIN3c104HalfELi256ELi32E10block_q4_KLi2EXadL_ZL17vec_dot_q4_K_q8_1PKvPK10block_q8_1RKiEEEvS4_S4_PT_PS8_iiii.numbered_sgpr, 18
	.set _ZL9moe_vec_qIN3c104HalfELi256ELi32E10block_q4_KLi2EXadL_ZL17vec_dot_q4_K_q8_1PKvPK10block_q8_1RKiEEEvS4_S4_PT_PS8_iiii.num_named_barrier, 0
	.set _ZL9moe_vec_qIN3c104HalfELi256ELi32E10block_q4_KLi2EXadL_ZL17vec_dot_q4_K_q8_1PKvPK10block_q8_1RKiEEEvS4_S4_PT_PS8_iiii.private_seg_size, 0
	.set _ZL9moe_vec_qIN3c104HalfELi256ELi32E10block_q4_KLi2EXadL_ZL17vec_dot_q4_K_q8_1PKvPK10block_q8_1RKiEEEvS4_S4_PT_PS8_iiii.uses_vcc, 1
	.set _ZL9moe_vec_qIN3c104HalfELi256ELi32E10block_q4_KLi2EXadL_ZL17vec_dot_q4_K_q8_1PKvPK10block_q8_1RKiEEEvS4_S4_PT_PS8_iiii.uses_flat_scratch, 0
	.set _ZL9moe_vec_qIN3c104HalfELi256ELi32E10block_q4_KLi2EXadL_ZL17vec_dot_q4_K_q8_1PKvPK10block_q8_1RKiEEEvS4_S4_PT_PS8_iiii.has_dyn_sized_stack, 0
	.set _ZL9moe_vec_qIN3c104HalfELi256ELi32E10block_q4_KLi2EXadL_ZL17vec_dot_q4_K_q8_1PKvPK10block_q8_1RKiEEEvS4_S4_PT_PS8_iiii.has_recursion, 0
	.set _ZL9moe_vec_qIN3c104HalfELi256ELi32E10block_q4_KLi2EXadL_ZL17vec_dot_q4_K_q8_1PKvPK10block_q8_1RKiEEEvS4_S4_PT_PS8_iiii.has_indirect_call, 0
	.section	.AMDGPU.csdata,"",@progbits
; Kernel info:
; codeLenInByte = 1224
; TotalNumSgprs: 20
; NumVgprs: 32
; ScratchSize: 0
; MemoryBound: 0
; FloatMode: 240
; IeeeMode: 1
; LDSByteSize: 0 bytes/workgroup (compile time only)
; SGPRBlocks: 0
; VGPRBlocks: 3
; NumSGPRsForWavesPerEU: 20
; NumVGPRsForWavesPerEU: 32
; Occupancy: 16
; WaveLimiterHint : 1
; COMPUTE_PGM_RSRC2:SCRATCH_EN: 0
; COMPUTE_PGM_RSRC2:USER_SGPR: 6
; COMPUTE_PGM_RSRC2:TRAP_HANDLER: 0
; COMPUTE_PGM_RSRC2:TGID_X_EN: 1
; COMPUTE_PGM_RSRC2:TGID_Y_EN: 0
; COMPUTE_PGM_RSRC2:TGID_Z_EN: 1
; COMPUTE_PGM_RSRC2:TIDIG_COMP_CNT: 1
	.section	.text._ZL9moe_vec_qIN3c104HalfELi256ELi32E10block_q5_KLi2EXadL_ZL17vec_dot_q5_K_q8_1PKvPK10block_q8_1RKiEEEvS4_S4_PT_PS8_iiii,"axG",@progbits,_ZL9moe_vec_qIN3c104HalfELi256ELi32E10block_q5_KLi2EXadL_ZL17vec_dot_q5_K_q8_1PKvPK10block_q8_1RKiEEEvS4_S4_PT_PS8_iiii,comdat
	.globl	_ZL9moe_vec_qIN3c104HalfELi256ELi32E10block_q5_KLi2EXadL_ZL17vec_dot_q5_K_q8_1PKvPK10block_q8_1RKiEEEvS4_S4_PT_PS8_iiii ; -- Begin function _ZL9moe_vec_qIN3c104HalfELi256ELi32E10block_q5_KLi2EXadL_ZL17vec_dot_q5_K_q8_1PKvPK10block_q8_1RKiEEEvS4_S4_PT_PS8_iiii
	.p2align	8
	.type	_ZL9moe_vec_qIN3c104HalfELi256ELi32E10block_q5_KLi2EXadL_ZL17vec_dot_q5_K_q8_1PKvPK10block_q8_1RKiEEEvS4_S4_PT_PS8_iiii,@function
_ZL9moe_vec_qIN3c104HalfELi256ELi32E10block_q5_KLi2EXadL_ZL17vec_dot_q5_K_q8_1PKvPK10block_q8_1RKiEEEvS4_S4_PT_PS8_iiii: ; @_ZL9moe_vec_qIN3c104HalfELi256ELi32E10block_q5_KLi2EXadL_ZL17vec_dot_q5_K_q8_1PKvPK10block_q8_1RKiEEEvS4_S4_PT_PS8_iiii
; %bb.0:
	s_mov_b32 s8, s7
	s_clause 0x1
	s_load_dword s7, s[4:5], 0x3c
	s_load_dwordx4 s[0:3], s[4:5], 0x20
	s_waitcnt lgkmcnt(0)
	s_lshr_b32 s7, s7, 16
	v_mad_u64_u32 v[1:2], null, s6, s7, v[1:2]
	s_mov_b32 s6, exec_lo
	v_cmpx_gt_u32_e64 s2, v1
	s_cbranch_execz .LBB264_11
; %bb.1:
	s_load_dwordx2 s[10:11], s[4:5], 0x10
	s_ashr_i32 s6, s1, 31
	v_lshrrev_b32_e32 v8, 4, v0
	s_lshr_b32 s6, s6, 24
	v_mov_b32_e32 v9, 0
	s_add_i32 s1, s1, s6
	s_ashr_i32 s12, s1, 8
	s_mov_b32 s1, exec_lo
	v_cmpx_gt_u32_e64 s12, v8
	s_cbranch_execz .LBB264_9
; %bb.2:
	s_load_dwordx2 s[6:7], s[4:5], 0x18
	s_mov_b32 s9, 0
	v_cvt_f32_u32_e32 v2, s0
	s_lshl_b64 s[14:15], s[8:9], 2
	v_and_b32_e32 v4, 3, v0
	v_mul_lo_u32 v10, v1, s12
	v_mov_b32_e32 v9, 0
	v_rcp_iflag_f32_e32 v2, v2
	v_lshlrev_b32_e32 v14, 3, v8
	v_lshlrev_b32_e32 v11, 2, v4
	;; [unrolled: 1-line block ×3, first 2 shown]
	v_mov_b32_e32 v17, 0xffff
	v_mul_f32_e32 v2, 0x4f7ffffe, v2
	s_waitcnt lgkmcnt(0)
	s_add_u32 s6, s6, s14
	s_addc_u32 s7, s7, s15
	v_cvt_u32_f32_e32 v2, v2
	s_load_dword s13, s[6:7], 0x0
	s_load_dwordx4 s[4:7], s[4:5], 0x0
	s_mul_i32 s14, s12, s2
	s_waitcnt lgkmcnt(0)
	s_mul_i32 s13, s14, s13
	v_readfirstlane_b32 s14, v2
	s_mul_i32 s15, s13, 0xb0
	s_mul_hi_i32 s13, s13, 0xb0
	s_add_u32 s4, s4, s15
	s_addc_u32 s5, s5, s13
	s_sub_i32 s13, 0, s0
	v_lshlrev_b32_e32 v2, 1, v0
	s_mul_i32 s13, s13, s14
	s_mov_b32 s15, s9
	s_mul_hi_u32 s13, s14, s13
	s_add_i32 s14, s14, s13
	v_bfe_u32 v5, v2, 3, 2
	s_mul_hi_u32 s13, s8, s14
	v_and_b32_e32 v3, 30, v2
	s_mul_i32 s14, s13, s0
	s_add_i32 s16, s13, 1
	s_sub_i32 s14, s8, s14
	v_lshlrev_b32_e32 v13, 1, v5
	s_sub_i32 s17, s14, s0
	s_cmp_ge_u32 s14, s0
	v_cmp_lt_u32_e32 vcc_lo, 15, v3
	s_cselect_b32 s13, s16, s13
	s_cselect_b32 s14, s17, s14
	s_add_i32 s16, s13, 1
	s_cmp_ge_u32 s14, s0
	v_lshlrev_b32_e32 v12, 5, v5
	s_cselect_b32 s0, s16, s13
	v_lshlrev_b32_e32 v15, 1, v5
	s_mul_i32 s14, s0, s3
	s_lshl_b64 s[14:15], s[14:15], 2
	s_add_u32 s6, s6, s14
	s_addc_u32 s7, s7, s15
	v_mad_u64_u32 v[2:3], null, v13, 36, s[6:7]
	s_branch .LBB264_4
.LBB264_3:                              ;   in Loop: Header=BB264_4 Depth=1
	s_or_b32 exec_lo, exec_lo, s0
	v_mad_i64_i32 v[6:7], null, v14, 36, v[2:3]
	s_waitcnt vmcnt(1)
	v_ashrrev_i32_e32 v21, v13, v21
	v_and_b32_e32 v28, 0xf0f0f0f, v19
	v_mov_b32_e32 v30, 0
	v_lshrrev_b32_e32 v19, 4, v19
	v_mov_b32_e32 v29, 0
	v_mov_b32_e32 v33, 0
	v_add_co_u32 v23, s0, v6, v16
	v_add_co_ci_u32_e64 v24, null, 0, v7, s0
	v_lshlrev_b32_e32 v36, 4, v21
	v_and_b32_e32 v19, 0xf0f0f0f, v19
	v_and_b32_e32 v31, 0xff, v18
	s_clause 0x4
	global_load_dword v25, v[23:24], off offset:20
	global_load_dword v26, v[23:24], off offset:56
	;; [unrolled: 1-line block ×4, first 2 shown]
	global_load_dword v24, v[6:7], off
	global_load_dword v4, v[4:5], off
	global_load_dword v5, v[6:7], off offset:36
	s_waitcnt vmcnt(7)
	v_ashrrev_i32_e32 v7, v13, v22
	v_and_b32_e32 v22, 0xf0f0f0f, v20
	v_lshrrev_b32_e32 v20, 4, v20
	v_mov_b32_e32 v32, 0
	v_lshlrev_b32_e32 v21, 3, v21
	v_lshlrev_b32_e32 v35, 4, v7
	;; [unrolled: 1-line block ×3, first 2 shown]
	v_and_b32_e32 v20, 0xf0f0f0f, v20
	v_and_or_b32 v22, 0x10101010, v36, v22
	v_and_b32_sdwa v6, v17, v18 dst_sel:DWORD dst_unused:UNUSED_PAD src0_sel:DWORD src1_sel:BYTE_1
	v_and_or_b32 v28, 0x10101010, v35, v28
	v_and_or_b32 v7, 0x10101010, v7, v19
	v_bfe_u32 v34, v18, 16, 8
	v_and_or_b32 v19, 0x10101010, v21, v20
	v_lshrrev_b32_e32 v18, 24, v18
	v_add_nc_u32_e32 v8, 2, v8
	v_add_nc_u32_e32 v14, 16, v14
	v_cmp_le_u32_e64 s0, s12, v8
	s_or_b32 s9, s0, s9
	s_waitcnt vmcnt(6)
	v_dot4c_i32_i8 v30, 0x1010101, v25
	v_dot4c_i32_i8 v29, v28, v25
	s_waitcnt vmcnt(5)
	v_dot4c_i32_i8 v33, 0x1010101, v26
	v_dot4c_i32_i8 v32, v7, v26
	;; [unrolled: 3-line block ×4, first 2 shown]
	s_waitcnt vmcnt(1)
	v_cvt_f32_f16_sdwa v20, v4 dst_sel:DWORD dst_unused:UNUSED_PAD src0_sel:WORD_1
	v_mul_lo_u32 v7, v30, v31
	v_mul_lo_u32 v19, v29, v34
	;; [unrolled: 1-line block ×4, first 2 shown]
	v_cvt_f32_i32_e32 v7, v7
	v_cvt_f32_i32_e32 v19, v19
	;; [unrolled: 1-line block ×4, first 2 shown]
	v_fma_mix_f32 v7, v24, v7, 0 op_sel_hi:[1,0,0]
	v_fma_mix_f32 v19, v24, v19, 0 op_sel_hi:[1,0,0]
	s_waitcnt vmcnt(0)
	v_fma_mix_f32 v6, v5, v6, v7 op_sel_hi:[1,0,0]
	v_fma_mix_f32 v5, v5, v18, v19 op_sel_hi:[1,0,0]
	v_mul_f32_e32 v6, v6, v20
	v_fma_mix_f32 v4, v5, v4, -v6 op_sel_hi:[0,1,0]
	v_add_f32_e32 v9, v9, v4
	s_andn2_b32 exec_lo, exec_lo, s9
	s_cbranch_execz .LBB264_8
.LBB264_4:                              ; =>This Inner Loop Header: Depth=1
	v_add_nc_u32_e32 v4, v10, v8
                                        ; implicit-def: $vgpr18
	v_mad_i64_i32 v[4:5], null, 0xb0, v4, s[4:5]
	v_add_co_u32 v6, s0, v4, v12
	v_add_co_ci_u32_e64 v7, null, 0, v5, s0
	v_add_co_u32 v6, s0, v6, v11
	v_add_co_ci_u32_e64 v7, null, 0, v7, s0
	;; [unrolled: 2-line block ×3, first 2 shown]
	s_clause 0x3
	global_load_dword v20, v[6:7], off offset:48
	global_load_dword v19, v[6:7], off offset:64
	;; [unrolled: 1-line block ×4, first 2 shown]
	v_add_co_u32 v6, s0, v4, v15
	v_add_co_ci_u32_e64 v7, null, 0, v5, s0
	s_and_saveexec_b32 s0, vcc_lo
	s_xor_b32 s0, exec_lo, s0
	s_cbranch_execz .LBB264_6
; %bb.5:                                ;   in Loop: Header=BB264_4 Depth=1
	s_clause 0x1
	global_load_ushort v18, v[6:7], off offset:8
	global_load_ushort v23, v[6:7], off offset:4
	s_waitcnt vmcnt(1)
	v_mov_b32_e32 v24, v18
	global_load_short_d16_hi v24, v[6:7], off
	s_waitcnt vmcnt(1)
	v_perm_b32 v6, v18, v23, 0x5040100
	v_pk_lshrrev_b16 v6, 2, v6
	v_and_b32_e32 v6, 0xf0f3030, v6
	s_waitcnt vmcnt(0)
	v_pk_lshrrev_b16 v7, 0x20004, v24
	v_and_or_b32 v18, 0x30300f0f, v7, v6
                                        ; implicit-def: $vgpr6_vgpr7
.LBB264_6:                              ;   in Loop: Header=BB264_4 Depth=1
	s_andn2_saveexec_b32 s0, s0
	s_cbranch_execz .LBB264_3
; %bb.7:                                ;   in Loop: Header=BB264_4 Depth=1
	s_clause 0x1
	global_load_ushort v18, v[6:7], off offset:8
	global_load_short_d16_hi v18, v[6:7], off offset:4
	s_waitcnt vmcnt(0)
	v_and_b32_e32 v18, 0x3f3f3f3f, v18
	s_branch .LBB264_3
.LBB264_8:
	s_or_b32 exec_lo, exec_lo, s9
.LBB264_9:
	s_or_b32 exec_lo, exec_lo, s1
	v_mbcnt_lo_u32_b32 v2, -1, 0
	v_xor_b32_e32 v3, 16, v2
	v_xor_b32_e32 v4, 8, v2
	;; [unrolled: 1-line block ×3, first 2 shown]
	v_cmp_gt_i32_e32 vcc_lo, 32, v3
	v_cndmask_b32_e32 v3, v2, v3, vcc_lo
	v_cmp_gt_i32_e32 vcc_lo, 32, v4
	v_lshlrev_b32_e32 v3, 2, v3
	v_cndmask_b32_e32 v4, v2, v4, vcc_lo
	v_cmp_gt_i32_e32 vcc_lo, 32, v5
	ds_bpermute_b32 v3, v3, v9
	v_lshlrev_b32_e32 v4, 2, v4
	v_cndmask_b32_e32 v5, v2, v5, vcc_lo
	v_lshlrev_b32_e32 v5, 2, v5
	s_waitcnt lgkmcnt(0)
	v_add_f32_e32 v3, v9, v3
	ds_bpermute_b32 v4, v4, v3
	s_waitcnt lgkmcnt(0)
	v_add_f32_e32 v3, v3, v4
	ds_bpermute_b32 v4, v5, v3
	v_xor_b32_e32 v5, 2, v2
	v_cmp_gt_i32_e32 vcc_lo, 32, v5
	v_cndmask_b32_e32 v5, v2, v5, vcc_lo
	v_lshlrev_b32_e32 v5, 2, v5
	s_waitcnt lgkmcnt(0)
	v_add_f32_e32 v3, v3, v4
	ds_bpermute_b32 v4, v5, v3
	v_xor_b32_e32 v5, 1, v2
	v_cmp_gt_i32_e32 vcc_lo, 32, v5
	v_cndmask_b32_e32 v5, v2, v5, vcc_lo
	v_cmp_eq_u32_e32 vcc_lo, 0, v0
	s_waitcnt lgkmcnt(0)
	v_add_f32_e32 v2, v3, v4
	v_lshlrev_b32_e32 v3, 2, v5
	ds_bpermute_b32 v3, v3, v2
	s_and_b32 exec_lo, exec_lo, vcc_lo
	s_cbranch_execz .LBB264_11
; %bb.10:
	v_mad_u64_u32 v[0:1], null, s2, s8, v[1:2]
	v_mov_b32_e32 v1, 0
	s_waitcnt lgkmcnt(0)
	v_add_f32_e32 v2, v2, v3
	v_cvt_f16_f32_e32 v2, v2
	v_lshlrev_b64 v[0:1], 1, v[0:1]
	v_add_co_u32 v0, vcc_lo, s10, v0
	v_add_co_ci_u32_e64 v1, null, s11, v1, vcc_lo
	global_store_short v[0:1], v2, off
.LBB264_11:
	s_endpgm
	.section	.rodata,"a",@progbits
	.p2align	6, 0x0
	.amdhsa_kernel _ZL9moe_vec_qIN3c104HalfELi256ELi32E10block_q5_KLi2EXadL_ZL17vec_dot_q5_K_q8_1PKvPK10block_q8_1RKiEEEvS4_S4_PT_PS8_iiii
		.amdhsa_group_segment_fixed_size 0
		.amdhsa_private_segment_fixed_size 0
		.amdhsa_kernarg_size 304
		.amdhsa_user_sgpr_count 6
		.amdhsa_user_sgpr_private_segment_buffer 1
		.amdhsa_user_sgpr_dispatch_ptr 0
		.amdhsa_user_sgpr_queue_ptr 0
		.amdhsa_user_sgpr_kernarg_segment_ptr 1
		.amdhsa_user_sgpr_dispatch_id 0
		.amdhsa_user_sgpr_flat_scratch_init 0
		.amdhsa_user_sgpr_private_segment_size 0
		.amdhsa_wavefront_size32 1
		.amdhsa_uses_dynamic_stack 0
		.amdhsa_system_sgpr_private_segment_wavefront_offset 0
		.amdhsa_system_sgpr_workgroup_id_x 1
		.amdhsa_system_sgpr_workgroup_id_y 0
		.amdhsa_system_sgpr_workgroup_id_z 1
		.amdhsa_system_sgpr_workgroup_info 0
		.amdhsa_system_vgpr_workitem_id 1
		.amdhsa_next_free_vgpr 37
		.amdhsa_next_free_sgpr 18
		.amdhsa_reserve_vcc 1
		.amdhsa_reserve_flat_scratch 0
		.amdhsa_float_round_mode_32 0
		.amdhsa_float_round_mode_16_64 0
		.amdhsa_float_denorm_mode_32 3
		.amdhsa_float_denorm_mode_16_64 3
		.amdhsa_dx10_clamp 1
		.amdhsa_ieee_mode 1
		.amdhsa_fp16_overflow 0
		.amdhsa_workgroup_processor_mode 1
		.amdhsa_memory_ordered 1
		.amdhsa_forward_progress 1
		.amdhsa_shared_vgpr_count 0
		.amdhsa_exception_fp_ieee_invalid_op 0
		.amdhsa_exception_fp_denorm_src 0
		.amdhsa_exception_fp_ieee_div_zero 0
		.amdhsa_exception_fp_ieee_overflow 0
		.amdhsa_exception_fp_ieee_underflow 0
		.amdhsa_exception_fp_ieee_inexact 0
		.amdhsa_exception_int_div_zero 0
	.end_amdhsa_kernel
	.section	.text._ZL9moe_vec_qIN3c104HalfELi256ELi32E10block_q5_KLi2EXadL_ZL17vec_dot_q5_K_q8_1PKvPK10block_q8_1RKiEEEvS4_S4_PT_PS8_iiii,"axG",@progbits,_ZL9moe_vec_qIN3c104HalfELi256ELi32E10block_q5_KLi2EXadL_ZL17vec_dot_q5_K_q8_1PKvPK10block_q8_1RKiEEEvS4_S4_PT_PS8_iiii,comdat
.Lfunc_end264:
	.size	_ZL9moe_vec_qIN3c104HalfELi256ELi32E10block_q5_KLi2EXadL_ZL17vec_dot_q5_K_q8_1PKvPK10block_q8_1RKiEEEvS4_S4_PT_PS8_iiii, .Lfunc_end264-_ZL9moe_vec_qIN3c104HalfELi256ELi32E10block_q5_KLi2EXadL_ZL17vec_dot_q5_K_q8_1PKvPK10block_q8_1RKiEEEvS4_S4_PT_PS8_iiii
                                        ; -- End function
	.set _ZL9moe_vec_qIN3c104HalfELi256ELi32E10block_q5_KLi2EXadL_ZL17vec_dot_q5_K_q8_1PKvPK10block_q8_1RKiEEEvS4_S4_PT_PS8_iiii.num_vgpr, 37
	.set _ZL9moe_vec_qIN3c104HalfELi256ELi32E10block_q5_KLi2EXadL_ZL17vec_dot_q5_K_q8_1PKvPK10block_q8_1RKiEEEvS4_S4_PT_PS8_iiii.num_agpr, 0
	.set _ZL9moe_vec_qIN3c104HalfELi256ELi32E10block_q5_KLi2EXadL_ZL17vec_dot_q5_K_q8_1PKvPK10block_q8_1RKiEEEvS4_S4_PT_PS8_iiii.numbered_sgpr, 18
	.set _ZL9moe_vec_qIN3c104HalfELi256ELi32E10block_q5_KLi2EXadL_ZL17vec_dot_q5_K_q8_1PKvPK10block_q8_1RKiEEEvS4_S4_PT_PS8_iiii.num_named_barrier, 0
	.set _ZL9moe_vec_qIN3c104HalfELi256ELi32E10block_q5_KLi2EXadL_ZL17vec_dot_q5_K_q8_1PKvPK10block_q8_1RKiEEEvS4_S4_PT_PS8_iiii.private_seg_size, 0
	.set _ZL9moe_vec_qIN3c104HalfELi256ELi32E10block_q5_KLi2EXadL_ZL17vec_dot_q5_K_q8_1PKvPK10block_q8_1RKiEEEvS4_S4_PT_PS8_iiii.uses_vcc, 1
	.set _ZL9moe_vec_qIN3c104HalfELi256ELi32E10block_q5_KLi2EXadL_ZL17vec_dot_q5_K_q8_1PKvPK10block_q8_1RKiEEEvS4_S4_PT_PS8_iiii.uses_flat_scratch, 0
	.set _ZL9moe_vec_qIN3c104HalfELi256ELi32E10block_q5_KLi2EXadL_ZL17vec_dot_q5_K_q8_1PKvPK10block_q8_1RKiEEEvS4_S4_PT_PS8_iiii.has_dyn_sized_stack, 0
	.set _ZL9moe_vec_qIN3c104HalfELi256ELi32E10block_q5_KLi2EXadL_ZL17vec_dot_q5_K_q8_1PKvPK10block_q8_1RKiEEEvS4_S4_PT_PS8_iiii.has_recursion, 0
	.set _ZL9moe_vec_qIN3c104HalfELi256ELi32E10block_q5_KLi2EXadL_ZL17vec_dot_q5_K_q8_1PKvPK10block_q8_1RKiEEEvS4_S4_PT_PS8_iiii.has_indirect_call, 0
	.section	.AMDGPU.csdata,"",@progbits
; Kernel info:
; codeLenInByte = 1332
; TotalNumSgprs: 20
; NumVgprs: 37
; ScratchSize: 0
; MemoryBound: 0
; FloatMode: 240
; IeeeMode: 1
; LDSByteSize: 0 bytes/workgroup (compile time only)
; SGPRBlocks: 0
; VGPRBlocks: 4
; NumSGPRsForWavesPerEU: 20
; NumVGPRsForWavesPerEU: 37
; Occupancy: 16
; WaveLimiterHint : 1
; COMPUTE_PGM_RSRC2:SCRATCH_EN: 0
; COMPUTE_PGM_RSRC2:USER_SGPR: 6
; COMPUTE_PGM_RSRC2:TRAP_HANDLER: 0
; COMPUTE_PGM_RSRC2:TGID_X_EN: 1
; COMPUTE_PGM_RSRC2:TGID_Y_EN: 0
; COMPUTE_PGM_RSRC2:TGID_Z_EN: 1
; COMPUTE_PGM_RSRC2:TIDIG_COMP_CNT: 1
	.section	.text._ZL9moe_vec_qIN3c104HalfELi256ELi32E10block_q6_KLi1EXadL_ZL17vec_dot_q6_K_q8_1PKvPK10block_q8_1RKiEEEvS4_S4_PT_PS8_iiii,"axG",@progbits,_ZL9moe_vec_qIN3c104HalfELi256ELi32E10block_q6_KLi1EXadL_ZL17vec_dot_q6_K_q8_1PKvPK10block_q8_1RKiEEEvS4_S4_PT_PS8_iiii,comdat
	.globl	_ZL9moe_vec_qIN3c104HalfELi256ELi32E10block_q6_KLi1EXadL_ZL17vec_dot_q6_K_q8_1PKvPK10block_q8_1RKiEEEvS4_S4_PT_PS8_iiii ; -- Begin function _ZL9moe_vec_qIN3c104HalfELi256ELi32E10block_q6_KLi1EXadL_ZL17vec_dot_q6_K_q8_1PKvPK10block_q8_1RKiEEEvS4_S4_PT_PS8_iiii
	.p2align	8
	.type	_ZL9moe_vec_qIN3c104HalfELi256ELi32E10block_q6_KLi1EXadL_ZL17vec_dot_q6_K_q8_1PKvPK10block_q8_1RKiEEEvS4_S4_PT_PS8_iiii,@function
_ZL9moe_vec_qIN3c104HalfELi256ELi32E10block_q6_KLi1EXadL_ZL17vec_dot_q6_K_q8_1PKvPK10block_q8_1RKiEEEvS4_S4_PT_PS8_iiii: ; @_ZL9moe_vec_qIN3c104HalfELi256ELi32E10block_q6_KLi1EXadL_ZL17vec_dot_q6_K_q8_1PKvPK10block_q8_1RKiEEEvS4_S4_PT_PS8_iiii
; %bb.0:
	s_mov_b32 s8, s7
	s_clause 0x1
	s_load_dword s7, s[4:5], 0x3c
	s_load_dwordx4 s[0:3], s[4:5], 0x20
	s_waitcnt lgkmcnt(0)
	s_lshr_b32 s7, s7, 16
	v_mad_u64_u32 v[1:2], null, s6, s7, v[1:2]
	s_mov_b32 s6, exec_lo
	v_cmpx_gt_u32_e64 s2, v1
	s_cbranch_execz .LBB265_7
; %bb.1:
	s_load_dwordx2 s[10:11], s[4:5], 0x10
	s_ashr_i32 s6, s1, 31
	v_lshrrev_b32_e32 v4, 5, v0
	s_lshr_b32 s6, s6, 24
	v_mov_b32_e32 v6, 0
	s_add_i32 s1, s1, s6
	s_ashr_i32 s12, s1, 8
	s_mov_b32 s1, exec_lo
	v_cmpx_gt_u32_e64 s12, v4
	s_cbranch_execz .LBB265_5
; %bb.2:
	s_load_dwordx2 s[6:7], s[4:5], 0x18
	s_mov_b32 s9, 0
	v_cvt_f32_u32_e32 v2, s0
	s_lshl_b64 s[14:15], s[8:9], 2
	v_and_b32_e32 v9, 7, v0
	v_mul_lo_u32 v5, v1, s12
	v_mov_b32_e32 v6, 0
	v_rcp_iflag_f32_e32 v2, v2
	v_mul_f32_e32 v2, 0x4f7ffffe, v2
	s_waitcnt lgkmcnt(0)
	s_add_u32 s6, s6, s14
	s_addc_u32 s7, s7, s15
	v_cvt_u32_f32_e32 v2, v2
	s_load_dword s13, s[6:7], 0x0
	s_load_dwordx4 s[4:7], s[4:5], 0x0
	s_mul_i32 s14, s12, s2
	s_waitcnt lgkmcnt(0)
	s_mul_i32 s13, s14, s13
	v_readfirstlane_b32 s14, v2
	s_mul_i32 s15, s13, 0xd2
	s_mul_hi_i32 s13, s13, 0xd2
	s_add_u32 s4, s4, s15
	s_addc_u32 s5, s5, s13
	s_sub_i32 s13, 0, s0
	v_and_b32_e32 v2, 31, v0
	s_mul_i32 s13, s13, s14
	s_mov_b32 s15, s9
	s_mul_hi_u32 s13, s14, s13
	s_add_i32 s14, s14, s13
	v_add_nc_u32_e32 v3, 0xf0, v2
	s_mul_hi_u32 s13, s8, s14
	v_cmp_lt_u32_e32 vcc_lo, 15, v2
	s_mul_i32 s14, s13, s0
	s_add_i32 s16, s13, 1
	s_sub_i32 s14, s8, s14
	v_lshlrev_b32_e32 v7, 2, v2
	s_sub_i32 s17, s14, s0
	s_cmp_ge_u32 s14, s0
	v_cndmask_b32_e64 v11, 0, 8, vcc_lo
	s_cselect_b32 s13, s16, s13
	s_cselect_b32 s14, s17, s14
	s_add_i32 s16, s13, 1
	s_cmp_ge_u32 s14, s0
	v_cmp_gt_u32_e64 s0, 16, v2
	v_or_b32_e32 v12, v11, v9
	v_lshlrev_b32_e32 v9, 2, v9
	v_cndmask_b32_e64 v10, v3, v2, s0
	s_cselect_b32 s0, s16, s13
	v_cndmask_b32_e64 v2, 0, 4, vcc_lo
	s_mul_i32 s14, s0, s3
	v_and_b32_e32 v8, 0xf8, v10
	s_lshl_b64 s[14:15], s[14:15], 2
	s_add_u32 s6, s6, s14
	s_addc_u32 s7, s7, s15
	v_cmp_ne_u32_e32 vcc_lo, 0, v8
	v_mad_u64_u32 v[2:3], null, v2, 36, s[6:7]
	v_lshlrev_b32_e32 v8, 2, v12
	v_bfe_u32 v12, v10, 2, 6
	v_cndmask_b32_e64 v13, 0, 1, vcc_lo
	v_cndmask_b32_e64 v10, 0, 2, vcc_lo
	v_add_nc_u32_e32 v11, v12, v11
	v_mad_u64_u32 v[2:3], null, v13, 36, v[2:3]
	v_lshlrev_b32_e32 v12, 3, v4
.LBB265_3:                              ; =>This Inner Loop Header: Depth=1
	v_add_nc_u32_e32 v13, v5, v4
	v_add_nc_u32_e32 v4, 1, v4
	v_mad_i64_i32 v[13:14], null, 0xd2, v13, s[4:5]
	v_add_co_u32 v15, vcc_lo, v13, v8
	v_add_co_ci_u32_e64 v16, null, 0, v14, vcc_lo
	v_add_co_u32 v17, vcc_lo, v13, v7
	v_add_co_ci_u32_e64 v18, null, 0, v14, vcc_lo
	s_clause 0x1
	global_load_dword v21, v[15:16], off offset:128
	global_load_dword v22, v[17:18], off
	v_mad_i64_i32 v[15:16], null, v12, 36, v[2:3]
	v_add_nc_u32_e32 v12, 8, v12
	v_add_co_u32 v17, vcc_lo, v15, v9
	v_add_co_ci_u32_e64 v18, null, 0, v16, vcc_lo
	v_add_co_u32 v19, vcc_lo, v13, v11
	v_add_co_ci_u32_e64 v20, null, 0, v14, vcc_lo
	s_clause 0x1
	global_load_dword v23, v[17:18], off offset:4
	global_load_dword v17, v[17:18], off offset:76
	s_clause 0x1
	global_load_sbyte v18, v[19:20], off offset:192
	global_load_sbyte v19, v[19:20], off offset:196
	s_clause 0x1
	global_load_dword v20, v[15:16], off
	global_load_dword v15, v[15:16], off offset:72
	global_load_ushort v13, v[13:14], off offset:208
	v_cmp_le_u32_e32 vcc_lo, s12, v4
	s_or_b32 s9, vcc_lo, s9
	s_waitcnt vmcnt(8)
	v_ashrrev_i32_e32 v14, v10, v21
	s_waitcnt vmcnt(7)
	v_and_b32_e32 v16, 0xf0f0f0f, v22
	v_lshrrev_b32_e32 v21, 4, v22
	v_lshlrev_b32_e32 v22, 4, v14
	v_and_b32_e32 v21, 0xf0f0f0f, v21
	v_and_or_b32 v16, 0x30303030, v22, v16
	v_and_or_b32 v14, 0x30303030, v14, v21
	v_lshrrev_b32_e32 v21, 16, v16
	v_and_b32_e32 v25, 0x3f00, v16
	v_lshrrev_b32_e32 v22, 16, v14
	v_lshlrev_b16 v16, 8, v16
	v_lshlrev_b16 v27, 8, v14
	;; [unrolled: 1-line block ×3, first 2 shown]
	v_and_b32_e32 v21, 0x3f00, v21
	v_lshlrev_b16 v26, 8, v22
	v_add_nc_u16 v16, 0xe000, v16
	v_and_b32_e32 v22, 0x3f00, v22
	v_add_nc_u16 v24, 0xe000, v24
	v_and_b32_e32 v14, 0x3f00, v14
	v_add_nc_u16 v26, 0xe000, v26
	v_or_b32_sdwa v16, v25, v16 dst_sel:DWORD dst_unused:UNUSED_PAD src0_sel:DWORD src1_sel:BYTE_1
	v_or_b32_sdwa v21, v21, v24 dst_sel:DWORD dst_unused:UNUSED_PAD src0_sel:DWORD src1_sel:BYTE_1
	v_add_nc_u16 v24, 0xe000, v27
	v_or_b32_sdwa v22, v22, v26 dst_sel:DWORD dst_unused:UNUSED_PAD src0_sel:DWORD src1_sel:BYTE_1
	v_add_nc_u16 v16, 0xe000, v16
	v_add_nc_u16 v21, 0xe000, v21
	v_or_b32_sdwa v14, v14, v24 dst_sel:DWORD dst_unused:UNUSED_PAD src0_sel:DWORD src1_sel:BYTE_1
	v_add_nc_u16 v22, 0xe000, v22
	v_mov_b32_e32 v24, 0
	v_lshlrev_b32_e32 v21, 16, v21
	v_add_nc_u16 v14, 0xe000, v14
	v_lshlrev_b32_e32 v22, 16, v22
	v_or_b32_sdwa v16, v16, v21 dst_sel:DWORD dst_unused:UNUSED_PAD src0_sel:WORD_0 src1_sel:DWORD
	v_mov_b32_e32 v21, 0
	v_or_b32_sdwa v14, v14, v22 dst_sel:DWORD dst_unused:UNUSED_PAD src0_sel:WORD_0 src1_sel:DWORD
	s_waitcnt vmcnt(6)
	v_dot4c_i32_i8 v24, v16, v23
	s_waitcnt vmcnt(5)
	v_dot4c_i32_i8 v21, v14, v17
	s_waitcnt vmcnt(4)
	v_mul_lo_u32 v14, v24, v18
	s_waitcnt vmcnt(3)
	v_mul_lo_u32 v16, v21, v19
	v_cvt_f32_i32_e32 v14, v14
	v_cvt_f32_i32_e32 v16, v16
	s_waitcnt vmcnt(2)
	v_fma_mix_f32 v14, v20, v14, 0 op_sel_hi:[1,0,0]
	s_waitcnt vmcnt(1)
	v_fma_mix_f32 v14, v15, v16, v14 op_sel_hi:[1,0,0]
	;; [unrolled: 2-line block ×3, first 2 shown]
	s_andn2_b32 exec_lo, exec_lo, s9
	s_cbranch_execnz .LBB265_3
; %bb.4:
	s_or_b32 exec_lo, exec_lo, s9
.LBB265_5:
	s_or_b32 exec_lo, exec_lo, s1
	v_mbcnt_lo_u32_b32 v2, -1, 0
	v_xor_b32_e32 v3, 16, v2
	v_xor_b32_e32 v4, 8, v2
	;; [unrolled: 1-line block ×3, first 2 shown]
	v_cmp_gt_i32_e32 vcc_lo, 32, v3
	v_cndmask_b32_e32 v3, v2, v3, vcc_lo
	v_cmp_gt_i32_e32 vcc_lo, 32, v4
	v_lshlrev_b32_e32 v3, 2, v3
	v_cndmask_b32_e32 v4, v2, v4, vcc_lo
	v_cmp_gt_i32_e32 vcc_lo, 32, v5
	ds_bpermute_b32 v3, v3, v6
	v_lshlrev_b32_e32 v4, 2, v4
	v_cndmask_b32_e32 v5, v2, v5, vcc_lo
	v_lshlrev_b32_e32 v5, 2, v5
	s_waitcnt lgkmcnt(0)
	v_add_f32_e32 v3, v6, v3
	ds_bpermute_b32 v4, v4, v3
	s_waitcnt lgkmcnt(0)
	v_add_f32_e32 v3, v3, v4
	ds_bpermute_b32 v4, v5, v3
	v_xor_b32_e32 v5, 2, v2
	v_cmp_gt_i32_e32 vcc_lo, 32, v5
	v_cndmask_b32_e32 v5, v2, v5, vcc_lo
	v_lshlrev_b32_e32 v5, 2, v5
	s_waitcnt lgkmcnt(0)
	v_add_f32_e32 v3, v3, v4
	ds_bpermute_b32 v4, v5, v3
	v_xor_b32_e32 v5, 1, v2
	v_cmp_gt_i32_e32 vcc_lo, 32, v5
	v_cndmask_b32_e32 v5, v2, v5, vcc_lo
	v_cmp_eq_u32_e32 vcc_lo, 0, v0
	s_waitcnt lgkmcnt(0)
	v_add_f32_e32 v2, v3, v4
	v_lshlrev_b32_e32 v3, 2, v5
	ds_bpermute_b32 v3, v3, v2
	s_and_b32 exec_lo, exec_lo, vcc_lo
	s_cbranch_execz .LBB265_7
; %bb.6:
	v_mad_u64_u32 v[0:1], null, s2, s8, v[1:2]
	v_mov_b32_e32 v1, 0
	s_waitcnt lgkmcnt(0)
	v_add_f32_e32 v2, v2, v3
	v_cvt_f16_f32_e32 v2, v2
	v_lshlrev_b64 v[0:1], 1, v[0:1]
	v_add_co_u32 v0, vcc_lo, s10, v0
	v_add_co_ci_u32_e64 v1, null, s11, v1, vcc_lo
	global_store_short v[0:1], v2, off
.LBB265_7:
	s_endpgm
	.section	.rodata,"a",@progbits
	.p2align	6, 0x0
	.amdhsa_kernel _ZL9moe_vec_qIN3c104HalfELi256ELi32E10block_q6_KLi1EXadL_ZL17vec_dot_q6_K_q8_1PKvPK10block_q8_1RKiEEEvS4_S4_PT_PS8_iiii
		.amdhsa_group_segment_fixed_size 0
		.amdhsa_private_segment_fixed_size 0
		.amdhsa_kernarg_size 304
		.amdhsa_user_sgpr_count 6
		.amdhsa_user_sgpr_private_segment_buffer 1
		.amdhsa_user_sgpr_dispatch_ptr 0
		.amdhsa_user_sgpr_queue_ptr 0
		.amdhsa_user_sgpr_kernarg_segment_ptr 1
		.amdhsa_user_sgpr_dispatch_id 0
		.amdhsa_user_sgpr_flat_scratch_init 0
		.amdhsa_user_sgpr_private_segment_size 0
		.amdhsa_wavefront_size32 1
		.amdhsa_uses_dynamic_stack 0
		.amdhsa_system_sgpr_private_segment_wavefront_offset 0
		.amdhsa_system_sgpr_workgroup_id_x 1
		.amdhsa_system_sgpr_workgroup_id_y 0
		.amdhsa_system_sgpr_workgroup_id_z 1
		.amdhsa_system_sgpr_workgroup_info 0
		.amdhsa_system_vgpr_workitem_id 1
		.amdhsa_next_free_vgpr 28
		.amdhsa_next_free_sgpr 18
		.amdhsa_reserve_vcc 1
		.amdhsa_reserve_flat_scratch 0
		.amdhsa_float_round_mode_32 0
		.amdhsa_float_round_mode_16_64 0
		.amdhsa_float_denorm_mode_32 3
		.amdhsa_float_denorm_mode_16_64 3
		.amdhsa_dx10_clamp 1
		.amdhsa_ieee_mode 1
		.amdhsa_fp16_overflow 0
		.amdhsa_workgroup_processor_mode 1
		.amdhsa_memory_ordered 1
		.amdhsa_forward_progress 1
		.amdhsa_shared_vgpr_count 0
		.amdhsa_exception_fp_ieee_invalid_op 0
		.amdhsa_exception_fp_denorm_src 0
		.amdhsa_exception_fp_ieee_div_zero 0
		.amdhsa_exception_fp_ieee_overflow 0
		.amdhsa_exception_fp_ieee_underflow 0
		.amdhsa_exception_fp_ieee_inexact 0
		.amdhsa_exception_int_div_zero 0
	.end_amdhsa_kernel
	.section	.text._ZL9moe_vec_qIN3c104HalfELi256ELi32E10block_q6_KLi1EXadL_ZL17vec_dot_q6_K_q8_1PKvPK10block_q8_1RKiEEEvS4_S4_PT_PS8_iiii,"axG",@progbits,_ZL9moe_vec_qIN3c104HalfELi256ELi32E10block_q6_KLi1EXadL_ZL17vec_dot_q6_K_q8_1PKvPK10block_q8_1RKiEEEvS4_S4_PT_PS8_iiii,comdat
.Lfunc_end265:
	.size	_ZL9moe_vec_qIN3c104HalfELi256ELi32E10block_q6_KLi1EXadL_ZL17vec_dot_q6_K_q8_1PKvPK10block_q8_1RKiEEEvS4_S4_PT_PS8_iiii, .Lfunc_end265-_ZL9moe_vec_qIN3c104HalfELi256ELi32E10block_q6_KLi1EXadL_ZL17vec_dot_q6_K_q8_1PKvPK10block_q8_1RKiEEEvS4_S4_PT_PS8_iiii
                                        ; -- End function
	.set _ZL9moe_vec_qIN3c104HalfELi256ELi32E10block_q6_KLi1EXadL_ZL17vec_dot_q6_K_q8_1PKvPK10block_q8_1RKiEEEvS4_S4_PT_PS8_iiii.num_vgpr, 28
	.set _ZL9moe_vec_qIN3c104HalfELi256ELi32E10block_q6_KLi1EXadL_ZL17vec_dot_q6_K_q8_1PKvPK10block_q8_1RKiEEEvS4_S4_PT_PS8_iiii.num_agpr, 0
	.set _ZL9moe_vec_qIN3c104HalfELi256ELi32E10block_q6_KLi1EXadL_ZL17vec_dot_q6_K_q8_1PKvPK10block_q8_1RKiEEEvS4_S4_PT_PS8_iiii.numbered_sgpr, 18
	.set _ZL9moe_vec_qIN3c104HalfELi256ELi32E10block_q6_KLi1EXadL_ZL17vec_dot_q6_K_q8_1PKvPK10block_q8_1RKiEEEvS4_S4_PT_PS8_iiii.num_named_barrier, 0
	.set _ZL9moe_vec_qIN3c104HalfELi256ELi32E10block_q6_KLi1EXadL_ZL17vec_dot_q6_K_q8_1PKvPK10block_q8_1RKiEEEvS4_S4_PT_PS8_iiii.private_seg_size, 0
	.set _ZL9moe_vec_qIN3c104HalfELi256ELi32E10block_q6_KLi1EXadL_ZL17vec_dot_q6_K_q8_1PKvPK10block_q8_1RKiEEEvS4_S4_PT_PS8_iiii.uses_vcc, 1
	.set _ZL9moe_vec_qIN3c104HalfELi256ELi32E10block_q6_KLi1EXadL_ZL17vec_dot_q6_K_q8_1PKvPK10block_q8_1RKiEEEvS4_S4_PT_PS8_iiii.uses_flat_scratch, 0
	.set _ZL9moe_vec_qIN3c104HalfELi256ELi32E10block_q6_KLi1EXadL_ZL17vec_dot_q6_K_q8_1PKvPK10block_q8_1RKiEEEvS4_S4_PT_PS8_iiii.has_dyn_sized_stack, 0
	.set _ZL9moe_vec_qIN3c104HalfELi256ELi32E10block_q6_KLi1EXadL_ZL17vec_dot_q6_K_q8_1PKvPK10block_q8_1RKiEEEvS4_S4_PT_PS8_iiii.has_recursion, 0
	.set _ZL9moe_vec_qIN3c104HalfELi256ELi32E10block_q6_KLi1EXadL_ZL17vec_dot_q6_K_q8_1PKvPK10block_q8_1RKiEEEvS4_S4_PT_PS8_iiii.has_indirect_call, 0
	.section	.AMDGPU.csdata,"",@progbits
; Kernel info:
; codeLenInByte = 1244
; TotalNumSgprs: 20
; NumVgprs: 28
; ScratchSize: 0
; MemoryBound: 0
; FloatMode: 240
; IeeeMode: 1
; LDSByteSize: 0 bytes/workgroup (compile time only)
; SGPRBlocks: 0
; VGPRBlocks: 3
; NumSGPRsForWavesPerEU: 20
; NumVGPRsForWavesPerEU: 28
; Occupancy: 16
; WaveLimiterHint : 1
; COMPUTE_PGM_RSRC2:SCRATCH_EN: 0
; COMPUTE_PGM_RSRC2:USER_SGPR: 6
; COMPUTE_PGM_RSRC2:TRAP_HANDLER: 0
; COMPUTE_PGM_RSRC2:TGID_X_EN: 1
; COMPUTE_PGM_RSRC2:TGID_Y_EN: 0
; COMPUTE_PGM_RSRC2:TGID_Z_EN: 1
; COMPUTE_PGM_RSRC2:TIDIG_COMP_CNT: 1
	.section	.text._ZL9moe_vec_qIN3c104HalfELi256ELi8E13block_iq2_xxsLi1EXadL_ZL20vec_dot_iq2_xxs_q8_1PKvPK10block_q8_1RKiEEEvS4_S4_PT_PS8_iiii,"axG",@progbits,_ZL9moe_vec_qIN3c104HalfELi256ELi8E13block_iq2_xxsLi1EXadL_ZL20vec_dot_iq2_xxs_q8_1PKvPK10block_q8_1RKiEEEvS4_S4_PT_PS8_iiii,comdat
	.globl	_ZL9moe_vec_qIN3c104HalfELi256ELi8E13block_iq2_xxsLi1EXadL_ZL20vec_dot_iq2_xxs_q8_1PKvPK10block_q8_1RKiEEEvS4_S4_PT_PS8_iiii ; -- Begin function _ZL9moe_vec_qIN3c104HalfELi256ELi8E13block_iq2_xxsLi1EXadL_ZL20vec_dot_iq2_xxs_q8_1PKvPK10block_q8_1RKiEEEvS4_S4_PT_PS8_iiii
	.p2align	8
	.type	_ZL9moe_vec_qIN3c104HalfELi256ELi8E13block_iq2_xxsLi1EXadL_ZL20vec_dot_iq2_xxs_q8_1PKvPK10block_q8_1RKiEEEvS4_S4_PT_PS8_iiii,@function
_ZL9moe_vec_qIN3c104HalfELi256ELi8E13block_iq2_xxsLi1EXadL_ZL20vec_dot_iq2_xxs_q8_1PKvPK10block_q8_1RKiEEEvS4_S4_PT_PS8_iiii: ; @_ZL9moe_vec_qIN3c104HalfELi256ELi8E13block_iq2_xxsLi1EXadL_ZL20vec_dot_iq2_xxs_q8_1PKvPK10block_q8_1RKiEEEvS4_S4_PT_PS8_iiii
; %bb.0:
	s_clause 0x1
	s_load_dword s0, s[4:5], 0x3c
	s_load_dwordx4 s[8:11], s[4:5], 0x20
	s_waitcnt lgkmcnt(0)
	s_lshr_b32 s0, s0, 16
	v_mad_u64_u32 v[1:2], null, s6, s0, v[1:2]
	s_mov_b32 s0, exec_lo
	v_cmpx_gt_u32_e64 s10, v1
	s_cbranch_execz .LBB266_7
; %bb.1:
	s_load_dwordx2 s[14:15], s[4:5], 0x10
	s_ashr_i32 s0, s9, 31
	v_lshrrev_b32_e32 v4, 3, v0
	s_lshr_b32 s0, s0, 24
	v_mov_b32_e32 v5, 0
	s_add_i32 s0, s9, s0
	s_mov_b32 s12, s7
	s_ashr_i32 s18, s0, 8
	s_mov_b32 s9, exec_lo
	v_cmpx_gt_u32_e64 s18, v4
	s_cbranch_execz .LBB266_5
; %bb.2:
	s_load_dwordx2 s[0:1], s[4:5], 0x18
	s_mov_b32 s13, 0
	v_cvt_f32_u32_e32 v2, s8
	s_lshl_b64 s[2:3], s[12:13], 2
	v_mul_lo_u32 v6, v1, s18
	v_mov_b32_e32 v5, 0
	v_lshlrev_b32_e32 v7, 3, v4
	v_rcp_iflag_f32_e32 v2, v2
	v_mov_b32_e32 v9, 3
	v_mul_f32_e32 v2, 0x4f7ffffe, v2
	s_waitcnt lgkmcnt(0)
	s_add_u32 s0, s0, s2
	s_addc_u32 s1, s1, s3
	v_cvt_u32_f32_e32 v2, v2
	s_load_dword s6, s[0:1], 0x0
	s_load_dwordx4 s[0:3], s[4:5], 0x0
	s_mul_i32 s4, s18, s10
	v_readfirstlane_b32 s5, v2
	v_and_b32_e32 v2, 7, v0
	v_lshlrev_b32_e32 v8, 2, v2
	v_lshlrev_b32_e32 v8, 1, v8
	s_waitcnt lgkmcnt(0)
	s_mul_i32 s4, s4, s6
	s_mul_i32 s6, s4, 0x42
	s_mul_hi_i32 s4, s4, 0x42
	s_add_u32 s16, s0, s6
	s_addc_u32 s17, s1, s4
	s_sub_i32 s0, 0, s8
	s_mul_i32 s0, s0, s5
	s_mul_hi_u32 s0, s5, s0
	s_add_i32 s5, s5, s0
	s_mul_hi_u32 s0, s12, s5
	s_mul_i32 s1, s0, s8
	s_add_i32 s4, s0, 1
	s_sub_i32 s1, s12, s1
	s_sub_i32 s5, s1, s8
	s_cmp_ge_u32 s1, s8
	s_cselect_b32 s0, s4, s0
	s_cselect_b32 s1, s5, s1
	s_add_i32 s4, s0, 1
	s_cmp_ge_u32 s1, s8
	s_mov_b32 s1, s13
	s_cselect_b32 s0, s4, s0
	s_mul_i32 s0, s0, s11
	s_lshl_b64 s[0:1], s[0:1], 2
	s_add_u32 s0, s2, s0
	s_addc_u32 s1, s3, s1
	v_mad_u64_u32 v[2:3], null, v2, 36, s[0:1]
.LBB266_3:                              ; =>This Inner Loop Header: Depth=1
	v_add_nc_u32_e32 v10, v6, v4
	v_mad_i64_i32 v[20:21], null, v7, 36, v[2:3]
	s_getpc_b64 s[0:1]
	s_add_u32 s0, s0, _ZL11iq2xxs_grid@rel32@lo+4
	s_addc_u32 s1, s1, _ZL11iq2xxs_grid@rel32@hi+12
	s_getpc_b64 s[2:3]
	s_add_u32 s2, s2, _ZL12ksigns_iq2xs@rel32@lo+4
	s_addc_u32 s3, s3, _ZL12ksigns_iq2xs@rel32@hi+12
	v_mad_i64_i32 v[18:19], null, 0x42, v10, s[16:17]
	v_add_nc_u32_e32 v4, 4, v4
	v_add_nc_u32_e32 v7, 32, v7
	v_add_co_u32 v10, vcc_lo, v18, v8
	v_add_co_ci_u32_e64 v11, null, 0, v19, vcc_lo
	s_clause 0x1
	global_load_dword v22, v[10:11], off offset:2
	global_load_dword v28, v[10:11], off offset:6
	s_clause 0x1
	global_load_dwordx4 v[10:13], v[20:21], off offset:4
	global_load_dwordx4 v[14:17], v[20:21], off offset:20
	global_load_ushort v29, v[18:19], off
	s_waitcnt vmcnt(4)
	v_lshlrev_b32_sdwa v18, v9, v22 dst_sel:DWORD dst_unused:UNUSED_PAD src0_sel:DWORD src1_sel:BYTE_0
	s_waitcnt vmcnt(3)
	v_and_b32_e32 v30, 0x7f, v28
	v_bfe_u32 v31, v28, 7, 7
	v_lshlrev_b32_sdwa v23, v9, v22 dst_sel:DWORD dst_unused:UNUSED_PAD src0_sel:DWORD src1_sel:BYTE_1
	v_lshlrev_b32_sdwa v24, v9, v22 dst_sel:DWORD dst_unused:UNUSED_PAD src0_sel:DWORD src1_sel:BYTE_2
	v_bfe_u32 v32, v28, 14, 7
	v_lshlrev_b32_sdwa v26, v9, v22 dst_sel:DWORD dst_unused:UNUSED_PAD src0_sel:DWORD src1_sel:BYTE_3
	v_bfe_u32 v33, v28, 21, 7
	global_load_sbyte v34, v30, s[2:3]
	global_load_dwordx2 v[18:19], v18, s[0:1]
	global_load_sbyte v35, v31, s[2:3]
	global_load_dwordx2 v[22:23], v23, s[0:1]
	;; [unrolled: 2-line block ×4, first 2 shown]
	global_load_ushort v20, v[20:21], off
	v_lshrrev_b32_e32 v21, 28, v28
	s_waitcnt vmcnt(9)
	v_cvt_f32_f16_e32 v28, v29
	v_cvt_f32_ubyte0_e32 v21, v21
	v_add_f32_e32 v21, 0.5, v21
	v_mul_f32_e32 v21, v21, v28
	s_waitcnt vmcnt(8)
	v_and_b32_e32 v29, 1, v34
	s_waitcnt vmcnt(7)
	v_mul_i32_i24_sdwa v28, v18, sext(v10) dst_sel:DWORD dst_unused:UNUSED_PAD src0_sel:BYTE_0 src1_sel:BYTE_0
	v_mul_i32_i24_sdwa v38, v18, sext(v10) dst_sel:DWORD dst_unused:UNUSED_PAD src0_sel:BYTE_1 src1_sel:BYTE_1
	v_and_b32_e32 v39, 2, v34
	v_mul_i32_i24_sdwa v40, v18, sext(v10) dst_sel:DWORD dst_unused:UNUSED_PAD src0_sel:BYTE_2 src1_sel:BYTE_2
	v_and_b32_e32 v41, 4, v34
	v_mul_i32_i24_sdwa v10, v18, sext(v10) dst_sel:DWORD dst_unused:UNUSED_PAD src0_sel:BYTE_3 src1_sel:BYTE_3
	v_and_b32_e32 v18, 8, v34
	v_sub_nc_u32_e32 v61, 0, v28
	v_cmp_eq_u16_e32 vcc_lo, 0, v29
	v_sub_nc_u32_e32 v29, 0, v38
	v_cmp_eq_u16_e64 s0, 0, v39
	v_sub_nc_u32_e32 v39, 0, v40
	v_cmp_eq_u16_e64 s1, 0, v41
	;; [unrolled: 2-line block ×3, first 2 shown]
	v_cndmask_b32_e32 v28, v61, v28, vcc_lo
	v_cndmask_b32_e64 v29, v29, v38, s0
	v_mul_i32_i24_sdwa v42, v19, sext(v11) dst_sel:DWORD dst_unused:UNUSED_PAD src0_sel:BYTE_0 src1_sel:BYTE_0
	v_and_b32_e32 v43, 16, v34
	v_mul_i32_i24_sdwa v44, v19, sext(v11) dst_sel:DWORD dst_unused:UNUSED_PAD src0_sel:BYTE_1 src1_sel:BYTE_1
	v_mul_i32_i24_sdwa v45, v19, sext(v11) dst_sel:DWORD dst_unused:UNUSED_PAD src0_sel:BYTE_2 src1_sel:BYTE_2
	v_mul_i32_i24_sdwa v11, v19, sext(v11) dst_sel:DWORD dst_unused:UNUSED_PAD src0_sel:BYTE_3 src1_sel:BYTE_3
	s_waitcnt vmcnt(5)
	v_mul_i32_i24_sdwa v19, v22, sext(v12) dst_sel:DWORD dst_unused:UNUSED_PAD src0_sel:BYTE_0 src1_sel:BYTE_0
	v_mul_i32_i24_sdwa v46, v22, sext(v12) dst_sel:DWORD dst_unused:UNUSED_PAD src0_sel:BYTE_1 src1_sel:BYTE_1
	v_mul_i32_i24_sdwa v47, v22, sext(v12) dst_sel:DWORD dst_unused:UNUSED_PAD src0_sel:BYTE_2 src1_sel:BYTE_2
	v_mul_i32_i24_sdwa v12, v22, sext(v12) dst_sel:DWORD dst_unused:UNUSED_PAD src0_sel:BYTE_3 src1_sel:BYTE_3
	v_mul_i32_i24_sdwa v22, v23, sext(v13) dst_sel:DWORD dst_unused:UNUSED_PAD src0_sel:BYTE_0 src1_sel:BYTE_0
	v_mul_i32_i24_sdwa v48, v23, sext(v13) dst_sel:DWORD dst_unused:UNUSED_PAD src0_sel:BYTE_1 src1_sel:BYTE_1
	v_mul_i32_i24_sdwa v49, v23, sext(v13) dst_sel:DWORD dst_unused:UNUSED_PAD src0_sel:BYTE_2 src1_sel:BYTE_2
	v_mul_i32_i24_sdwa v13, v23, sext(v13) dst_sel:DWORD dst_unused:UNUSED_PAD src0_sel:BYTE_3 src1_sel:BYTE_3
	s_waitcnt vmcnt(3)
	v_mul_i32_i24_sdwa v23, v24, sext(v14) dst_sel:DWORD dst_unused:UNUSED_PAD src0_sel:BYTE_0 src1_sel:BYTE_0
	v_mul_i32_i24_sdwa v50, v24, sext(v14) dst_sel:DWORD dst_unused:UNUSED_PAD src0_sel:BYTE_1 src1_sel:BYTE_1
	v_mul_i32_i24_sdwa v51, v24, sext(v14) dst_sel:DWORD dst_unused:UNUSED_PAD src0_sel:BYTE_2 src1_sel:BYTE_2
	v_mul_i32_i24_sdwa v14, v24, sext(v14) dst_sel:DWORD dst_unused:UNUSED_PAD src0_sel:BYTE_3 src1_sel:BYTE_3
	v_mul_i32_i24_sdwa v24, v25, sext(v15) dst_sel:DWORD dst_unused:UNUSED_PAD src0_sel:BYTE_0 src1_sel:BYTE_0
	v_mul_i32_i24_sdwa v52, v25, sext(v15) dst_sel:DWORD dst_unused:UNUSED_PAD src0_sel:BYTE_1 src1_sel:BYTE_1
	v_mul_i32_i24_sdwa v53, v25, sext(v15) dst_sel:DWORD dst_unused:UNUSED_PAD src0_sel:BYTE_2 src1_sel:BYTE_2
	v_mul_i32_i24_sdwa v15, v25, sext(v15) dst_sel:DWORD dst_unused:UNUSED_PAD src0_sel:BYTE_3 src1_sel:BYTE_3
	s_waitcnt vmcnt(1)
	v_mul_i32_i24_sdwa v25, v26, sext(v16) dst_sel:DWORD dst_unused:UNUSED_PAD src0_sel:BYTE_0 src1_sel:BYTE_0
	v_mul_i32_i24_sdwa v54, v26, sext(v16) dst_sel:DWORD dst_unused:UNUSED_PAD src0_sel:BYTE_1 src1_sel:BYTE_1
	v_mul_i32_i24_sdwa v55, v26, sext(v16) dst_sel:DWORD dst_unused:UNUSED_PAD src0_sel:BYTE_2 src1_sel:BYTE_2
	v_mul_i32_i24_sdwa v16, v26, sext(v16) dst_sel:DWORD dst_unused:UNUSED_PAD src0_sel:BYTE_3 src1_sel:BYTE_3
	v_mul_i32_i24_sdwa v26, v27, sext(v17) dst_sel:DWORD dst_unused:UNUSED_PAD src0_sel:BYTE_0 src1_sel:BYTE_0
	v_mul_i32_i24_sdwa v56, v27, sext(v17) dst_sel:DWORD dst_unused:UNUSED_PAD src0_sel:BYTE_1 src1_sel:BYTE_1
	v_mul_i32_i24_sdwa v57, v27, sext(v17) dst_sel:DWORD dst_unused:UNUSED_PAD src0_sel:BYTE_2 src1_sel:BYTE_2
	v_mul_i32_i24_sdwa v17, v27, sext(v17) dst_sel:DWORD dst_unused:UNUSED_PAD src0_sel:BYTE_3 src1_sel:BYTE_3
	v_and_b32_e32 v27, 32, v34
	v_cndmask_b32_e64 v39, v39, v40, s1
	v_cndmask_b32_e64 v10, v41, v10, s2
	v_add_nc_u32_e32 v28, v29, v28
	v_cmp_eq_u16_e32 vcc_lo, 0, v43
	v_sub_nc_u32_e32 v43, 0, v44
	v_cmp_eq_u16_e64 s0, 0, v27
	v_and_b32_e32 v58, 1, v35
	v_add3_u32 v10, v28, v39, v10
	v_sub_nc_u32_e32 v39, 0, v42
	v_and_b32_e32 v59, 2, v35
	v_cndmask_b32_e64 v43, v43, v44, s0
	v_cmp_gt_i16_e64 s0, 0, v34
	v_and_b32_e32 v60, 4, v35
	v_cndmask_b32_e32 v39, v39, v42, vcc_lo
	v_cmp_gt_u32_e32 vcc_lo, 64, v30
	v_sub_nc_u32_e32 v30, 0, v11
	v_and_b32_e32 v18, 8, v35
	v_and_b32_e32 v61, 16, v35
	v_add3_u32 v10, v10, v39, v43
	v_sub_nc_u32_e32 v43, 0, v45
	v_cndmask_b32_e64 v11, v11, v30, s0
	v_cmp_eq_u16_e64 s0, 0, v59
	v_and_b32_e32 v38, 32, v35
	v_and_b32_e32 v41, 2, v36
	v_cndmask_b32_e32 v43, v43, v45, vcc_lo
	v_cmp_eq_u16_e32 vcc_lo, 0, v58
	v_sub_nc_u32_e32 v58, 0, v46
	v_sub_nc_u32_e32 v59, 0, v47
	v_cmp_eq_u16_e64 s1, 0, v60
	v_add3_u32 v10, v10, v43, v11
	v_sub_nc_u32_e32 v43, 0, v19
	v_sub_nc_u32_e32 v60, 0, v12
	v_cmp_eq_u16_e64 s2, 0, v18
	v_cndmask_b32_e64 v46, v58, v46, s0
	v_sub_nc_u32_e32 v18, 0, v48
	v_cndmask_b32_e32 v19, v43, v19, vcc_lo
	v_cmp_eq_u16_e64 s3, 0, v38
	v_cmp_eq_u16_e64 s5, 0, v41
	v_sub_nc_u32_e32 v41, 0, v22
	v_cndmask_b32_e64 v47, v59, v47, s1
	v_add3_u32 v10, v10, v19, v46
	v_cndmask_b32_e64 v12, v60, v12, s2
	v_cmp_eq_u16_e64 s1, 0, v61
	v_and_b32_e32 v40, 1, v36
	v_sub_nc_u32_e32 v38, 0, v13
	v_cmp_gt_i16_e64 s4, 0, v35
	v_sub_nc_u32_e32 v43, 0, v49
	v_cndmask_b32_e64 v22, v41, v22, s1
	v_cndmask_b32_e64 v18, v18, v48, s3
	v_add3_u32 v10, v10, v47, v12
	v_cmp_gt_u32_e64 s1, 64, v31
	v_and_b32_e32 v29, 4, v36
	v_and_b32_e32 v28, 8, v36
	v_sub_nc_u32_e32 v35, 0, v50
	v_sub_nc_u32_e32 v58, 0, v23
	v_cndmask_b32_e64 v31, v43, v49, s1
	v_cndmask_b32_e64 v13, v13, v38, s4
	v_add3_u32 v10, v10, v22, v18
	v_cmp_eq_u16_e64 s1, 0, v40
	v_and_b32_e32 v27, 16, v36
	v_and_b32_e32 v42, 32, v36
	;; [unrolled: 1-line block ×3, first 2 shown]
	v_sub_nc_u32_e32 v19, 0, v51
	v_sub_nc_u32_e32 v46, 0, v14
	v_cmp_eq_u16_e32 vcc_lo, 0, v28
	v_cndmask_b32_e64 v22, v58, v23, s1
	v_cndmask_b32_e64 v23, v35, v50, s5
	v_add3_u32 v10, v10, v31, v13
	v_cmp_eq_u16_e64 s2, 0, v29
	v_sub_nc_u32_e32 v28, 0, v52
	v_cmp_eq_u16_e64 s0, 0, v42
	v_cmp_eq_u16_e64 s7, 0, v39
	v_sub_nc_u32_e32 v39, 0, v24
	v_cndmask_b32_e64 v13, v19, v51, s2
	v_cndmask_b32_e32 v14, v46, v14, vcc_lo
	v_add3_u32 v10, v10, v22, v23
	v_cmp_eq_u16_e32 vcc_lo, 0, v27
	v_and_b32_e32 v44, 1, v37
	v_sub_nc_u32_e32 v42, 0, v15
	v_cmp_gt_i16_e64 s6, 0, v36
	v_sub_nc_u32_e32 v59, 0, v53
	v_cndmask_b32_e32 v22, v39, v24, vcc_lo
	v_cndmask_b32_e64 v23, v28, v52, s0
	v_add3_u32 v10, v10, v13, v14
	v_cmp_gt_u32_e32 vcc_lo, 64, v32
	v_and_b32_e32 v34, 4, v37
	v_and_b32_e32 v45, 8, v37
	;; [unrolled: 1-line block ×3, first 2 shown]
	v_sub_nc_u32_e32 v36, 0, v54
	v_sub_nc_u32_e32 v60, 0, v25
	v_cndmask_b32_e32 v14, v59, v53, vcc_lo
	v_cndmask_b32_e64 v15, v15, v42, s6
	v_add3_u32 v10, v10, v22, v23
	v_cmp_eq_u16_e64 s0, 0, v44
	v_and_b32_e32 v30, 16, v37
	v_sub_nc_u32_e32 v12, 0, v55
	v_sub_nc_u32_e32 v18, 0, v16
	v_cmp_eq_u16_e64 s1, 0, v45
	v_cmp_eq_u16_e32 vcc_lo, 0, v11
	v_cndmask_b32_e64 v11, v60, v25, s0
	v_cndmask_b32_e64 v22, v36, v54, s7
	v_add3_u32 v10, v10, v14, v15
	v_cmp_eq_u16_e64 s0, 0, v34
	v_sub_nc_u32_e32 v19, 0, v26
	v_sub_nc_u32_e32 v13, 0, v56
	v_cndmask_b32_e64 v15, v18, v16, s1
	v_add3_u32 v10, v10, v11, v22
	v_cndmask_b32_e64 v12, v12, v55, s0
	v_cmp_eq_u16_e64 s0, 0, v30
	v_sub_nc_u32_e32 v14, 0, v57
	v_sub_nc_u32_e32 v11, 0, v17
	v_cndmask_b32_e32 v13, v13, v56, vcc_lo
	v_add3_u32 v10, v10, v12, v15
	v_cndmask_b32_e64 v16, v19, v26, s0
	v_cmp_gt_i16_e32 vcc_lo, 0, v37
	v_cmp_gt_u32_e64 s0, 64, v33
	s_waitcnt vmcnt(0)
	v_cvt_f32_f16_e32 v20, v20
	v_add3_u32 v10, v10, v16, v13
	v_cndmask_b32_e32 v11, v17, v11, vcc_lo
	v_cndmask_b32_e64 v12, v14, v57, s0
	v_mul_f32_e32 v13, v21, v20
	v_cmp_le_u32_e32 vcc_lo, s18, v4
	v_add3_u32 v10, v10, v12, v11
	v_mul_f32_e32 v11, 0x3e800000, v13
	s_or_b32 s13, vcc_lo, s13
	v_cvt_f32_i32_e32 v10, v10
	v_fmac_f32_e32 v5, v11, v10
	s_andn2_b32 exec_lo, exec_lo, s13
	s_cbranch_execnz .LBB266_3
; %bb.4:
	s_or_b32 exec_lo, exec_lo, s13
.LBB266_5:
	s_or_b32 exec_lo, exec_lo, s9
	v_mbcnt_lo_u32_b32 v2, -1, 0
	v_xor_b32_e32 v3, 16, v2
	v_xor_b32_e32 v4, 8, v2
	v_cmp_gt_i32_e32 vcc_lo, 32, v3
	v_cndmask_b32_e32 v3, v2, v3, vcc_lo
	v_cmp_gt_i32_e32 vcc_lo, 32, v4
	v_lshlrev_b32_e32 v3, 2, v3
	v_cndmask_b32_e32 v4, v2, v4, vcc_lo
	ds_bpermute_b32 v3, v3, v5
	v_lshlrev_b32_e32 v4, 2, v4
	s_waitcnt lgkmcnt(0)
	v_add_f32_e32 v3, v5, v3
	v_xor_b32_e32 v5, 4, v2
	ds_bpermute_b32 v4, v4, v3
	v_cmp_gt_i32_e32 vcc_lo, 32, v5
	v_cndmask_b32_e32 v5, v2, v5, vcc_lo
	v_lshlrev_b32_e32 v5, 2, v5
	s_waitcnt lgkmcnt(0)
	v_add_f32_e32 v3, v3, v4
	ds_bpermute_b32 v4, v5, v3
	v_xor_b32_e32 v5, 2, v2
	v_cmp_gt_i32_e32 vcc_lo, 32, v5
	v_cndmask_b32_e32 v5, v2, v5, vcc_lo
	v_lshlrev_b32_e32 v5, 2, v5
	s_waitcnt lgkmcnt(0)
	v_add_f32_e32 v3, v3, v4
	ds_bpermute_b32 v4, v5, v3
	v_xor_b32_e32 v5, 1, v2
	v_cmp_gt_i32_e32 vcc_lo, 32, v5
	v_cndmask_b32_e32 v5, v2, v5, vcc_lo
	v_cmp_eq_u32_e32 vcc_lo, 0, v0
	s_waitcnt lgkmcnt(0)
	v_add_f32_e32 v2, v3, v4
	v_lshlrev_b32_e32 v3, 2, v5
	ds_bpermute_b32 v3, v3, v2
	s_and_b32 exec_lo, exec_lo, vcc_lo
	s_cbranch_execz .LBB266_7
; %bb.6:
	v_mad_u64_u32 v[0:1], null, s10, s12, v[1:2]
	v_mov_b32_e32 v1, 0
	s_waitcnt lgkmcnt(0)
	v_add_f32_e32 v2, v2, v3
	v_cvt_f16_f32_e32 v2, v2
	v_lshlrev_b64 v[0:1], 1, v[0:1]
	v_add_co_u32 v0, vcc_lo, s14, v0
	v_add_co_ci_u32_e64 v1, null, s15, v1, vcc_lo
	global_store_short v[0:1], v2, off
.LBB266_7:
	s_endpgm
	.section	.rodata,"a",@progbits
	.p2align	6, 0x0
	.amdhsa_kernel _ZL9moe_vec_qIN3c104HalfELi256ELi8E13block_iq2_xxsLi1EXadL_ZL20vec_dot_iq2_xxs_q8_1PKvPK10block_q8_1RKiEEEvS4_S4_PT_PS8_iiii
		.amdhsa_group_segment_fixed_size 0
		.amdhsa_private_segment_fixed_size 0
		.amdhsa_kernarg_size 304
		.amdhsa_user_sgpr_count 6
		.amdhsa_user_sgpr_private_segment_buffer 1
		.amdhsa_user_sgpr_dispatch_ptr 0
		.amdhsa_user_sgpr_queue_ptr 0
		.amdhsa_user_sgpr_kernarg_segment_ptr 1
		.amdhsa_user_sgpr_dispatch_id 0
		.amdhsa_user_sgpr_flat_scratch_init 0
		.amdhsa_user_sgpr_private_segment_size 0
		.amdhsa_wavefront_size32 1
		.amdhsa_uses_dynamic_stack 0
		.amdhsa_system_sgpr_private_segment_wavefront_offset 0
		.amdhsa_system_sgpr_workgroup_id_x 1
		.amdhsa_system_sgpr_workgroup_id_y 0
		.amdhsa_system_sgpr_workgroup_id_z 1
		.amdhsa_system_sgpr_workgroup_info 0
		.amdhsa_system_vgpr_workitem_id 1
		.amdhsa_next_free_vgpr 62
		.amdhsa_next_free_sgpr 19
		.amdhsa_reserve_vcc 1
		.amdhsa_reserve_flat_scratch 0
		.amdhsa_float_round_mode_32 0
		.amdhsa_float_round_mode_16_64 0
		.amdhsa_float_denorm_mode_32 3
		.amdhsa_float_denorm_mode_16_64 3
		.amdhsa_dx10_clamp 1
		.amdhsa_ieee_mode 1
		.amdhsa_fp16_overflow 0
		.amdhsa_workgroup_processor_mode 1
		.amdhsa_memory_ordered 1
		.amdhsa_forward_progress 1
		.amdhsa_shared_vgpr_count 0
		.amdhsa_exception_fp_ieee_invalid_op 0
		.amdhsa_exception_fp_denorm_src 0
		.amdhsa_exception_fp_ieee_div_zero 0
		.amdhsa_exception_fp_ieee_overflow 0
		.amdhsa_exception_fp_ieee_underflow 0
		.amdhsa_exception_fp_ieee_inexact 0
		.amdhsa_exception_int_div_zero 0
	.end_amdhsa_kernel
	.section	.text._ZL9moe_vec_qIN3c104HalfELi256ELi8E13block_iq2_xxsLi1EXadL_ZL20vec_dot_iq2_xxs_q8_1PKvPK10block_q8_1RKiEEEvS4_S4_PT_PS8_iiii,"axG",@progbits,_ZL9moe_vec_qIN3c104HalfELi256ELi8E13block_iq2_xxsLi1EXadL_ZL20vec_dot_iq2_xxs_q8_1PKvPK10block_q8_1RKiEEEvS4_S4_PT_PS8_iiii,comdat
.Lfunc_end266:
	.size	_ZL9moe_vec_qIN3c104HalfELi256ELi8E13block_iq2_xxsLi1EXadL_ZL20vec_dot_iq2_xxs_q8_1PKvPK10block_q8_1RKiEEEvS4_S4_PT_PS8_iiii, .Lfunc_end266-_ZL9moe_vec_qIN3c104HalfELi256ELi8E13block_iq2_xxsLi1EXadL_ZL20vec_dot_iq2_xxs_q8_1PKvPK10block_q8_1RKiEEEvS4_S4_PT_PS8_iiii
                                        ; -- End function
	.set _ZL9moe_vec_qIN3c104HalfELi256ELi8E13block_iq2_xxsLi1EXadL_ZL20vec_dot_iq2_xxs_q8_1PKvPK10block_q8_1RKiEEEvS4_S4_PT_PS8_iiii.num_vgpr, 62
	.set _ZL9moe_vec_qIN3c104HalfELi256ELi8E13block_iq2_xxsLi1EXadL_ZL20vec_dot_iq2_xxs_q8_1PKvPK10block_q8_1RKiEEEvS4_S4_PT_PS8_iiii.num_agpr, 0
	.set _ZL9moe_vec_qIN3c104HalfELi256ELi8E13block_iq2_xxsLi1EXadL_ZL20vec_dot_iq2_xxs_q8_1PKvPK10block_q8_1RKiEEEvS4_S4_PT_PS8_iiii.numbered_sgpr, 19
	.set _ZL9moe_vec_qIN3c104HalfELi256ELi8E13block_iq2_xxsLi1EXadL_ZL20vec_dot_iq2_xxs_q8_1PKvPK10block_q8_1RKiEEEvS4_S4_PT_PS8_iiii.num_named_barrier, 0
	.set _ZL9moe_vec_qIN3c104HalfELi256ELi8E13block_iq2_xxsLi1EXadL_ZL20vec_dot_iq2_xxs_q8_1PKvPK10block_q8_1RKiEEEvS4_S4_PT_PS8_iiii.private_seg_size, 0
	.set _ZL9moe_vec_qIN3c104HalfELi256ELi8E13block_iq2_xxsLi1EXadL_ZL20vec_dot_iq2_xxs_q8_1PKvPK10block_q8_1RKiEEEvS4_S4_PT_PS8_iiii.uses_vcc, 1
	.set _ZL9moe_vec_qIN3c104HalfELi256ELi8E13block_iq2_xxsLi1EXadL_ZL20vec_dot_iq2_xxs_q8_1PKvPK10block_q8_1RKiEEEvS4_S4_PT_PS8_iiii.uses_flat_scratch, 0
	.set _ZL9moe_vec_qIN3c104HalfELi256ELi8E13block_iq2_xxsLi1EXadL_ZL20vec_dot_iq2_xxs_q8_1PKvPK10block_q8_1RKiEEEvS4_S4_PT_PS8_iiii.has_dyn_sized_stack, 0
	.set _ZL9moe_vec_qIN3c104HalfELi256ELi8E13block_iq2_xxsLi1EXadL_ZL20vec_dot_iq2_xxs_q8_1PKvPK10block_q8_1RKiEEEvS4_S4_PT_PS8_iiii.has_recursion, 0
	.set _ZL9moe_vec_qIN3c104HalfELi256ELi8E13block_iq2_xxsLi1EXadL_ZL20vec_dot_iq2_xxs_q8_1PKvPK10block_q8_1RKiEEEvS4_S4_PT_PS8_iiii.has_indirect_call, 0
	.section	.AMDGPU.csdata,"",@progbits
; Kernel info:
; codeLenInByte = 1980
; TotalNumSgprs: 21
; NumVgprs: 62
; ScratchSize: 0
; MemoryBound: 0
; FloatMode: 240
; IeeeMode: 1
; LDSByteSize: 0 bytes/workgroup (compile time only)
; SGPRBlocks: 0
; VGPRBlocks: 7
; NumSGPRsForWavesPerEU: 21
; NumVGPRsForWavesPerEU: 62
; Occupancy: 16
; WaveLimiterHint : 1
; COMPUTE_PGM_RSRC2:SCRATCH_EN: 0
; COMPUTE_PGM_RSRC2:USER_SGPR: 6
; COMPUTE_PGM_RSRC2:TRAP_HANDLER: 0
; COMPUTE_PGM_RSRC2:TGID_X_EN: 1
; COMPUTE_PGM_RSRC2:TGID_Y_EN: 0
; COMPUTE_PGM_RSRC2:TGID_Z_EN: 1
; COMPUTE_PGM_RSRC2:TIDIG_COMP_CNT: 1
	.section	.text._ZL9moe_vec_qIN3c104HalfELi256ELi8E12block_iq2_xsLi1EXadL_ZL19vec_dot_iq2_xs_q8_1PKvPK10block_q8_1RKiEEEvS4_S4_PT_PS8_iiii,"axG",@progbits,_ZL9moe_vec_qIN3c104HalfELi256ELi8E12block_iq2_xsLi1EXadL_ZL19vec_dot_iq2_xs_q8_1PKvPK10block_q8_1RKiEEEvS4_S4_PT_PS8_iiii,comdat
	.globl	_ZL9moe_vec_qIN3c104HalfELi256ELi8E12block_iq2_xsLi1EXadL_ZL19vec_dot_iq2_xs_q8_1PKvPK10block_q8_1RKiEEEvS4_S4_PT_PS8_iiii ; -- Begin function _ZL9moe_vec_qIN3c104HalfELi256ELi8E12block_iq2_xsLi1EXadL_ZL19vec_dot_iq2_xs_q8_1PKvPK10block_q8_1RKiEEEvS4_S4_PT_PS8_iiii
	.p2align	8
	.type	_ZL9moe_vec_qIN3c104HalfELi256ELi8E12block_iq2_xsLi1EXadL_ZL19vec_dot_iq2_xs_q8_1PKvPK10block_q8_1RKiEEEvS4_S4_PT_PS8_iiii,@function
_ZL9moe_vec_qIN3c104HalfELi256ELi8E12block_iq2_xsLi1EXadL_ZL19vec_dot_iq2_xs_q8_1PKvPK10block_q8_1RKiEEEvS4_S4_PT_PS8_iiii: ; @_ZL9moe_vec_qIN3c104HalfELi256ELi8E12block_iq2_xsLi1EXadL_ZL19vec_dot_iq2_xs_q8_1PKvPK10block_q8_1RKiEEEvS4_S4_PT_PS8_iiii
; %bb.0:
	s_clause 0x1
	s_load_dword s0, s[4:5], 0x3c
	s_load_dwordx4 s[24:27], s[4:5], 0x20
	s_waitcnt lgkmcnt(0)
	s_lshr_b32 s0, s0, 16
	v_mad_u64_u32 v[9:10], null, s6, s0, v[1:2]
	s_mov_b32 s0, exec_lo
	v_cmpx_gt_u32_e64 s26, v9
	s_cbranch_execz .LBB267_7
; %bb.1:
	s_load_dwordx2 s[30:31], s[4:5], 0x10
	s_ashr_i32 s0, s25, 31
	v_lshrrev_b32_e32 v16, 3, v0
	s_lshr_b32 s0, s0, 24
	v_mov_b32_e32 v17, 0
	s_add_i32 s0, s25, s0
	s_mov_b32 s28, s7
	s_ashr_i32 s25, s0, 8
	s_mov_b32 s23, exec_lo
	v_cmpx_gt_u32_e64 s25, v16
	s_cbranch_execz .LBB267_5
; %bb.2:
	s_load_dwordx2 s[0:1], s[4:5], 0x18
	s_mov_b32 s29, 0
	v_cvt_f32_u32_e32 v1, s24
	s_lshl_b64 s[2:3], s[28:29], 2
	v_and_b32_e32 v18, 7, v0
	v_mul_lo_u32 v19, v9, s25
	v_mov_b32_e32 v20, 0
	v_rcp_iflag_f32_e32 v1, v1
	v_lshlrev_b32_e32 v21, 3, v16
	v_mov_b32_e32 v17, 0
	v_mul_f32_e32 v1, 0x4f7ffffe, v1
	s_waitcnt lgkmcnt(0)
	s_add_u32 s0, s0, s2
	s_addc_u32 s1, s1, s3
	v_cvt_u32_f32_e32 v1, v1
	s_load_dword s6, s[0:1], 0x0
	s_load_dwordx4 s[0:3], s[4:5], 0x0
	s_mul_i32 s4, s25, s26
	v_readfirstlane_b32 s5, v1
	v_lshlrev_b32_e32 v1, 2, v18
	v_lshlrev_b32_e32 v22, 1, v1
	s_waitcnt lgkmcnt(0)
	s_mul_i32 s4, s4, s6
	s_mul_i32 s6, s4, 0x4a
	s_mul_hi_i32 s4, s4, 0x4a
	s_add_u32 s34, s0, s6
	s_addc_u32 s35, s1, s4
	s_sub_i32 s0, 0, s24
	s_mul_i32 s0, s0, s5
	s_mul_hi_u32 s0, s5, s0
	s_add_i32 s5, s5, s0
	s_mul_hi_u32 s0, s28, s5
	s_mul_i32 s1, s0, s24
	s_add_i32 s4, s0, 1
	s_sub_i32 s1, s28, s1
	s_sub_i32 s5, s1, s24
	s_cmp_ge_u32 s1, s24
	s_cselect_b32 s0, s4, s0
	s_cselect_b32 s1, s5, s1
	s_add_i32 s4, s0, 1
	s_cmp_ge_u32 s1, s24
	s_mov_b32 s1, s29
	s_cselect_b32 s0, s4, s0
	s_mul_i32 s0, s0, s27
	s_lshl_b64 s[0:1], s[0:1], 2
	s_add_u32 s0, s2, s0
	s_addc_u32 s1, s3, s1
	v_mad_u64_u32 v[10:11], null, v18, 36, s[0:1]
.LBB267_3:                              ; =>This Inner Loop Header: Depth=1
	v_add_nc_u32_e32 v1, v19, v16
	v_mad_i64_i32 v[12:13], null, v21, 36, v[10:11]
	s_getpc_b64 s[0:1]
	s_add_u32 s0, s0, _ZL10iq2xs_grid@rel32@lo+4
	s_addc_u32 s1, s1, _ZL10iq2xs_grid@rel32@hi+12
	s_getpc_b64 s[14:15]
	s_add_u32 s14, s14, _ZL12ksigns_iq2xs@rel32@lo+4
	s_addc_u32 s15, s15, _ZL12ksigns_iq2xs@rel32@hi+12
	v_mad_i64_i32 v[14:15], null, 0x4a, v1, s[34:35]
	v_add_nc_u32_e32 v16, 4, v16
	s_clause 0x2
	global_load_dwordx4 v[1:4], v[12:13], off offset:20
	global_load_dwordx4 v[5:8], v[12:13], off offset:4
	global_load_ushort v23, v[12:13], off
	v_add_nc_u32_e32 v21, 32, v21
	v_add_co_u32 v12, vcc_lo, v14, v22
	v_add_co_ci_u32_e64 v13, null, 0, v15, vcc_lo
	v_add_co_u32 v24, vcc_lo, v14, v18
	v_add_co_ci_u32_e64 v25, null, 0, v15, vcc_lo
	s_clause 0x2
	global_load_dwordx2 v[12:13], v[12:13], off offset:2
	global_load_ubyte v24, v[24:25], off offset:66
	global_load_ushort v14, v[14:15], off
	s_waitcnt vmcnt(3)
	v_cvt_f32_f16_e32 v23, v23
	s_waitcnt vmcnt(2)
	v_and_b32_e32 v15, 0x1ff, v12
	v_lshrrev_b32_e32 v25, 13, v12
	v_bfe_u32 v27, v13, 9, 7
	v_bfe_u32 v29, v12, 9, 7
	v_and_b32_e32 v26, 0x1ff, v13
	v_lshrrev_b32_e32 v28, 13, v13
	v_lshrrev_b32_e32 v30, 25, v12
	v_lshlrev_b32_e32 v31, 3, v15
	s_clause 0x1
	global_load_sbyte v33, v27, s[14:15]
	global_load_sbyte v15, v29, s[14:15]
	v_and_b32_e32 v27, 0xff8, v25
	v_lshlrev_b32_e32 v29, 3, v26
	v_and_b32_e32 v32, 0xff8, v28
	global_load_sbyte v34, v30, s[14:15]
	s_clause 0x3
	global_load_dwordx2 v[25:26], v31, s[0:1]
	global_load_dwordx2 v[27:28], v27, s[0:1]
	;; [unrolled: 1-line block ×4, first 2 shown]
	s_waitcnt vmcnt(6)
	v_and_b32_e32 v35, 1, v33
	v_and_b32_e32 v36, 2, v33
	s_waitcnt vmcnt(3)
	v_mul_i32_i24_sdwa v41, v25, sext(v5) dst_sel:DWORD dst_unused:UNUSED_PAD src0_sel:BYTE_0 src1_sel:BYTE_0
	v_mul_i32_i24_sdwa v42, v25, sext(v5) dst_sel:DWORD dst_unused:UNUSED_PAD src0_sel:BYTE_1 src1_sel:BYTE_1
	v_mul_i32_i24_sdwa v43, v25, sext(v5) dst_sel:DWORD dst_unused:UNUSED_PAD src0_sel:BYTE_2 src1_sel:BYTE_2
	v_mul_i32_i24_sdwa v5, v25, sext(v5) dst_sel:DWORD dst_unused:UNUSED_PAD src0_sel:BYTE_3 src1_sel:BYTE_3
	v_mul_i32_i24_sdwa v25, v26, sext(v6) dst_sel:DWORD dst_unused:UNUSED_PAD src0_sel:BYTE_0 src1_sel:BYTE_0
	v_mul_i32_i24_sdwa v44, v26, sext(v6) dst_sel:DWORD dst_unused:UNUSED_PAD src0_sel:BYTE_1 src1_sel:BYTE_1
	v_mul_i32_i24_sdwa v45, v26, sext(v6) dst_sel:DWORD dst_unused:UNUSED_PAD src0_sel:BYTE_2 src1_sel:BYTE_2
	v_mul_i32_i24_sdwa v6, v26, sext(v6) dst_sel:DWORD dst_unused:UNUSED_PAD src0_sel:BYTE_3 src1_sel:BYTE_3
	s_waitcnt vmcnt(2)
	v_mul_i32_i24_sdwa v26, v27, sext(v7) dst_sel:DWORD dst_unused:UNUSED_PAD src0_sel:BYTE_0 src1_sel:BYTE_0
	v_mul_i32_i24_sdwa v46, v27, sext(v7) dst_sel:DWORD dst_unused:UNUSED_PAD src0_sel:BYTE_1 src1_sel:BYTE_1
	v_mul_i32_i24_sdwa v47, v27, sext(v7) dst_sel:DWORD dst_unused:UNUSED_PAD src0_sel:BYTE_2 src1_sel:BYTE_2
	v_mul_i32_i24_sdwa v7, v27, sext(v7) dst_sel:DWORD dst_unused:UNUSED_PAD src0_sel:BYTE_3 src1_sel:BYTE_3
	v_mul_i32_i24_sdwa v27, v28, sext(v8) dst_sel:DWORD dst_unused:UNUSED_PAD src0_sel:BYTE_0 src1_sel:BYTE_0
	v_mul_i32_i24_sdwa v48, v28, sext(v8) dst_sel:DWORD dst_unused:UNUSED_PAD src0_sel:BYTE_1 src1_sel:BYTE_1
	v_mul_i32_i24_sdwa v49, v28, sext(v8) dst_sel:DWORD dst_unused:UNUSED_PAD src0_sel:BYTE_2 src1_sel:BYTE_2
	v_mul_i32_i24_sdwa v8, v28, sext(v8) dst_sel:DWORD dst_unused:UNUSED_PAD src0_sel:BYTE_3 src1_sel:BYTE_3
	s_waitcnt vmcnt(1)
	v_mul_i32_i24_sdwa v28, v29, sext(v1) dst_sel:DWORD dst_unused:UNUSED_PAD src0_sel:BYTE_0 src1_sel:BYTE_0
	v_mul_i32_i24_sdwa v50, v29, sext(v1) dst_sel:DWORD dst_unused:UNUSED_PAD src0_sel:BYTE_1 src1_sel:BYTE_1
	v_and_b32_e32 v38, 4, v33
	v_and_b32_e32 v39, 8, v33
	v_mul_i32_i24_sdwa v51, v29, sext(v1) dst_sel:DWORD dst_unused:UNUSED_PAD src0_sel:BYTE_2 src1_sel:BYTE_2
	v_mul_i32_i24_sdwa v1, v29, sext(v1) dst_sel:DWORD dst_unused:UNUSED_PAD src0_sel:BYTE_3 src1_sel:BYTE_3
	v_sub_nc_u32_e32 v61, 0, v28
	v_cmp_eq_u16_e32 vcc_lo, 0, v35
	v_sub_nc_u32_e32 v35, 0, v50
	v_cmp_eq_u16_e64 s0, 0, v36
	v_sub_nc_u32_e32 v36, 0, v51
	v_cmp_eq_u16_e64 s1, 0, v38
	;; [unrolled: 2-line block ×3, first 2 shown]
	v_cndmask_b32_e32 v28, v61, v28, vcc_lo
	v_cndmask_b32_e64 v35, v35, v50, s0
	v_cndmask_b32_e64 v36, v36, v51, s1
	v_and_b32_e32 v37, 2, v15
	v_cndmask_b32_e64 v1, v38, v1, s2
	v_and_b32_e32 v40, 4, v15
	v_add_nc_u32_e32 v28, v35, v28
	v_mul_i32_i24_sdwa v29, v30, sext(v2) dst_sel:DWORD dst_unused:UNUSED_PAD src0_sel:BYTE_0 src1_sel:BYTE_0
	v_mul_i32_i24_sdwa v52, v30, sext(v2) dst_sel:DWORD dst_unused:UNUSED_PAD src0_sel:BYTE_1 src1_sel:BYTE_1
	v_mul_i32_i24_sdwa v53, v30, sext(v2) dst_sel:DWORD dst_unused:UNUSED_PAD src0_sel:BYTE_2 src1_sel:BYTE_2
	v_mul_i32_i24_sdwa v2, v30, sext(v2) dst_sel:DWORD dst_unused:UNUSED_PAD src0_sel:BYTE_3 src1_sel:BYTE_3
	v_add3_u32 v1, v28, v36, v1
	v_and_b32_e32 v28, 32, v33
	s_waitcnt vmcnt(0)
	v_mul_i32_i24_sdwa v30, v31, sext(v3) dst_sel:DWORD dst_unused:UNUSED_PAD src0_sel:BYTE_0 src1_sel:BYTE_0
	v_mul_i32_i24_sdwa v54, v31, sext(v3) dst_sel:DWORD dst_unused:UNUSED_PAD src0_sel:BYTE_1 src1_sel:BYTE_1
	v_mul_i32_i24_sdwa v55, v31, sext(v3) dst_sel:DWORD dst_unused:UNUSED_PAD src0_sel:BYTE_2 src1_sel:BYTE_2
	v_mul_i32_i24_sdwa v3, v31, sext(v3) dst_sel:DWORD dst_unused:UNUSED_PAD src0_sel:BYTE_3 src1_sel:BYTE_3
	v_cmp_eq_u16_e64 s13, 0, v28
	v_lshrrev_b32_e32 v28, 25, v13
	v_mul_i32_i24_sdwa v31, v32, sext(v4) dst_sel:DWORD dst_unused:UNUSED_PAD src0_sel:BYTE_0 src1_sel:BYTE_0
	v_mul_i32_i24_sdwa v56, v32, sext(v4) dst_sel:DWORD dst_unused:UNUSED_PAD src0_sel:BYTE_1 src1_sel:BYTE_1
	v_mul_i32_i24_sdwa v57, v32, sext(v4) dst_sel:DWORD dst_unused:UNUSED_PAD src0_sel:BYTE_2 src1_sel:BYTE_2
	v_mul_i32_i24_sdwa v4, v32, sext(v4) dst_sel:DWORD dst_unused:UNUSED_PAD src0_sel:BYTE_3 src1_sel:BYTE_3
	global_load_sbyte v28, v28, s[14:15]
	v_and_b32_e32 v32, 8, v15
	v_and_b32_e32 v58, 16, v15
	;; [unrolled: 1-line block ×3, first 2 shown]
	v_cmp_gt_i16_e64 s21, 0, v15
	v_and_b32_e32 v15, 1, v15
	v_and_b32_e32 v38, 32, v34
	;; [unrolled: 1-line block ×3, first 2 shown]
	v_sub_nc_u32_e32 v36, 0, v42
	v_cmp_eq_u16_e32 vcc_lo, 0, v37
	v_cmp_eq_u16_e64 s0, 0, v40
	v_sub_nc_u32_e32 v40, 0, v5
	v_cmp_eq_u16_e64 s1, 0, v32
	v_sub_nc_u32_e32 v69, 0, v41
	v_cmp_eq_u16_e64 s22, 0, v15
	v_and_b32_e32 v39, 2, v34
	v_sub_nc_u32_e32 v37, 0, v43
	v_cmp_eq_u16_e64 s11, 0, v38
	v_sub_nc_u32_e32 v38, 0, v29
	v_cmp_eq_u16_e64 s12, 0, v35
	v_sub_nc_u32_e32 v35, 0, v52
	v_cndmask_b32_e64 v15, v69, v41, s22
	v_cndmask_b32_e32 v36, v36, v42, vcc_lo
	v_cndmask_b32_e64 v5, v40, v5, s1
	v_sub_nc_u32_e32 v40, 0, v45
	v_cmp_gt_i16_e32 vcc_lo, 0, v12
	v_sub_nc_u32_e32 v32, 0, v25
	v_cmp_eq_u16_e64 s2, 0, v58
	v_sub_nc_u32_e32 v58, 0, v44
	v_cmp_eq_u16_e64 s3, 0, v59
	v_cmp_eq_u16_e64 s6, 0, v39
	v_sub_nc_u32_e32 v39, 0, v2
	v_cmp_gt_i16_e64 s7, 0, v33
	v_cndmask_b32_e64 v37, v37, v43, s0
	v_cndmask_b32_e32 v40, v45, v40, vcc_lo
	v_cndmask_b32_e64 v29, v38, v29, s12
	v_sub_nc_u32_e32 v38, 0, v53
	v_cmp_gt_i16_e32 vcc_lo, 0, v13
	v_cndmask_b32_e64 v35, v35, v52, s13
	v_cmp_lt_i16_sdwa s0, v13, v20 src0_sel:WORD_1 src1_sel:DWORD
	v_add_nc_u32_e32 v13, v36, v15
	v_and_b32_e32 v60, 1, v34
	v_and_b32_e32 v61, 4, v34
	;; [unrolled: 1-line block ×3, first 2 shown]
	v_sub_nc_u32_e32 v63, 0, v30
	v_sub_nc_u32_e32 v64, 0, v54
	v_cndmask_b32_e64 v25, v32, v25, s2
	v_cndmask_b32_e64 v32, v58, v44, s3
	v_cndmask_b32_e32 v36, v53, v38, vcc_lo
	v_cndmask_b32_e64 v2, v2, v39, s7
	v_add3_u32 v5, v13, v37, v5
	v_add3_u32 v1, v1, v29, v35
	v_and_b32_e32 v51, 16, v34
	v_sub_nc_u32_e32 v59, 0, v26
	v_cmp_eq_u16_e64 s4, 0, v60
	v_cmp_gt_i16_e64 s5, 0, v34
	v_sub_nc_u32_e32 v34, 0, v46
	v_cmp_eq_u16_e64 s8, 0, v61
	v_sub_nc_u32_e32 v61, 0, v7
	v_cmp_eq_u16_e64 s9, 0, v50
	v_sub_nc_u32_e32 v65, 0, v55
	v_sub_nc_u32_e32 v66, 0, v3
	v_add3_u32 v5, v5, v25, v32
	v_add3_u32 v1, v1, v36, v2
	v_sub_nc_u32_e32 v33, 0, v47
	v_sub_nc_u32_e32 v50, 0, v27
	v_cmp_eq_u16_e64 s10, 0, v51
	v_sub_nc_u32_e32 v67, 0, v31
	v_sub_nc_u32_e32 v68, 0, v56
	v_cndmask_b32_e64 v26, v59, v26, s4
	v_cndmask_b32_e64 v34, v34, v46, s6
	;; [unrolled: 1-line block ×3, first 2 shown]
	v_sub_nc_u32_e32 v51, 0, v48
	v_sub_nc_u32_e32 v41, 0, v57
	v_cndmask_b32_e64 v13, v33, v47, s8
	v_sub_nc_u32_e32 v60, 0, v8
	v_sub_nc_u32_e32 v15, 0, v49
	v_cmp_lt_i16_sdwa vcc_lo, v12, v20 src0_sel:WORD_1 src1_sel:DWORD
	v_cndmask_b32_e64 v8, v8, v60, s5
	s_waitcnt vmcnt(0)
	v_and_b32_e32 v62, 1, v28
	v_cmp_gt_i16_e64 s19, 0, v28
	v_cmp_eq_u16_e64 s14, 0, v62
	v_and_b32_e32 v62, 2, v28
	v_cndmask_b32_e64 v29, v63, v30, s14
	v_cmp_eq_u16_e64 s15, 0, v62
	v_and_b32_e32 v62, 4, v28
	v_cndmask_b32_e64 v30, v64, v54, s15
	v_cmp_eq_u16_e64 s16, 0, v62
	v_and_b32_e32 v62, 8, v28
	v_add3_u32 v1, v1, v29, v30
	v_cndmask_b32_e64 v7, v65, v55, s16
	v_cmp_eq_u16_e64 s17, 0, v62
	v_and_b32_e32 v62, 16, v28
	v_and_b32_e32 v28, 32, v28
	v_cndmask_b32_e64 v3, v66, v3, s17
	v_cmp_eq_u16_e64 s18, 0, v62
	v_cmp_eq_u16_e64 s20, 0, v28
	v_sub_nc_u32_e32 v28, 0, v6
	v_sub_nc_u32_e32 v62, 0, v4
	v_add3_u32 v1, v1, v7, v3
	v_cndmask_b32_e64 v25, v67, v31, s18
	v_cndmask_b32_e64 v3, v51, v48, s11
	;; [unrolled: 1-line block ×3, first 2 shown]
	v_lshrrev_b16 v28, 4, v24
	v_cndmask_b32_e64 v7, v57, v41, s0
	v_cndmask_b32_e64 v4, v4, v62, s19
	v_and_b32_e32 v24, 15, v24
	v_add3_u32 v5, v5, v40, v6
	v_cndmask_b32_e64 v6, v50, v27, s10
	v_cndmask_b32_e64 v27, v68, v56, s20
	v_cvt_f32_ubyte0_e32 v28, v28
	v_add3_u32 v5, v5, v26, v34
	v_add3_u32 v1, v1, v25, v27
	;; [unrolled: 1-line block ×3, first 2 shown]
	v_cndmask_b32_e32 v5, v49, v15, vcc_lo
	v_add3_u32 v1, v1, v7, v4
	v_cvt_f32_ubyte0_e32 v4, v24
	v_cmp_le_u32_e32 vcc_lo, s25, v16
	v_add3_u32 v2, v2, v6, v3
	v_cvt_f32_f16_e32 v3, v14
	v_add_f32_e32 v6, 0.5, v28
	v_cvt_f32_i32_e32 v1, v1
	v_add_f32_e32 v4, 0.5, v4
	v_add3_u32 v2, v2, v5, v8
	v_mul_f32_e32 v3, v3, v23
	s_or_b32 s29, vcc_lo, s29
	v_mul_f32_e32 v1, v6, v1
	v_cvt_f32_i32_e32 v2, v2
	v_mul_f32_e32 v3, 0x3e800000, v3
	v_fmac_f32_e32 v1, v4, v2
	v_fmac_f32_e32 v17, v3, v1
	s_andn2_b32 exec_lo, exec_lo, s29
	s_cbranch_execnz .LBB267_3
; %bb.4:
	s_or_b32 exec_lo, exec_lo, s29
.LBB267_5:
	s_or_b32 exec_lo, exec_lo, s23
	v_mbcnt_lo_u32_b32 v1, -1, 0
	v_xor_b32_e32 v2, 16, v1
	v_xor_b32_e32 v3, 8, v1
	;; [unrolled: 1-line block ×3, first 2 shown]
	v_cmp_gt_i32_e32 vcc_lo, 32, v2
	v_cndmask_b32_e32 v2, v1, v2, vcc_lo
	v_cmp_gt_i32_e32 vcc_lo, 32, v3
	v_lshlrev_b32_e32 v2, 2, v2
	v_cndmask_b32_e32 v3, v1, v3, vcc_lo
	v_cmp_gt_i32_e32 vcc_lo, 32, v4
	ds_bpermute_b32 v2, v2, v17
	v_lshlrev_b32_e32 v3, 2, v3
	v_cndmask_b32_e32 v4, v1, v4, vcc_lo
	v_lshlrev_b32_e32 v4, 2, v4
	s_waitcnt lgkmcnt(0)
	v_add_f32_e32 v2, v17, v2
	ds_bpermute_b32 v3, v3, v2
	s_waitcnt lgkmcnt(0)
	v_add_f32_e32 v2, v2, v3
	ds_bpermute_b32 v3, v4, v2
	v_xor_b32_e32 v4, 2, v1
	v_cmp_gt_i32_e32 vcc_lo, 32, v4
	v_cndmask_b32_e32 v4, v1, v4, vcc_lo
	v_lshlrev_b32_e32 v4, 2, v4
	s_waitcnt lgkmcnt(0)
	v_add_f32_e32 v2, v2, v3
	ds_bpermute_b32 v3, v4, v2
	v_xor_b32_e32 v4, 1, v1
	v_cmp_gt_i32_e32 vcc_lo, 32, v4
	v_cndmask_b32_e32 v4, v1, v4, vcc_lo
	v_cmp_eq_u32_e32 vcc_lo, 0, v0
	s_waitcnt lgkmcnt(0)
	v_add_f32_e32 v1, v2, v3
	v_lshlrev_b32_e32 v2, 2, v4
	ds_bpermute_b32 v2, v2, v1
	s_and_b32 exec_lo, exec_lo, vcc_lo
	s_cbranch_execz .LBB267_7
; %bb.6:
	v_mad_u64_u32 v[3:4], null, s26, s28, v[9:10]
	v_mov_b32_e32 v4, 0
	s_waitcnt lgkmcnt(0)
	v_add_f32_e32 v2, v1, v2
	v_cvt_f16_f32_e32 v2, v2
	v_lshlrev_b64 v[0:1], 1, v[3:4]
	v_add_co_u32 v0, vcc_lo, s30, v0
	v_add_co_ci_u32_e64 v1, null, s31, v1, vcc_lo
	global_store_short v[0:1], v2, off
.LBB267_7:
	s_endpgm
	.section	.rodata,"a",@progbits
	.p2align	6, 0x0
	.amdhsa_kernel _ZL9moe_vec_qIN3c104HalfELi256ELi8E12block_iq2_xsLi1EXadL_ZL19vec_dot_iq2_xs_q8_1PKvPK10block_q8_1RKiEEEvS4_S4_PT_PS8_iiii
		.amdhsa_group_segment_fixed_size 0
		.amdhsa_private_segment_fixed_size 0
		.amdhsa_kernarg_size 304
		.amdhsa_user_sgpr_count 6
		.amdhsa_user_sgpr_private_segment_buffer 1
		.amdhsa_user_sgpr_dispatch_ptr 0
		.amdhsa_user_sgpr_queue_ptr 0
		.amdhsa_user_sgpr_kernarg_segment_ptr 1
		.amdhsa_user_sgpr_dispatch_id 0
		.amdhsa_user_sgpr_flat_scratch_init 0
		.amdhsa_user_sgpr_private_segment_size 0
		.amdhsa_wavefront_size32 1
		.amdhsa_uses_dynamic_stack 0
		.amdhsa_system_sgpr_private_segment_wavefront_offset 0
		.amdhsa_system_sgpr_workgroup_id_x 1
		.amdhsa_system_sgpr_workgroup_id_y 0
		.amdhsa_system_sgpr_workgroup_id_z 1
		.amdhsa_system_sgpr_workgroup_info 0
		.amdhsa_system_vgpr_workitem_id 1
		.amdhsa_next_free_vgpr 70
		.amdhsa_next_free_sgpr 36
		.amdhsa_reserve_vcc 1
		.amdhsa_reserve_flat_scratch 0
		.amdhsa_float_round_mode_32 0
		.amdhsa_float_round_mode_16_64 0
		.amdhsa_float_denorm_mode_32 3
		.amdhsa_float_denorm_mode_16_64 3
		.amdhsa_dx10_clamp 1
		.amdhsa_ieee_mode 1
		.amdhsa_fp16_overflow 0
		.amdhsa_workgroup_processor_mode 1
		.amdhsa_memory_ordered 1
		.amdhsa_forward_progress 1
		.amdhsa_shared_vgpr_count 0
		.amdhsa_exception_fp_ieee_invalid_op 0
		.amdhsa_exception_fp_denorm_src 0
		.amdhsa_exception_fp_ieee_div_zero 0
		.amdhsa_exception_fp_ieee_overflow 0
		.amdhsa_exception_fp_ieee_underflow 0
		.amdhsa_exception_fp_ieee_inexact 0
		.amdhsa_exception_int_div_zero 0
	.end_amdhsa_kernel
	.section	.text._ZL9moe_vec_qIN3c104HalfELi256ELi8E12block_iq2_xsLi1EXadL_ZL19vec_dot_iq2_xs_q8_1PKvPK10block_q8_1RKiEEEvS4_S4_PT_PS8_iiii,"axG",@progbits,_ZL9moe_vec_qIN3c104HalfELi256ELi8E12block_iq2_xsLi1EXadL_ZL19vec_dot_iq2_xs_q8_1PKvPK10block_q8_1RKiEEEvS4_S4_PT_PS8_iiii,comdat
.Lfunc_end267:
	.size	_ZL9moe_vec_qIN3c104HalfELi256ELi8E12block_iq2_xsLi1EXadL_ZL19vec_dot_iq2_xs_q8_1PKvPK10block_q8_1RKiEEEvS4_S4_PT_PS8_iiii, .Lfunc_end267-_ZL9moe_vec_qIN3c104HalfELi256ELi8E12block_iq2_xsLi1EXadL_ZL19vec_dot_iq2_xs_q8_1PKvPK10block_q8_1RKiEEEvS4_S4_PT_PS8_iiii
                                        ; -- End function
	.set _ZL9moe_vec_qIN3c104HalfELi256ELi8E12block_iq2_xsLi1EXadL_ZL19vec_dot_iq2_xs_q8_1PKvPK10block_q8_1RKiEEEvS4_S4_PT_PS8_iiii.num_vgpr, 70
	.set _ZL9moe_vec_qIN3c104HalfELi256ELi8E12block_iq2_xsLi1EXadL_ZL19vec_dot_iq2_xs_q8_1PKvPK10block_q8_1RKiEEEvS4_S4_PT_PS8_iiii.num_agpr, 0
	.set _ZL9moe_vec_qIN3c104HalfELi256ELi8E12block_iq2_xsLi1EXadL_ZL19vec_dot_iq2_xs_q8_1PKvPK10block_q8_1RKiEEEvS4_S4_PT_PS8_iiii.numbered_sgpr, 36
	.set _ZL9moe_vec_qIN3c104HalfELi256ELi8E12block_iq2_xsLi1EXadL_ZL19vec_dot_iq2_xs_q8_1PKvPK10block_q8_1RKiEEEvS4_S4_PT_PS8_iiii.num_named_barrier, 0
	.set _ZL9moe_vec_qIN3c104HalfELi256ELi8E12block_iq2_xsLi1EXadL_ZL19vec_dot_iq2_xs_q8_1PKvPK10block_q8_1RKiEEEvS4_S4_PT_PS8_iiii.private_seg_size, 0
	.set _ZL9moe_vec_qIN3c104HalfELi256ELi8E12block_iq2_xsLi1EXadL_ZL19vec_dot_iq2_xs_q8_1PKvPK10block_q8_1RKiEEEvS4_S4_PT_PS8_iiii.uses_vcc, 1
	.set _ZL9moe_vec_qIN3c104HalfELi256ELi8E12block_iq2_xsLi1EXadL_ZL19vec_dot_iq2_xs_q8_1PKvPK10block_q8_1RKiEEEvS4_S4_PT_PS8_iiii.uses_flat_scratch, 0
	.set _ZL9moe_vec_qIN3c104HalfELi256ELi8E12block_iq2_xsLi1EXadL_ZL19vec_dot_iq2_xs_q8_1PKvPK10block_q8_1RKiEEEvS4_S4_PT_PS8_iiii.has_dyn_sized_stack, 0
	.set _ZL9moe_vec_qIN3c104HalfELi256ELi8E12block_iq2_xsLi1EXadL_ZL19vec_dot_iq2_xs_q8_1PKvPK10block_q8_1RKiEEEvS4_S4_PT_PS8_iiii.has_recursion, 0
	.set _ZL9moe_vec_qIN3c104HalfELi256ELi8E12block_iq2_xsLi1EXadL_ZL19vec_dot_iq2_xs_q8_1PKvPK10block_q8_1RKiEEEvS4_S4_PT_PS8_iiii.has_indirect_call, 0
	.section	.AMDGPU.csdata,"",@progbits
; Kernel info:
; codeLenInByte = 2064
; TotalNumSgprs: 38
; NumVgprs: 70
; ScratchSize: 0
; MemoryBound: 0
; FloatMode: 240
; IeeeMode: 1
; LDSByteSize: 0 bytes/workgroup (compile time only)
; SGPRBlocks: 0
; VGPRBlocks: 8
; NumSGPRsForWavesPerEU: 38
; NumVGPRsForWavesPerEU: 70
; Occupancy: 12
; WaveLimiterHint : 1
; COMPUTE_PGM_RSRC2:SCRATCH_EN: 0
; COMPUTE_PGM_RSRC2:USER_SGPR: 6
; COMPUTE_PGM_RSRC2:TRAP_HANDLER: 0
; COMPUTE_PGM_RSRC2:TGID_X_EN: 1
; COMPUTE_PGM_RSRC2:TGID_Y_EN: 0
; COMPUTE_PGM_RSRC2:TGID_Z_EN: 1
; COMPUTE_PGM_RSRC2:TIDIG_COMP_CNT: 1
	.section	.text._ZL9moe_vec_qIN3c104HalfELi256ELi8E13block_iq3_xxsLi1EXadL_ZL20vec_dot_iq3_xxs_q8_1PKvPK10block_q8_1RKiEEEvS4_S4_PT_PS8_iiii,"axG",@progbits,_ZL9moe_vec_qIN3c104HalfELi256ELi8E13block_iq3_xxsLi1EXadL_ZL20vec_dot_iq3_xxs_q8_1PKvPK10block_q8_1RKiEEEvS4_S4_PT_PS8_iiii,comdat
	.globl	_ZL9moe_vec_qIN3c104HalfELi256ELi8E13block_iq3_xxsLi1EXadL_ZL20vec_dot_iq3_xxs_q8_1PKvPK10block_q8_1RKiEEEvS4_S4_PT_PS8_iiii ; -- Begin function _ZL9moe_vec_qIN3c104HalfELi256ELi8E13block_iq3_xxsLi1EXadL_ZL20vec_dot_iq3_xxs_q8_1PKvPK10block_q8_1RKiEEEvS4_S4_PT_PS8_iiii
	.p2align	8
	.type	_ZL9moe_vec_qIN3c104HalfELi256ELi8E13block_iq3_xxsLi1EXadL_ZL20vec_dot_iq3_xxs_q8_1PKvPK10block_q8_1RKiEEEvS4_S4_PT_PS8_iiii,@function
_ZL9moe_vec_qIN3c104HalfELi256ELi8E13block_iq3_xxsLi1EXadL_ZL20vec_dot_iq3_xxs_q8_1PKvPK10block_q8_1RKiEEEvS4_S4_PT_PS8_iiii: ; @_ZL9moe_vec_qIN3c104HalfELi256ELi8E13block_iq3_xxsLi1EXadL_ZL20vec_dot_iq3_xxs_q8_1PKvPK10block_q8_1RKiEEEvS4_S4_PT_PS8_iiii
; %bb.0:
	s_mov_b32 s8, s7
	s_clause 0x1
	s_load_dword s7, s[4:5], 0x3c
	s_load_dwordx4 s[0:3], s[4:5], 0x20
	s_waitcnt lgkmcnt(0)
	s_lshr_b32 s7, s7, 16
	v_mad_u64_u32 v[5:6], null, s6, s7, v[1:2]
	s_mov_b32 s6, exec_lo
	v_cmpx_gt_u32_e64 s2, v5
	s_cbranch_execz .LBB268_7
; %bb.1:
	s_load_dwordx2 s[10:11], s[4:5], 0x10
	s_ashr_i32 s6, s1, 31
	v_lshrrev_b32_e32 v8, 3, v0
	s_lshr_b32 s6, s6, 24
	v_mov_b32_e32 v9, 0
	s_add_i32 s1, s1, s6
	s_mov_b32 s12, exec_lo
	s_ashr_i32 s13, s1, 8
	v_cmpx_gt_u32_e64 s13, v8
	s_cbranch_execz .LBB268_5
; %bb.2:
	s_load_dwordx2 s[6:7], s[4:5], 0x18
	s_mov_b32 s9, 0
	v_cvt_f32_u32_e32 v1, s0
	s_lshl_b64 s[14:15], s[8:9], 2
	v_mul_lo_u32 v10, v5, s13
	v_mov_b32_e32 v9, 0
	v_lshlrev_b32_e32 v12, 3, v8
	v_rcp_iflag_f32_e32 v1, v1
	v_mov_b32_e32 v14, 2
	v_mul_f32_e32 v1, 0x4f7ffffe, v1
	s_waitcnt lgkmcnt(0)
	s_add_u32 s6, s6, s14
	s_addc_u32 s7, s7, s15
	v_cvt_u32_f32_e32 v1, v1
	s_load_dword s1, s[6:7], 0x0
	s_load_dwordx4 s[4:7], s[4:5], 0x0
	s_mul_i32 s14, s13, s2
	s_waitcnt lgkmcnt(0)
	s_mul_i32 s1, s14, s1
	v_readfirstlane_b32 s14, v1
	s_mul_i32 s15, s1, 0x62
	s_mul_hi_i32 s1, s1, 0x62
	s_add_u32 s4, s4, s15
	s_addc_u32 s5, s5, s1
	s_sub_i32 s1, 0, s0
	v_and_b32_e32 v1, 7, v0
	s_mul_i32 s1, s1, s14
	s_mul_hi_u32 s1, s14, s1
	s_add_i32 s14, s14, s1
	v_lshlrev_b32_e32 v2, 1, v1
	s_mul_hi_u32 s1, s8, s14
	v_lshlrev_b32_e32 v11, 3, v1
	s_mul_i32 s14, s1, s0
	s_add_i32 s15, s1, 1
	s_sub_i32 s14, s8, s14
	v_lshlrev_b32_e32 v13, 1, v2
	s_sub_i32 s16, s14, s0
	s_cmp_ge_u32 s14, s0
	s_cselect_b32 s1, s15, s1
	s_cselect_b32 s14, s16, s14
	s_add_i32 s15, s1, 1
	s_cmp_ge_u32 s14, s0
	s_cselect_b32 s0, s15, s1
	s_mov_b32 s1, s9
	s_mul_i32 s0, s0, s3
	s_lshl_b64 s[0:1], s[0:1], 2
	s_add_u32 s0, s6, s0
	s_addc_u32 s1, s7, s1
	v_mad_u64_u32 v[6:7], null, v1, 36, s[0:1]
.LBB268_3:                              ; =>This Inner Loop Header: Depth=1
	v_add_nc_u32_e32 v1, v10, v8
	v_mad_i64_i32 v[23:24], null, v12, 36, v[6:7]
	s_getpc_b64 s[0:1]
	s_add_u32 s0, s0, _ZL11iq3xxs_grid@rel32@lo+4
	s_addc_u32 s1, s1, _ZL11iq3xxs_grid@rel32@hi+12
	s_getpc_b64 s[6:7]
	s_add_u32 s6, s6, _ZL8ksigns64@rel32@lo+4
	s_addc_u32 s7, s7, _ZL8ksigns64@rel32@hi+12
	v_mad_i64_i32 v[19:20], null, 0x62, v1, s[4:5]
	v_add_nc_u32_e32 v8, 4, v8
	v_add_nc_u32_e32 v12, 32, v12
	v_add_co_u32 v1, vcc_lo, v19, v13
	v_add_co_ci_u32_e64 v2, null, 0, v20, vcc_lo
	v_add_co_u32 v3, vcc_lo, v19, v11
	v_add_co_ci_u32_e64 v4, null, 0, v20, vcc_lo
	s_clause 0x1
	global_load_dword v29, v[1:2], off offset:66
	global_load_dwordx2 v[21:22], v[3:4], off offset:2
	s_clause 0x1
	global_load_dwordx4 v[15:18], v[23:24], off
	global_load_dwordx4 v[1:4], v[23:24], off offset:16
	global_load_ushort v30, v[19:20], off
	v_cmp_le_u32_e32 vcc_lo, s13, v8
	s_or_b32 s9, vcc_lo, s9
	s_waitcnt vmcnt(4)
	v_and_b32_e32 v25, 0x7f, v29
	s_waitcnt vmcnt(3)
	v_lshlrev_b32_sdwa v19, v14, v21 dst_sel:DWORD dst_unused:UNUSED_PAD src0_sel:DWORD src1_sel:BYTE_0
	v_lshlrev_b32_sdwa v20, v14, v21 dst_sel:DWORD dst_unused:UNUSED_PAD src0_sel:DWORD src1_sel:BYTE_1
	v_lshrrev_b32_e32 v27, 4, v29
	v_lshlrev_b32_sdwa v26, v14, v21 dst_sel:DWORD dst_unused:UNUSED_PAD src0_sel:DWORD src1_sel:BYTE_2
	v_lshrrev_b32_e32 v32, 11, v29
	v_lshlrev_b32_sdwa v21, v14, v21 dst_sel:DWORD dst_unused:UNUSED_PAD src0_sel:DWORD src1_sel:BYTE_3
	v_lshlrev_b32_sdwa v28, v14, v22 dst_sel:DWORD dst_unused:UNUSED_PAD src0_sel:DWORD src1_sel:BYTE_0
	v_lshlrev_b32_sdwa v31, v14, v22 dst_sel:DWORD dst_unused:UNUSED_PAD src0_sel:DWORD src1_sel:BYTE_1
	v_lshlrev_b32_sdwa v33, v14, v22 dst_sel:DWORD dst_unused:UNUSED_PAD src0_sel:DWORD src1_sel:BYTE_2
	v_lshlrev_b32_sdwa v34, v14, v22 dst_sel:DWORD dst_unused:UNUSED_PAD src0_sel:DWORD src1_sel:BYTE_3
	v_lshrrev_b32_e32 v22, 18, v29
	v_lshlrev_b32_e32 v25, 3, v25
	s_clause 0x1
	global_load_dword v35, v19, s[0:1]
	global_load_dword v36, v20, s[0:1]
	v_and_b32_e32 v27, 0x3f8, v27
	s_clause 0x1
	global_load_dword v37, v26, s[0:1]
	global_load_dword v38, v21, s[0:1]
	v_and_b32_e32 v26, 0x3f8, v32
	;; [unrolled: 4-line block ×3, first 2 shown]
	global_load_dword v33, v33, s[0:1]
	s_clause 0x3
	global_load_dwordx2 v[19:20], v25, s[6:7]
	global_load_dwordx2 v[21:22], v27, s[6:7]
	;; [unrolled: 1-line block ×4, first 2 shown]
	global_load_dword v34, v34, s[0:1]
	global_load_dword v23, v[23:24], off offset:32
	v_mov_b32_e32 v24, 0
	v_lshrrev_b32_e32 v29, 28, v29
	s_waitcnt vmcnt(13)
	v_cvt_f32_f16_e32 v30, v30
	v_cvt_f32_ubyte0_e32 v29, v29
	v_add_f32_e32 v29, 0.5, v29
	s_waitcnt vmcnt(5)
	v_and_b32_e32 v39, 0xff000000, v19
	v_xor_b32_e32 v35, v19, v35
	v_and_b32_e32 v40, 0xff0000, v19
	v_and_b32_e32 v41, 0xff00, v19
	v_xor_b32_e32 v36, v20, v36
	v_and_b32_e32 v42, 0xff000000, v20
	v_and_b32_e32 v43, 0xff0000, v20
	v_and_b32_e32 v44, 0xff00, v20
	v_sub_nc_u32_e32 v39, v35, v39
	v_sub_nc_u32_e32 v40, v35, v40
	;; [unrolled: 1-line block ×4, first 2 shown]
	s_waitcnt vmcnt(4)
	v_xor_b32_e32 v37, v21, v37
	v_and_b32_e32 v45, 0xff000000, v21
	v_and_b32_e32 v46, 0xff0000, v21
	;; [unrolled: 1-line block ×3, first 2 shown]
	v_xor_b32_e32 v38, v22, v38
	v_and_b32_e32 v48, 0xff000000, v22
	v_and_b32_e32 v49, 0xff0000, v22
	;; [unrolled: 1-line block ×3, first 2 shown]
	s_waitcnt vmcnt(3)
	v_xor_b32_e32 v32, v25, v32
	v_and_b32_e32 v51, 0xff000000, v25
	v_and_b32_e32 v52, 0xff0000, v25
	;; [unrolled: 1-line block ×3, first 2 shown]
	v_xor_b32_e32 v31, v26, v31
	v_and_b32_e32 v54, 0xff000000, v26
	v_and_b32_e32 v55, 0xff0000, v26
	;; [unrolled: 1-line block ×3, first 2 shown]
	s_waitcnt vmcnt(2)
	v_xor_b32_e32 v33, v27, v33
	v_and_b32_e32 v57, 0xff000000, v27
	v_and_b32_e32 v58, 0xff0000, v27
	;; [unrolled: 1-line block ×3, first 2 shown]
	s_waitcnt vmcnt(1)
	v_xor_b32_e32 v34, v28, v34
	v_and_b32_e32 v60, 0xff000000, v28
	v_and_b32_e32 v61, 0xff0000, v28
	v_sub_nc_u32_e32 v20, v36, v20
	v_and_b32_e32 v35, 0xff00, v28
	v_sub_nc_u32_e32 v42, v36, v42
	v_sub_nc_u32_e32 v43, v36, v43
	;; [unrolled: 1-line block ×3, first 2 shown]
	v_and_b32_e32 v39, 0xff000000, v39
	v_and_b32_e32 v41, 0xff00, v41
	v_perm_b32 v19, v40, v19, 0xc060c00
	v_sub_nc_u32_e32 v44, v37, v45
	v_sub_nc_u32_e32 v45, v37, v46
	;; [unrolled: 1-line block ×24, first 2 shown]
	v_and_b32_e32 v34, 0xff000000, v42
	v_and_b32_e32 v36, 0xff00, v36
	v_perm_b32 v20, v43, v20, 0xc060c00
	v_or3_b32 v19, v19, v39, v41
	v_and_b32_e32 v39, 0xff000000, v44
	v_and_b32_e32 v40, 0xff00, v46
	v_perm_b32 v21, v45, v21, 0xc060c00
	v_or3_b32 v20, v20, v34, v36
	v_dot4c_i32_i8 v24, v19, v16
	v_and_b32_e32 v16, 0xff000000, v37
	v_and_b32_e32 v19, 0xff00, v48
	v_perm_b32 v22, v47, v22, 0xc060c00
	v_or3_b32 v21, v21, v39, v40
	v_dot4c_i32_i8 v24, v20, v17
	;; [unrolled: 5-line block ×6, first 2 shown]
	v_cvt_f32_f16_e32 v3, v15
	v_mul_f32_e32 v15, v29, v30
	v_or3_b32 v2, v19, v2, v17
	v_dot4c_i32_i8 v24, v1, v4
	v_mul_f32_e32 v1, v15, v3
	s_waitcnt vmcnt(0)
	v_dot4c_i32_i8 v24, v2, v23
	v_mul_f32_e32 v1, 0.5, v1
	v_cvt_f32_i32_e32 v2, v24
	v_fmac_f32_e32 v9, v1, v2
	s_andn2_b32 exec_lo, exec_lo, s9
	s_cbranch_execnz .LBB268_3
; %bb.4:
	s_or_b32 exec_lo, exec_lo, s9
.LBB268_5:
	s_or_b32 exec_lo, exec_lo, s12
	v_mbcnt_lo_u32_b32 v1, -1, 0
	v_xor_b32_e32 v2, 16, v1
	v_xor_b32_e32 v3, 8, v1
	;; [unrolled: 1-line block ×3, first 2 shown]
	v_cmp_gt_i32_e32 vcc_lo, 32, v2
	v_cndmask_b32_e32 v2, v1, v2, vcc_lo
	v_cmp_gt_i32_e32 vcc_lo, 32, v3
	v_lshlrev_b32_e32 v2, 2, v2
	v_cndmask_b32_e32 v3, v1, v3, vcc_lo
	v_cmp_gt_i32_e32 vcc_lo, 32, v4
	ds_bpermute_b32 v2, v2, v9
	v_lshlrev_b32_e32 v3, 2, v3
	v_cndmask_b32_e32 v4, v1, v4, vcc_lo
	v_lshlrev_b32_e32 v4, 2, v4
	s_waitcnt lgkmcnt(0)
	v_add_f32_e32 v2, v9, v2
	ds_bpermute_b32 v3, v3, v2
	s_waitcnt lgkmcnt(0)
	v_add_f32_e32 v2, v2, v3
	ds_bpermute_b32 v3, v4, v2
	v_xor_b32_e32 v4, 2, v1
	v_cmp_gt_i32_e32 vcc_lo, 32, v4
	v_cndmask_b32_e32 v4, v1, v4, vcc_lo
	v_lshlrev_b32_e32 v4, 2, v4
	s_waitcnt lgkmcnt(0)
	v_add_f32_e32 v2, v2, v3
	ds_bpermute_b32 v3, v4, v2
	v_xor_b32_e32 v4, 1, v1
	v_cmp_gt_i32_e32 vcc_lo, 32, v4
	v_cndmask_b32_e32 v4, v1, v4, vcc_lo
	v_cmp_eq_u32_e32 vcc_lo, 0, v0
	s_waitcnt lgkmcnt(0)
	v_add_f32_e32 v1, v2, v3
	v_lshlrev_b32_e32 v2, 2, v4
	ds_bpermute_b32 v2, v2, v1
	s_and_b32 exec_lo, exec_lo, vcc_lo
	s_cbranch_execz .LBB268_7
; %bb.6:
	v_mad_u64_u32 v[3:4], null, s2, s8, v[5:6]
	v_mov_b32_e32 v4, 0
	s_waitcnt lgkmcnt(0)
	v_add_f32_e32 v2, v1, v2
	v_cvt_f16_f32_e32 v2, v2
	v_lshlrev_b64 v[0:1], 1, v[3:4]
	v_add_co_u32 v0, vcc_lo, s10, v0
	v_add_co_ci_u32_e64 v1, null, s11, v1, vcc_lo
	global_store_short v[0:1], v2, off
.LBB268_7:
	s_endpgm
	.section	.rodata,"a",@progbits
	.p2align	6, 0x0
	.amdhsa_kernel _ZL9moe_vec_qIN3c104HalfELi256ELi8E13block_iq3_xxsLi1EXadL_ZL20vec_dot_iq3_xxs_q8_1PKvPK10block_q8_1RKiEEEvS4_S4_PT_PS8_iiii
		.amdhsa_group_segment_fixed_size 0
		.amdhsa_private_segment_fixed_size 0
		.amdhsa_kernarg_size 304
		.amdhsa_user_sgpr_count 6
		.amdhsa_user_sgpr_private_segment_buffer 1
		.amdhsa_user_sgpr_dispatch_ptr 0
		.amdhsa_user_sgpr_queue_ptr 0
		.amdhsa_user_sgpr_kernarg_segment_ptr 1
		.amdhsa_user_sgpr_dispatch_id 0
		.amdhsa_user_sgpr_flat_scratch_init 0
		.amdhsa_user_sgpr_private_segment_size 0
		.amdhsa_wavefront_size32 1
		.amdhsa_uses_dynamic_stack 0
		.amdhsa_system_sgpr_private_segment_wavefront_offset 0
		.amdhsa_system_sgpr_workgroup_id_x 1
		.amdhsa_system_sgpr_workgroup_id_y 0
		.amdhsa_system_sgpr_workgroup_id_z 1
		.amdhsa_system_sgpr_workgroup_info 0
		.amdhsa_system_vgpr_workitem_id 1
		.amdhsa_next_free_vgpr 62
		.amdhsa_next_free_sgpr 17
		.amdhsa_reserve_vcc 1
		.amdhsa_reserve_flat_scratch 0
		.amdhsa_float_round_mode_32 0
		.amdhsa_float_round_mode_16_64 0
		.amdhsa_float_denorm_mode_32 3
		.amdhsa_float_denorm_mode_16_64 3
		.amdhsa_dx10_clamp 1
		.amdhsa_ieee_mode 1
		.amdhsa_fp16_overflow 0
		.amdhsa_workgroup_processor_mode 1
		.amdhsa_memory_ordered 1
		.amdhsa_forward_progress 1
		.amdhsa_shared_vgpr_count 0
		.amdhsa_exception_fp_ieee_invalid_op 0
		.amdhsa_exception_fp_denorm_src 0
		.amdhsa_exception_fp_ieee_div_zero 0
		.amdhsa_exception_fp_ieee_overflow 0
		.amdhsa_exception_fp_ieee_underflow 0
		.amdhsa_exception_fp_ieee_inexact 0
		.amdhsa_exception_int_div_zero 0
	.end_amdhsa_kernel
	.section	.text._ZL9moe_vec_qIN3c104HalfELi256ELi8E13block_iq3_xxsLi1EXadL_ZL20vec_dot_iq3_xxs_q8_1PKvPK10block_q8_1RKiEEEvS4_S4_PT_PS8_iiii,"axG",@progbits,_ZL9moe_vec_qIN3c104HalfELi256ELi8E13block_iq3_xxsLi1EXadL_ZL20vec_dot_iq3_xxs_q8_1PKvPK10block_q8_1RKiEEEvS4_S4_PT_PS8_iiii,comdat
.Lfunc_end268:
	.size	_ZL9moe_vec_qIN3c104HalfELi256ELi8E13block_iq3_xxsLi1EXadL_ZL20vec_dot_iq3_xxs_q8_1PKvPK10block_q8_1RKiEEEvS4_S4_PT_PS8_iiii, .Lfunc_end268-_ZL9moe_vec_qIN3c104HalfELi256ELi8E13block_iq3_xxsLi1EXadL_ZL20vec_dot_iq3_xxs_q8_1PKvPK10block_q8_1RKiEEEvS4_S4_PT_PS8_iiii
                                        ; -- End function
	.set _ZL9moe_vec_qIN3c104HalfELi256ELi8E13block_iq3_xxsLi1EXadL_ZL20vec_dot_iq3_xxs_q8_1PKvPK10block_q8_1RKiEEEvS4_S4_PT_PS8_iiii.num_vgpr, 62
	.set _ZL9moe_vec_qIN3c104HalfELi256ELi8E13block_iq3_xxsLi1EXadL_ZL20vec_dot_iq3_xxs_q8_1PKvPK10block_q8_1RKiEEEvS4_S4_PT_PS8_iiii.num_agpr, 0
	.set _ZL9moe_vec_qIN3c104HalfELi256ELi8E13block_iq3_xxsLi1EXadL_ZL20vec_dot_iq3_xxs_q8_1PKvPK10block_q8_1RKiEEEvS4_S4_PT_PS8_iiii.numbered_sgpr, 17
	.set _ZL9moe_vec_qIN3c104HalfELi256ELi8E13block_iq3_xxsLi1EXadL_ZL20vec_dot_iq3_xxs_q8_1PKvPK10block_q8_1RKiEEEvS4_S4_PT_PS8_iiii.num_named_barrier, 0
	.set _ZL9moe_vec_qIN3c104HalfELi256ELi8E13block_iq3_xxsLi1EXadL_ZL20vec_dot_iq3_xxs_q8_1PKvPK10block_q8_1RKiEEEvS4_S4_PT_PS8_iiii.private_seg_size, 0
	.set _ZL9moe_vec_qIN3c104HalfELi256ELi8E13block_iq3_xxsLi1EXadL_ZL20vec_dot_iq3_xxs_q8_1PKvPK10block_q8_1RKiEEEvS4_S4_PT_PS8_iiii.uses_vcc, 1
	.set _ZL9moe_vec_qIN3c104HalfELi256ELi8E13block_iq3_xxsLi1EXadL_ZL20vec_dot_iq3_xxs_q8_1PKvPK10block_q8_1RKiEEEvS4_S4_PT_PS8_iiii.uses_flat_scratch, 0
	.set _ZL9moe_vec_qIN3c104HalfELi256ELi8E13block_iq3_xxsLi1EXadL_ZL20vec_dot_iq3_xxs_q8_1PKvPK10block_q8_1RKiEEEvS4_S4_PT_PS8_iiii.has_dyn_sized_stack, 0
	.set _ZL9moe_vec_qIN3c104HalfELi256ELi8E13block_iq3_xxsLi1EXadL_ZL20vec_dot_iq3_xxs_q8_1PKvPK10block_q8_1RKiEEEvS4_S4_PT_PS8_iiii.has_recursion, 0
	.set _ZL9moe_vec_qIN3c104HalfELi256ELi8E13block_iq3_xxsLi1EXadL_ZL20vec_dot_iq3_xxs_q8_1PKvPK10block_q8_1RKiEEEvS4_S4_PT_PS8_iiii.has_indirect_call, 0
	.section	.AMDGPU.csdata,"",@progbits
; Kernel info:
; codeLenInByte = 1724
; TotalNumSgprs: 19
; NumVgprs: 62
; ScratchSize: 0
; MemoryBound: 0
; FloatMode: 240
; IeeeMode: 1
; LDSByteSize: 0 bytes/workgroup (compile time only)
; SGPRBlocks: 0
; VGPRBlocks: 7
; NumSGPRsForWavesPerEU: 19
; NumVGPRsForWavesPerEU: 62
; Occupancy: 16
; WaveLimiterHint : 1
; COMPUTE_PGM_RSRC2:SCRATCH_EN: 0
; COMPUTE_PGM_RSRC2:USER_SGPR: 6
; COMPUTE_PGM_RSRC2:TRAP_HANDLER: 0
; COMPUTE_PGM_RSRC2:TGID_X_EN: 1
; COMPUTE_PGM_RSRC2:TGID_Y_EN: 0
; COMPUTE_PGM_RSRC2:TGID_Z_EN: 1
; COMPUTE_PGM_RSRC2:TIDIG_COMP_CNT: 1
	.section	.text._ZL9moe_vec_qIN3c104HalfELi256ELi8E11block_iq1_sLi1EXadL_ZL18vec_dot_iq1_s_q8_1PKvPK10block_q8_1RKiEEEvS4_S4_PT_PS8_iiii,"axG",@progbits,_ZL9moe_vec_qIN3c104HalfELi256ELi8E11block_iq1_sLi1EXadL_ZL18vec_dot_iq1_s_q8_1PKvPK10block_q8_1RKiEEEvS4_S4_PT_PS8_iiii,comdat
	.globl	_ZL9moe_vec_qIN3c104HalfELi256ELi8E11block_iq1_sLi1EXadL_ZL18vec_dot_iq1_s_q8_1PKvPK10block_q8_1RKiEEEvS4_S4_PT_PS8_iiii ; -- Begin function _ZL9moe_vec_qIN3c104HalfELi256ELi8E11block_iq1_sLi1EXadL_ZL18vec_dot_iq1_s_q8_1PKvPK10block_q8_1RKiEEEvS4_S4_PT_PS8_iiii
	.p2align	8
	.type	_ZL9moe_vec_qIN3c104HalfELi256ELi8E11block_iq1_sLi1EXadL_ZL18vec_dot_iq1_s_q8_1PKvPK10block_q8_1RKiEEEvS4_S4_PT_PS8_iiii,@function
_ZL9moe_vec_qIN3c104HalfELi256ELi8E11block_iq1_sLi1EXadL_ZL18vec_dot_iq1_s_q8_1PKvPK10block_q8_1RKiEEEvS4_S4_PT_PS8_iiii: ; @_ZL9moe_vec_qIN3c104HalfELi256ELi8E11block_iq1_sLi1EXadL_ZL18vec_dot_iq1_s_q8_1PKvPK10block_q8_1RKiEEEvS4_S4_PT_PS8_iiii
; %bb.0:
	s_mov_b32 s8, s7
	s_clause 0x1
	s_load_dword s7, s[4:5], 0x3c
	s_load_dwordx4 s[0:3], s[4:5], 0x20
	s_waitcnt lgkmcnt(0)
	s_lshr_b32 s7, s7, 16
	v_mad_u64_u32 v[1:2], null, s6, s7, v[1:2]
	s_mov_b32 s6, exec_lo
	v_cmpx_gt_u32_e64 s2, v1
	s_cbranch_execz .LBB269_7
; %bb.1:
	s_load_dwordx2 s[6:7], s[4:5], 0x10
	s_ashr_i32 s9, s1, 31
	v_lshrrev_b32_e32 v4, 3, v0
	s_lshr_b32 s9, s9, 24
	v_mov_b32_e32 v5, 0
	s_add_i32 s1, s1, s9
	s_ashr_i32 s10, s1, 8
	s_mov_b32 s1, exec_lo
	v_cmpx_gt_u32_e64 s10, v4
	s_cbranch_execz .LBB269_5
; %bb.2:
	s_load_dwordx2 s[12:13], s[4:5], 0x18
	s_mov_b32 s9, 0
	v_cvt_f32_u32_e32 v2, s0
	s_lshl_b64 s[14:15], s[8:9], 2
	v_and_b32_e32 v9, 7, v0
	v_mul_lo_u32 v6, v1, s10
	v_mov_b32_e32 v5, 0
	v_rcp_iflag_f32_e32 v2, v2
	v_lshlrev_b32_e32 v7, 3, v4
	v_lshlrev_b32_e32 v8, 1, v9
	;; [unrolled: 1-line block ×3, first 2 shown]
	v_mul_f32_e32 v2, 0x4f7ffffe, v2
	s_waitcnt lgkmcnt(0)
	s_add_u32 s12, s12, s14
	s_addc_u32 s13, s13, s15
	v_cvt_u32_f32_e32 v2, v2
	s_load_dword s11, s[12:13], 0x0
	s_load_dwordx4 s[12:15], s[4:5], 0x0
	s_mul_i32 s4, s10, s2
	s_waitcnt lgkmcnt(0)
	s_mul_i32 s4, s4, s11
	v_readfirstlane_b32 s11, v2
	s_mul_i32 s5, s4, 50
	s_mul_hi_i32 s16, s4, 50
	s_add_u32 s4, s12, s5
	s_addc_u32 s5, s13, s16
	s_sub_i32 s12, 0, s0
	s_mul_i32 s12, s12, s11
	s_mul_hi_u32 s12, s11, s12
	s_add_i32 s11, s11, s12
	s_mul_hi_u32 s11, s8, s11
	s_mul_i32 s12, s11, s0
	s_add_i32 s13, s11, 1
	s_sub_i32 s12, s8, s12
	s_sub_i32 s16, s12, s0
	s_cmp_ge_u32 s12, s0
	s_cselect_b32 s11, s13, s11
	s_cselect_b32 s12, s16, s12
	s_add_i32 s13, s11, 1
	s_cmp_ge_u32 s12, s0
	s_cselect_b32 s0, s13, s11
	s_mov_b32 s13, s9
	s_mul_i32 s12, s0, s3
	s_mov_b32 s0, 0xb7000000
	s_lshl_b64 s[12:13], s[12:13], 2
	s_add_u32 s12, s14, s12
	s_addc_u32 s13, s15, s13
	v_mad_u64_u32 v[2:3], null, v9, 36, s[12:13]
	v_lshlrev_b32_e32 v9, 1, v9
	s_getpc_b64 s[12:13]
	s_add_u32 s12, s12, _ZL13iq1s_grid_gpu@rel32@lo+4
	s_addc_u32 s13, s13, _ZL13iq1s_grid_gpu@rel32@hi+12
.LBB269_3:                              ; =>This Inner Loop Header: Depth=1
	v_add_nc_u32_e32 v10, v6, v4
	v_mad_i64_i32 v[18:19], null, v7, 36, v[2:3]
	v_add_nc_u32_e32 v4, 4, v4
	v_add_nc_u32_e32 v7, 32, v7
	v_mad_i64_i32 v[10:11], null, v10, 50, s[4:5]
	v_add_co_u32 v12, vcc_lo, v10, v8
	v_add_co_ci_u32_e64 v13, null, 0, v11, vcc_lo
	v_add_co_u32 v14, vcc_lo, v10, v9
	v_add_co_ci_u32_e64 v15, null, 0, v11, vcc_lo
	s_clause 0x2
	global_load_dword v16, v[12:13], off offset:2
	global_load_ushort v20, v[14:15], off offset:34
	global_load_ushort v21, v[10:11], off
	v_cmp_le_u32_e32 vcc_lo, s10, v4
	s_or_b32 s9, vcc_lo, s9
	s_waitcnt vmcnt(2)
	v_and_b32_e32 v10, 0xff, v16
	s_waitcnt vmcnt(1)
	v_lshlrev_b32_e32 v11, 8, v20
	v_bfe_u32 v14, v16, 8, 8
	v_lshlrev_b32_e32 v15, 5, v20
	v_lshrrev_b32_e32 v24, 24, v16
	v_lshrrev_b32_e32 v25, 1, v20
	v_and_or_b32 v10, 0x700, v11, v10
	v_and_or_b32 v14, 0x700, v15, v14
	v_bfe_u32 v15, v16, 16, 8
	v_and_or_b32 v24, 0x700, v25, v24
	v_lshlrev_b32_e32 v17, 3, v10
	global_load_dwordx4 v[10:13], v[18:19], off
	v_lshlrev_b32_e32 v14, 3, v14
	v_lshlrev_b32_e32 v24, 3, v24
	s_clause 0x1
	global_load_dword v22, v17, s[12:13]
	global_load_dword v23, v14, s[12:13]
	v_lshlrev_b32_e32 v17, 2, v20
	v_and_or_b32 v15, 0x700, v17, v15
	v_lshlrev_b32_e32 v26, 3, v15
	global_load_dwordx4 v[14:17], v[18:19], off offset:16
	s_clause 0x1
	global_load_dword v25, v26, s[12:13]
	global_load_dword v24, v24, s[12:13]
	global_load_dword v18, v[18:19], off offset:32
	v_mov_b32_e32 v19, 0
	s_waitcnt vmcnt(5)
	v_lshrrev_b32_e32 v26, 4, v22
	v_and_b32_e32 v22, 0xf0f0f0f, v22
	v_and_b32_e32 v26, 0xf0f0f0f, v26
	v_dot4c_i32_i8 v19, v22, v11
	s_waitcnt vmcnt(4)
	v_and_b32_e32 v11, 0xf0f0f0f, v23
	v_lshrrev_b32_e32 v22, 4, v23
	v_dot4c_i32_i8 v19, v26, v12
	v_and_b32_e32 v12, 0xf0f0f0f, v22
	v_dot4c_i32_i8 v19, v11, v13
	s_waitcnt vmcnt(2)
	v_and_b32_e32 v11, 0xf0f0f0f, v25
	v_lshrrev_b32_e32 v13, 4, v25
	v_dot4c_i32_i8 v19, v12, v14
	s_waitcnt vmcnt(1)
	v_lshrrev_b32_e32 v14, 4, v24
	v_and_b32_e32 v12, 0xf0f0f0f, v13
	v_and_b32_e32 v13, 0xf0f0f0f, v24
	v_dot4c_i32_i8 v19, v11, v15
	v_and_b32_e32 v11, 0x8000, v20
	v_and_b32_e32 v14, 0xf0f0f0f, v14
	v_dot4c_i32_i8 v19, v12, v16
	v_lshrrev_b32_e32 v12, 11, v20
	v_cvt_f32_u32_e32 v11, v11
	v_dot4c_i32_i8 v19, v13, v17
	v_cvt_f32_f16_sdwa v13, v10 dst_sel:DWORD dst_unused:UNUSED_PAD src0_sel:WORD_1
	v_and_or_b32 v12, v12, 14, 1
	v_fmaak_f32 v11, s0, v11, 0xbf600000
	s_waitcnt vmcnt(0)
	v_dot4c_i32_i8 v19, v14, v18
	v_cvt_f32_f16_e32 v14, v21
	v_cvt_f32_ubyte0_e32 v12, v12
	v_mul_f32_e32 v11, v11, v13
	v_cvt_f32_i32_e32 v13, v19
	v_mul_f32_e32 v12, v12, v14
	v_fma_mix_f32 v10, v13, v10, v11 op_sel_hi:[0,1,0]
	v_fmac_f32_e32 v5, v12, v10
	s_andn2_b32 exec_lo, exec_lo, s9
	s_cbranch_execnz .LBB269_3
; %bb.4:
	s_or_b32 exec_lo, exec_lo, s9
.LBB269_5:
	s_or_b32 exec_lo, exec_lo, s1
	v_mbcnt_lo_u32_b32 v2, -1, 0
	v_xor_b32_e32 v3, 16, v2
	v_xor_b32_e32 v4, 8, v2
	v_cmp_gt_i32_e32 vcc_lo, 32, v3
	v_cndmask_b32_e32 v3, v2, v3, vcc_lo
	v_cmp_gt_i32_e32 vcc_lo, 32, v4
	v_lshlrev_b32_e32 v3, 2, v3
	v_cndmask_b32_e32 v4, v2, v4, vcc_lo
	ds_bpermute_b32 v3, v3, v5
	v_lshlrev_b32_e32 v4, 2, v4
	s_waitcnt lgkmcnt(0)
	v_add_f32_e32 v3, v5, v3
	v_xor_b32_e32 v5, 4, v2
	ds_bpermute_b32 v4, v4, v3
	v_cmp_gt_i32_e32 vcc_lo, 32, v5
	v_cndmask_b32_e32 v5, v2, v5, vcc_lo
	v_lshlrev_b32_e32 v5, 2, v5
	s_waitcnt lgkmcnt(0)
	v_add_f32_e32 v3, v3, v4
	ds_bpermute_b32 v4, v5, v3
	v_xor_b32_e32 v5, 2, v2
	v_cmp_gt_i32_e32 vcc_lo, 32, v5
	v_cndmask_b32_e32 v5, v2, v5, vcc_lo
	v_lshlrev_b32_e32 v5, 2, v5
	s_waitcnt lgkmcnt(0)
	v_add_f32_e32 v3, v3, v4
	ds_bpermute_b32 v4, v5, v3
	v_xor_b32_e32 v5, 1, v2
	v_cmp_gt_i32_e32 vcc_lo, 32, v5
	v_cndmask_b32_e32 v5, v2, v5, vcc_lo
	v_cmp_eq_u32_e32 vcc_lo, 0, v0
	s_waitcnt lgkmcnt(0)
	v_add_f32_e32 v2, v3, v4
	v_lshlrev_b32_e32 v3, 2, v5
	ds_bpermute_b32 v3, v3, v2
	s_and_b32 exec_lo, exec_lo, vcc_lo
	s_cbranch_execz .LBB269_7
; %bb.6:
	v_mad_u64_u32 v[0:1], null, s2, s8, v[1:2]
	v_mov_b32_e32 v1, 0
	s_waitcnt lgkmcnt(0)
	v_add_f32_e32 v2, v2, v3
	v_cvt_f16_f32_e32 v2, v2
	v_lshlrev_b64 v[0:1], 1, v[0:1]
	v_add_co_u32 v0, vcc_lo, s6, v0
	v_add_co_ci_u32_e64 v1, null, s7, v1, vcc_lo
	global_store_short v[0:1], v2, off
.LBB269_7:
	s_endpgm
	.section	.rodata,"a",@progbits
	.p2align	6, 0x0
	.amdhsa_kernel _ZL9moe_vec_qIN3c104HalfELi256ELi8E11block_iq1_sLi1EXadL_ZL18vec_dot_iq1_s_q8_1PKvPK10block_q8_1RKiEEEvS4_S4_PT_PS8_iiii
		.amdhsa_group_segment_fixed_size 0
		.amdhsa_private_segment_fixed_size 0
		.amdhsa_kernarg_size 304
		.amdhsa_user_sgpr_count 6
		.amdhsa_user_sgpr_private_segment_buffer 1
		.amdhsa_user_sgpr_dispatch_ptr 0
		.amdhsa_user_sgpr_queue_ptr 0
		.amdhsa_user_sgpr_kernarg_segment_ptr 1
		.amdhsa_user_sgpr_dispatch_id 0
		.amdhsa_user_sgpr_flat_scratch_init 0
		.amdhsa_user_sgpr_private_segment_size 0
		.amdhsa_wavefront_size32 1
		.amdhsa_uses_dynamic_stack 0
		.amdhsa_system_sgpr_private_segment_wavefront_offset 0
		.amdhsa_system_sgpr_workgroup_id_x 1
		.amdhsa_system_sgpr_workgroup_id_y 0
		.amdhsa_system_sgpr_workgroup_id_z 1
		.amdhsa_system_sgpr_workgroup_info 0
		.amdhsa_system_vgpr_workitem_id 1
		.amdhsa_next_free_vgpr 27
		.amdhsa_next_free_sgpr 17
		.amdhsa_reserve_vcc 1
		.amdhsa_reserve_flat_scratch 0
		.amdhsa_float_round_mode_32 0
		.amdhsa_float_round_mode_16_64 0
		.amdhsa_float_denorm_mode_32 3
		.amdhsa_float_denorm_mode_16_64 3
		.amdhsa_dx10_clamp 1
		.amdhsa_ieee_mode 1
		.amdhsa_fp16_overflow 0
		.amdhsa_workgroup_processor_mode 1
		.amdhsa_memory_ordered 1
		.amdhsa_forward_progress 1
		.amdhsa_shared_vgpr_count 0
		.amdhsa_exception_fp_ieee_invalid_op 0
		.amdhsa_exception_fp_denorm_src 0
		.amdhsa_exception_fp_ieee_div_zero 0
		.amdhsa_exception_fp_ieee_overflow 0
		.amdhsa_exception_fp_ieee_underflow 0
		.amdhsa_exception_fp_ieee_inexact 0
		.amdhsa_exception_int_div_zero 0
	.end_amdhsa_kernel
	.section	.text._ZL9moe_vec_qIN3c104HalfELi256ELi8E11block_iq1_sLi1EXadL_ZL18vec_dot_iq1_s_q8_1PKvPK10block_q8_1RKiEEEvS4_S4_PT_PS8_iiii,"axG",@progbits,_ZL9moe_vec_qIN3c104HalfELi256ELi8E11block_iq1_sLi1EXadL_ZL18vec_dot_iq1_s_q8_1PKvPK10block_q8_1RKiEEEvS4_S4_PT_PS8_iiii,comdat
.Lfunc_end269:
	.size	_ZL9moe_vec_qIN3c104HalfELi256ELi8E11block_iq1_sLi1EXadL_ZL18vec_dot_iq1_s_q8_1PKvPK10block_q8_1RKiEEEvS4_S4_PT_PS8_iiii, .Lfunc_end269-_ZL9moe_vec_qIN3c104HalfELi256ELi8E11block_iq1_sLi1EXadL_ZL18vec_dot_iq1_s_q8_1PKvPK10block_q8_1RKiEEEvS4_S4_PT_PS8_iiii
                                        ; -- End function
	.set _ZL9moe_vec_qIN3c104HalfELi256ELi8E11block_iq1_sLi1EXadL_ZL18vec_dot_iq1_s_q8_1PKvPK10block_q8_1RKiEEEvS4_S4_PT_PS8_iiii.num_vgpr, 27
	.set _ZL9moe_vec_qIN3c104HalfELi256ELi8E11block_iq1_sLi1EXadL_ZL18vec_dot_iq1_s_q8_1PKvPK10block_q8_1RKiEEEvS4_S4_PT_PS8_iiii.num_agpr, 0
	.set _ZL9moe_vec_qIN3c104HalfELi256ELi8E11block_iq1_sLi1EXadL_ZL18vec_dot_iq1_s_q8_1PKvPK10block_q8_1RKiEEEvS4_S4_PT_PS8_iiii.numbered_sgpr, 17
	.set _ZL9moe_vec_qIN3c104HalfELi256ELi8E11block_iq1_sLi1EXadL_ZL18vec_dot_iq1_s_q8_1PKvPK10block_q8_1RKiEEEvS4_S4_PT_PS8_iiii.num_named_barrier, 0
	.set _ZL9moe_vec_qIN3c104HalfELi256ELi8E11block_iq1_sLi1EXadL_ZL18vec_dot_iq1_s_q8_1PKvPK10block_q8_1RKiEEEvS4_S4_PT_PS8_iiii.private_seg_size, 0
	.set _ZL9moe_vec_qIN3c104HalfELi256ELi8E11block_iq1_sLi1EXadL_ZL18vec_dot_iq1_s_q8_1PKvPK10block_q8_1RKiEEEvS4_S4_PT_PS8_iiii.uses_vcc, 1
	.set _ZL9moe_vec_qIN3c104HalfELi256ELi8E11block_iq1_sLi1EXadL_ZL18vec_dot_iq1_s_q8_1PKvPK10block_q8_1RKiEEEvS4_S4_PT_PS8_iiii.uses_flat_scratch, 0
	.set _ZL9moe_vec_qIN3c104HalfELi256ELi8E11block_iq1_sLi1EXadL_ZL18vec_dot_iq1_s_q8_1PKvPK10block_q8_1RKiEEEvS4_S4_PT_PS8_iiii.has_dyn_sized_stack, 0
	.set _ZL9moe_vec_qIN3c104HalfELi256ELi8E11block_iq1_sLi1EXadL_ZL18vec_dot_iq1_s_q8_1PKvPK10block_q8_1RKiEEEvS4_S4_PT_PS8_iiii.has_recursion, 0
	.set _ZL9moe_vec_qIN3c104HalfELi256ELi8E11block_iq1_sLi1EXadL_ZL18vec_dot_iq1_s_q8_1PKvPK10block_q8_1RKiEEEvS4_S4_PT_PS8_iiii.has_indirect_call, 0
	.section	.AMDGPU.csdata,"",@progbits
; Kernel info:
; codeLenInByte = 1080
; TotalNumSgprs: 19
; NumVgprs: 27
; ScratchSize: 0
; MemoryBound: 0
; FloatMode: 240
; IeeeMode: 1
; LDSByteSize: 0 bytes/workgroup (compile time only)
; SGPRBlocks: 0
; VGPRBlocks: 3
; NumSGPRsForWavesPerEU: 19
; NumVGPRsForWavesPerEU: 27
; Occupancy: 16
; WaveLimiterHint : 1
; COMPUTE_PGM_RSRC2:SCRATCH_EN: 0
; COMPUTE_PGM_RSRC2:USER_SGPR: 6
; COMPUTE_PGM_RSRC2:TRAP_HANDLER: 0
; COMPUTE_PGM_RSRC2:TGID_X_EN: 1
; COMPUTE_PGM_RSRC2:TGID_Y_EN: 0
; COMPUTE_PGM_RSRC2:TGID_Z_EN: 1
; COMPUTE_PGM_RSRC2:TIDIG_COMP_CNT: 1
	.section	.text._ZL9moe_vec_qIN3c104HalfELi32ELi4E12block_iq4_nlLi2EXadL_ZL19vec_dot_iq4_nl_q8_1PKvPK10block_q8_1RKiEEEvS4_S4_PT_PS8_iiii,"axG",@progbits,_ZL9moe_vec_qIN3c104HalfELi32ELi4E12block_iq4_nlLi2EXadL_ZL19vec_dot_iq4_nl_q8_1PKvPK10block_q8_1RKiEEEvS4_S4_PT_PS8_iiii,comdat
	.globl	_ZL9moe_vec_qIN3c104HalfELi32ELi4E12block_iq4_nlLi2EXadL_ZL19vec_dot_iq4_nl_q8_1PKvPK10block_q8_1RKiEEEvS4_S4_PT_PS8_iiii ; -- Begin function _ZL9moe_vec_qIN3c104HalfELi32ELi4E12block_iq4_nlLi2EXadL_ZL19vec_dot_iq4_nl_q8_1PKvPK10block_q8_1RKiEEEvS4_S4_PT_PS8_iiii
	.p2align	8
	.type	_ZL9moe_vec_qIN3c104HalfELi32ELi4E12block_iq4_nlLi2EXadL_ZL19vec_dot_iq4_nl_q8_1PKvPK10block_q8_1RKiEEEvS4_S4_PT_PS8_iiii,@function
_ZL9moe_vec_qIN3c104HalfELi32ELi4E12block_iq4_nlLi2EXadL_ZL19vec_dot_iq4_nl_q8_1PKvPK10block_q8_1RKiEEEvS4_S4_PT_PS8_iiii: ; @_ZL9moe_vec_qIN3c104HalfELi32ELi4E12block_iq4_nlLi2EXadL_ZL19vec_dot_iq4_nl_q8_1PKvPK10block_q8_1RKiEEEvS4_S4_PT_PS8_iiii
; %bb.0:
	s_mov_b32 s8, s7
	s_clause 0x1
	s_load_dword s7, s[4:5], 0x3c
	s_load_dwordx4 s[0:3], s[4:5], 0x20
	s_waitcnt lgkmcnt(0)
	s_lshr_b32 s7, s7, 16
	v_mad_u64_u32 v[1:2], null, s6, s7, v[1:2]
	s_mov_b32 s6, exec_lo
	v_cmpx_gt_u32_e64 s2, v1
	s_cbranch_execz .LBB270_7
; %bb.1:
	v_cvt_f32_u32_e32 v2, s0
	s_load_dwordx2 s[10:11], s[4:5], 0x10
	s_ashr_i32 s6, s1, 31
	s_mov_b32 s12, exec_lo
	s_lshr_b32 s6, s6, 27
	v_rcp_iflag_f32_e32 v2, v2
	s_add_i32 s1, s1, s6
	s_ashr_i32 s13, s1, 5
	v_mul_f32_e32 v3, 0x4f7ffffe, v2
	v_lshrrev_b32_e32 v2, 1, v0
	v_cvt_u32_f32_e32 v3, v3
	v_readfirstlane_b32 s1, v3
	v_mov_b32_e32 v3, 0
	v_cmpx_gt_u32_e64 s13, v2
	s_cbranch_execz .LBB270_5
; %bb.2:
	s_load_dwordx2 s[6:7], s[4:5], 0x18
	s_sub_i32 s9, 0, s0
	v_lshlrev_b32_e32 v5, 1, v0
	s_mul_i32 s14, s9, s1
	s_mov_b32 s9, 0
	s_mul_hi_u32 s16, s1, s14
	s_lshl_b64 s[14:15], s[8:9], 2
	s_add_i32 s1, s1, s16
	v_and_b32_e32 v6, 2, v5
	s_mul_hi_u32 s1, s8, s1
	s_mul_i32 s16, s13, s2
	s_mul_i32 s17, s1, s0
	v_mul_lo_u32 v4, v1, s13
	v_lshlrev_b32_e32 v5, 1, v6
	v_mov_b32_e32 v3, 0
	v_lshlrev_b32_e32 v6, 2, v6
	v_lshlrev_b32_e32 v5, 1, v5
	s_waitcnt lgkmcnt(0)
	s_add_u32 s14, s6, s14
	s_addc_u32 s15, s7, s15
	s_load_dwordx4 s[4:7], s[4:5], 0x0
	s_load_dword s14, s[14:15], 0x0
	s_sub_i32 s17, s8, s17
	s_add_i32 s18, s1, 1
	s_sub_i32 s19, s17, s0
	s_cmp_ge_u32 s17, s0
	s_mov_b32 s15, s9
	s_cselect_b32 s1, s18, s1
	s_cselect_b32 s17, s19, s17
	s_add_i32 s18, s1, 1
	s_cmp_ge_u32 s17, s0
	s_cselect_b32 s0, s18, s1
	s_waitcnt lgkmcnt(0)
	s_mul_i32 s1, s16, s14
	s_mul_i32 s14, s0, s3
	;; [unrolled: 1-line block ×3, first 2 shown]
	s_mul_hi_i32 s1, s1, 18
	s_add_u32 s0, s4, s0
	s_addc_u32 s1, s5, s1
	s_lshl_b64 s[4:5], s[14:15], 2
	s_add_u32 s4, s6, s4
	s_addc_u32 s5, s7, s5
	s_getpc_b64 s[6:7]
	s_add_u32 s6, s6, _ZL13kvalues_iq4nl@rel32@lo+4
	s_addc_u32 s7, s7, _ZL13kvalues_iq4nl@rel32@hi+12
.LBB270_3:                              ; =>This Inner Loop Header: Depth=1
	v_add_nc_u32_e32 v7, v4, v2
	v_mad_i64_i32 v[11:12], null, v2, 36, s[4:5]
	v_add_nc_u32_e32 v2, 16, v2
	v_mad_i64_i32 v[7:8], null, v7, 18, s[0:1]
	v_add_co_u32 v9, vcc_lo, v7, v5
	v_add_co_ci_u32_e64 v10, null, 0, v8, vcc_lo
	v_add_co_u32 v13, vcc_lo, v11, v6
	v_add_co_ci_u32_e64 v14, null, 0, v12, vcc_lo
	global_load_dwordx2 v[9:10], v[9:10], off offset:2
	v_cmp_le_u32_e32 vcc_lo, s13, v2
	s_or_b32 s9, vcc_lo, s9
	s_waitcnt vmcnt(0)
	v_and_b32_e32 v16, 15, v9
	v_bfe_u32 v17, v9, 8, 4
	v_bfe_u32 v18, v9, 16, 4
	v_bfe_u32 v15, v9, 24, 4
	v_bfe_u32 v19, v9, 12, 4
	v_bfe_u32 v20, v9, 20, 4
	v_lshrrev_b32_e32 v21, 28, v9
	v_bfe_u32 v9, v9, 4, 4
	v_bfe_u32 v22, v10, 24, 4
	v_and_b32_e32 v23, 15, v10
	v_bfe_u32 v24, v10, 8, 4
	v_bfe_u32 v25, v10, 16, 4
	v_bfe_u32 v26, v10, 12, 4
	v_bfe_u32 v27, v10, 20, 4
	v_lshrrev_b32_e32 v28, 28, v10
	v_bfe_u32 v10, v10, 4, 4
	s_clause 0xf
	global_load_ubyte v16, v16, s[6:7]
	global_load_ubyte v17, v17, s[6:7]
	;; [unrolled: 1-line block ×16, first 2 shown]
	s_clause 0x2
	global_load_dwordx2 v[9:10], v[13:14], off offset:4
	global_load_dwordx2 v[13:14], v[13:14], off offset:20
	global_load_dword v11, v[11:12], off
	global_load_ushort v7, v[7:8], off
	v_mov_b32_e32 v8, 0
	v_mov_b32_e32 v12, 0
	s_waitcnt vmcnt(18)
	v_lshl_or_b32 v16, v17, 8, v16
	s_waitcnt vmcnt(17)
	v_lshlrev_b32_e32 v18, 16, v18
	s_waitcnt vmcnt(15)
	v_lshl_or_b32 v19, v19, 8, v29
	s_waitcnt vmcnt(14)
	v_lshlrev_b32_e32 v20, 16, v20
	s_waitcnt vmcnt(13)
	v_lshlrev_b32_e32 v17, 24, v21
	;; [unrolled: 2-line block ×3, first 2 shown]
	v_or3_b32 v15, v16, v18, v15
	s_waitcnt vmcnt(6)
	v_lshlrev_b32_e32 v21, 24, v22
	v_lshlrev_b32_e32 v22, 16, v25
	s_waitcnt vmcnt(5)
	v_lshl_or_b32 v23, v24, 8, v23
	v_lshlrev_b32_e32 v24, 24, v28
	v_lshlrev_b32_e32 v25, 16, v27
	s_waitcnt vmcnt(4)
	v_lshl_or_b32 v26, v26, 8, v30
	v_or3_b32 v16, v19, v20, v17
	v_or3_b32 v17, v23, v22, v21
	s_waitcnt vmcnt(3)
	v_dot4c_i32_i8 v8, v15, v9
	s_waitcnt vmcnt(1)
	v_cvt_f32_f16_e32 v9, v11
	v_or3_b32 v18, v26, v25, v24
	v_dot4c_i32_i8 v12, v16, v13
	s_waitcnt vmcnt(0)
	v_cvt_f32_f16_e32 v7, v7
	v_dot4c_i32_i8 v8, v17, v10
	v_dot4c_i32_i8 v12, v18, v14
	v_mul_f32_e32 v7, v7, v9
	v_add_nc_u32_e32 v8, v12, v8
	v_cvt_f32_i32_e32 v8, v8
	v_fmac_f32_e32 v3, v7, v8
	s_andn2_b32 exec_lo, exec_lo, s9
	s_cbranch_execnz .LBB270_3
; %bb.4:
	s_or_b32 exec_lo, exec_lo, s9
.LBB270_5:
	s_or_b32 exec_lo, exec_lo, s12
	v_mbcnt_lo_u32_b32 v2, -1, 0
	v_xor_b32_e32 v4, 16, v2
	v_xor_b32_e32 v5, 8, v2
	v_cmp_gt_i32_e32 vcc_lo, 32, v4
	v_cndmask_b32_e32 v4, v2, v4, vcc_lo
	v_cmp_gt_i32_e32 vcc_lo, 32, v5
	v_lshlrev_b32_e32 v4, 2, v4
	v_cndmask_b32_e32 v5, v2, v5, vcc_lo
	ds_bpermute_b32 v4, v4, v3
	v_lshlrev_b32_e32 v5, 2, v5
	s_waitcnt lgkmcnt(0)
	v_add_f32_e32 v3, v3, v4
	ds_bpermute_b32 v4, v5, v3
	v_xor_b32_e32 v5, 4, v2
	v_cmp_gt_i32_e32 vcc_lo, 32, v5
	v_cndmask_b32_e32 v5, v2, v5, vcc_lo
	v_lshlrev_b32_e32 v5, 2, v5
	s_waitcnt lgkmcnt(0)
	v_add_f32_e32 v3, v3, v4
	ds_bpermute_b32 v4, v5, v3
	v_xor_b32_e32 v5, 2, v2
	v_cmp_gt_i32_e32 vcc_lo, 32, v5
	v_cndmask_b32_e32 v5, v2, v5, vcc_lo
	;; [unrolled: 7-line block ×3, first 2 shown]
	v_cmp_eq_u32_e32 vcc_lo, 0, v0
	s_waitcnt lgkmcnt(0)
	v_add_f32_e32 v2, v3, v4
	v_lshlrev_b32_e32 v3, 2, v5
	ds_bpermute_b32 v3, v3, v2
	s_and_b32 exec_lo, exec_lo, vcc_lo
	s_cbranch_execz .LBB270_7
; %bb.6:
	v_mad_u64_u32 v[0:1], null, s2, s8, v[1:2]
	v_mov_b32_e32 v1, 0
	s_waitcnt lgkmcnt(0)
	v_add_f32_e32 v2, v2, v3
	v_cvt_f16_f32_e32 v2, v2
	v_lshlrev_b64 v[0:1], 1, v[0:1]
	v_add_co_u32 v0, vcc_lo, s10, v0
	v_add_co_ci_u32_e64 v1, null, s11, v1, vcc_lo
	global_store_short v[0:1], v2, off
.LBB270_7:
	s_endpgm
	.section	.rodata,"a",@progbits
	.p2align	6, 0x0
	.amdhsa_kernel _ZL9moe_vec_qIN3c104HalfELi32ELi4E12block_iq4_nlLi2EXadL_ZL19vec_dot_iq4_nl_q8_1PKvPK10block_q8_1RKiEEEvS4_S4_PT_PS8_iiii
		.amdhsa_group_segment_fixed_size 0
		.amdhsa_private_segment_fixed_size 0
		.amdhsa_kernarg_size 304
		.amdhsa_user_sgpr_count 6
		.amdhsa_user_sgpr_private_segment_buffer 1
		.amdhsa_user_sgpr_dispatch_ptr 0
		.amdhsa_user_sgpr_queue_ptr 0
		.amdhsa_user_sgpr_kernarg_segment_ptr 1
		.amdhsa_user_sgpr_dispatch_id 0
		.amdhsa_user_sgpr_flat_scratch_init 0
		.amdhsa_user_sgpr_private_segment_size 0
		.amdhsa_wavefront_size32 1
		.amdhsa_uses_dynamic_stack 0
		.amdhsa_system_sgpr_private_segment_wavefront_offset 0
		.amdhsa_system_sgpr_workgroup_id_x 1
		.amdhsa_system_sgpr_workgroup_id_y 0
		.amdhsa_system_sgpr_workgroup_id_z 1
		.amdhsa_system_sgpr_workgroup_info 0
		.amdhsa_system_vgpr_workitem_id 1
		.amdhsa_next_free_vgpr 31
		.amdhsa_next_free_sgpr 20
		.amdhsa_reserve_vcc 1
		.amdhsa_reserve_flat_scratch 0
		.amdhsa_float_round_mode_32 0
		.amdhsa_float_round_mode_16_64 0
		.amdhsa_float_denorm_mode_32 3
		.amdhsa_float_denorm_mode_16_64 3
		.amdhsa_dx10_clamp 1
		.amdhsa_ieee_mode 1
		.amdhsa_fp16_overflow 0
		.amdhsa_workgroup_processor_mode 1
		.amdhsa_memory_ordered 1
		.amdhsa_forward_progress 1
		.amdhsa_shared_vgpr_count 0
		.amdhsa_exception_fp_ieee_invalid_op 0
		.amdhsa_exception_fp_denorm_src 0
		.amdhsa_exception_fp_ieee_div_zero 0
		.amdhsa_exception_fp_ieee_overflow 0
		.amdhsa_exception_fp_ieee_underflow 0
		.amdhsa_exception_fp_ieee_inexact 0
		.amdhsa_exception_int_div_zero 0
	.end_amdhsa_kernel
	.section	.text._ZL9moe_vec_qIN3c104HalfELi32ELi4E12block_iq4_nlLi2EXadL_ZL19vec_dot_iq4_nl_q8_1PKvPK10block_q8_1RKiEEEvS4_S4_PT_PS8_iiii,"axG",@progbits,_ZL9moe_vec_qIN3c104HalfELi32ELi4E12block_iq4_nlLi2EXadL_ZL19vec_dot_iq4_nl_q8_1PKvPK10block_q8_1RKiEEEvS4_S4_PT_PS8_iiii,comdat
.Lfunc_end270:
	.size	_ZL9moe_vec_qIN3c104HalfELi32ELi4E12block_iq4_nlLi2EXadL_ZL19vec_dot_iq4_nl_q8_1PKvPK10block_q8_1RKiEEEvS4_S4_PT_PS8_iiii, .Lfunc_end270-_ZL9moe_vec_qIN3c104HalfELi32ELi4E12block_iq4_nlLi2EXadL_ZL19vec_dot_iq4_nl_q8_1PKvPK10block_q8_1RKiEEEvS4_S4_PT_PS8_iiii
                                        ; -- End function
	.set _ZL9moe_vec_qIN3c104HalfELi32ELi4E12block_iq4_nlLi2EXadL_ZL19vec_dot_iq4_nl_q8_1PKvPK10block_q8_1RKiEEEvS4_S4_PT_PS8_iiii.num_vgpr, 31
	.set _ZL9moe_vec_qIN3c104HalfELi32ELi4E12block_iq4_nlLi2EXadL_ZL19vec_dot_iq4_nl_q8_1PKvPK10block_q8_1RKiEEEvS4_S4_PT_PS8_iiii.num_agpr, 0
	.set _ZL9moe_vec_qIN3c104HalfELi32ELi4E12block_iq4_nlLi2EXadL_ZL19vec_dot_iq4_nl_q8_1PKvPK10block_q8_1RKiEEEvS4_S4_PT_PS8_iiii.numbered_sgpr, 20
	.set _ZL9moe_vec_qIN3c104HalfELi32ELi4E12block_iq4_nlLi2EXadL_ZL19vec_dot_iq4_nl_q8_1PKvPK10block_q8_1RKiEEEvS4_S4_PT_PS8_iiii.num_named_barrier, 0
	.set _ZL9moe_vec_qIN3c104HalfELi32ELi4E12block_iq4_nlLi2EXadL_ZL19vec_dot_iq4_nl_q8_1PKvPK10block_q8_1RKiEEEvS4_S4_PT_PS8_iiii.private_seg_size, 0
	.set _ZL9moe_vec_qIN3c104HalfELi32ELi4E12block_iq4_nlLi2EXadL_ZL19vec_dot_iq4_nl_q8_1PKvPK10block_q8_1RKiEEEvS4_S4_PT_PS8_iiii.uses_vcc, 1
	.set _ZL9moe_vec_qIN3c104HalfELi32ELi4E12block_iq4_nlLi2EXadL_ZL19vec_dot_iq4_nl_q8_1PKvPK10block_q8_1RKiEEEvS4_S4_PT_PS8_iiii.uses_flat_scratch, 0
	.set _ZL9moe_vec_qIN3c104HalfELi32ELi4E12block_iq4_nlLi2EXadL_ZL19vec_dot_iq4_nl_q8_1PKvPK10block_q8_1RKiEEEvS4_S4_PT_PS8_iiii.has_dyn_sized_stack, 0
	.set _ZL9moe_vec_qIN3c104HalfELi32ELi4E12block_iq4_nlLi2EXadL_ZL19vec_dot_iq4_nl_q8_1PKvPK10block_q8_1RKiEEEvS4_S4_PT_PS8_iiii.has_recursion, 0
	.set _ZL9moe_vec_qIN3c104HalfELi32ELi4E12block_iq4_nlLi2EXadL_ZL19vec_dot_iq4_nl_q8_1PKvPK10block_q8_1RKiEEEvS4_S4_PT_PS8_iiii.has_indirect_call, 0
	.section	.AMDGPU.csdata,"",@progbits
; Kernel info:
; codeLenInByte = 1128
; TotalNumSgprs: 22
; NumVgprs: 31
; ScratchSize: 0
; MemoryBound: 0
; FloatMode: 240
; IeeeMode: 1
; LDSByteSize: 0 bytes/workgroup (compile time only)
; SGPRBlocks: 0
; VGPRBlocks: 3
; NumSGPRsForWavesPerEU: 22
; NumVGPRsForWavesPerEU: 31
; Occupancy: 16
; WaveLimiterHint : 1
; COMPUTE_PGM_RSRC2:SCRATCH_EN: 0
; COMPUTE_PGM_RSRC2:USER_SGPR: 6
; COMPUTE_PGM_RSRC2:TRAP_HANDLER: 0
; COMPUTE_PGM_RSRC2:TGID_X_EN: 1
; COMPUTE_PGM_RSRC2:TGID_Y_EN: 0
; COMPUTE_PGM_RSRC2:TGID_Z_EN: 1
; COMPUTE_PGM_RSRC2:TIDIG_COMP_CNT: 1
	.section	.text._ZL9moe_vec_qIN3c104HalfELi256ELi8E11block_iq3_sLi1EXadL_ZL18vec_dot_iq3_s_q8_1PKvPK10block_q8_1RKiEEEvS4_S4_PT_PS8_iiii,"axG",@progbits,_ZL9moe_vec_qIN3c104HalfELi256ELi8E11block_iq3_sLi1EXadL_ZL18vec_dot_iq3_s_q8_1PKvPK10block_q8_1RKiEEEvS4_S4_PT_PS8_iiii,comdat
	.globl	_ZL9moe_vec_qIN3c104HalfELi256ELi8E11block_iq3_sLi1EXadL_ZL18vec_dot_iq3_s_q8_1PKvPK10block_q8_1RKiEEEvS4_S4_PT_PS8_iiii ; -- Begin function _ZL9moe_vec_qIN3c104HalfELi256ELi8E11block_iq3_sLi1EXadL_ZL18vec_dot_iq3_s_q8_1PKvPK10block_q8_1RKiEEEvS4_S4_PT_PS8_iiii
	.p2align	8
	.type	_ZL9moe_vec_qIN3c104HalfELi256ELi8E11block_iq3_sLi1EXadL_ZL18vec_dot_iq3_s_q8_1PKvPK10block_q8_1RKiEEEvS4_S4_PT_PS8_iiii,@function
_ZL9moe_vec_qIN3c104HalfELi256ELi8E11block_iq3_sLi1EXadL_ZL18vec_dot_iq3_s_q8_1PKvPK10block_q8_1RKiEEEvS4_S4_PT_PS8_iiii: ; @_ZL9moe_vec_qIN3c104HalfELi256ELi8E11block_iq3_sLi1EXadL_ZL18vec_dot_iq3_s_q8_1PKvPK10block_q8_1RKiEEEvS4_S4_PT_PS8_iiii
; %bb.0:
	s_mov_b32 s8, s7
	s_clause 0x1
	s_load_dword s7, s[4:5], 0x3c
	s_load_dwordx4 s[0:3], s[4:5], 0x20
	s_waitcnt lgkmcnt(0)
	s_lshr_b32 s7, s7, 16
	v_mad_u64_u32 v[1:2], null, s6, s7, v[1:2]
	s_mov_b32 s6, exec_lo
	v_cmpx_gt_u32_e64 s2, v1
	s_cbranch_execz .LBB271_9
; %bb.1:
	s_load_dwordx2 s[10:11], s[4:5], 0x10
	s_ashr_i32 s6, s1, 31
	v_lshrrev_b32_e32 v18, 3, v0
	s_lshr_b32 s6, s6, 24
	v_mov_b32_e32 v19, 0
	s_add_i32 s1, s1, s6
	s_ashr_i32 s12, s1, 8
	s_mov_b32 s1, exec_lo
	v_cmpx_gt_u32_e64 s12, v18
	s_cbranch_execz .LBB271_7
; %bb.2:
	s_load_dwordx2 s[6:7], s[4:5], 0x18
	s_mov_b32 s9, 0
	v_cvt_f32_u32_e32 v2, s0
	s_lshl_b64 s[14:15], s[8:9], 2
	v_and_b32_e32 v21, 7, v0
	v_mul_lo_u32 v20, v1, s12
	v_mov_b32_e32 v19, 0
	v_rcp_iflag_f32_e32 v2, v2
	v_bfe_u32 v22, v0, 1, 2
	v_lshlrev_b32_e32 v3, 3, v21
	v_mov_b32_e32 v25, 0xffff
	v_add_nc_u32_e32 v24, v18, v20
	v_mul_f32_e32 v2, 0x4f7ffffe, v2
	s_waitcnt lgkmcnt(0)
	s_add_u32 s6, s6, s14
	s_addc_u32 s7, s7, s15
	v_cvt_u32_f32_e32 v2, v2
	s_load_dword s13, s[6:7], 0x0
	s_load_dwordx4 s[4:7], s[4:5], 0x0
	s_mul_i32 s14, s12, s2
	s_waitcnt lgkmcnt(0)
	s_mul_i32 s13, s14, s13
	v_readfirstlane_b32 s14, v2
	s_mul_i32 s15, s13, 0x6e
	s_mul_hi_i32 s13, s13, 0x6e
	s_add_u32 s4, s4, s15
	s_addc_u32 s5, s5, s13
	s_sub_i32 s13, 0, s0
	v_lshlrev_b32_e32 v2, 2, v0
	s_mul_i32 s13, s13, s14
	s_mov_b32 s15, s9
	s_mul_hi_u32 s13, s14, s13
	s_add_i32 s14, s14, s13
	v_and_b32_e32 v23, 4, v2
	s_mul_hi_u32 s13, s8, s14
	v_lshlrev_b32_e32 v2, 2, v21
	s_mul_i32 s14, s13, s0
	s_add_i32 s16, s13, 1
	s_sub_i32 s14, s8, s14
	s_sub_i32 s17, s14, s0
	s_cmp_ge_u32 s14, s0
	s_cselect_b32 s13, s16, s13
	s_cselect_b32 s14, s17, s14
	s_add_i32 s16, s13, 1
	s_cmp_ge_u32 s14, s0
	s_cselect_b32 s0, s16, s13
	v_add_co_u32 v2, s13, s4, v2
	s_mul_i32 s14, s0, s3
	v_add_co_ci_u32_e64 v4, null, s5, 0, s13
	s_lshl_b64 s[14:15], s[14:15], 2
	v_add_co_u32 v6, s0, s4, v3
	s_add_u32 s6, s6, s14
	v_add_co_ci_u32_e64 v7, null, s5, 0, s0
	v_add_co_u32 v2, vcc_lo, 0x4a, v2
	s_addc_u32 s7, s7, s15
	v_add_co_ci_u32_e64 v3, null, 0, v4, vcc_lo
	v_mad_u64_u32 v[4:5], null, v21, 36, s[6:7]
	v_add_co_u32 v6, vcc_lo, v6, 2
	v_add_co_ci_u32_e64 v7, null, 0, v7, vcc_lo
.LBB271_3:                              ; =>This Loop Header: Depth=1
                                        ;     Child Loop BB271_4 Depth 2
	v_add_nc_u32_e32 v8, v18, v20
	v_mad_i64_i32 v[12:13], null, 0x6e, v24, v[2:3]
	v_mad_i64_i32 v[14:15], null, 0x6e, v24, v[6:7]
	;; [unrolled: 1-line block ×3, first 2 shown]
	v_mov_b32_e32 v26, 0
	s_mov_b32 s0, 7
	v_add_co_u32 v10, vcc_lo, v8, v21
	v_add_co_ci_u32_e64 v11, null, 0, v9, vcc_lo
	global_load_ubyte v27, v[10:11], off offset:66
	v_lshlrev_b32_e32 v10, 3, v18
	v_mad_i64_i32 v[10:11], null, v10, 36, v[4:5]
	v_add_co_u32 v16, vcc_lo, v10, 4
	v_add_co_ci_u32_e64 v17, null, 0, v11, vcc_lo
.LBB271_4:                              ;   Parent Loop BB271_3 Depth=1
                                        ; =>  This Inner Loop Header: Depth=2
	global_load_ushort v28, v[14:15], off
	global_load_ubyte v30, v[12:13], off
	s_add_i32 s3, s0, 1
	s_waitcnt vmcnt(2)
	v_lshlrev_b32_e32 v29, s0, v27
	v_lshlrev_b32_e32 v31, s3, v27
	s_getpc_b64 s[6:7]
	s_add_u32 s6, s6, _ZL10iq3xs_grid@rel32@lo+4
	s_addc_u32 s7, s7, _ZL10iq3xs_grid@rel32@hi+12
	s_add_i32 s0, s0, -2
	s_cmp_lg_u32 s0, -1
	s_waitcnt vmcnt(1)
	v_and_b32_e32 v32, 0xff, v28
	v_and_b32_sdwa v28, v25, v28 dst_sel:DWORD dst_unused:UNUSED_PAD src0_sel:DWORD src1_sel:BYTE_1
	s_waitcnt vmcnt(0)
	v_and_b32_e32 v33, 15, v30
	v_lshrrev_b16 v30, 4, v30
	v_and_or_b32 v31, 0x100, v31, v32
	v_and_or_b32 v28, 0x100, v29, v28
	v_and_b32_e32 v33, 0xffff, v33
	v_and_b32_e32 v30, 0xffff, v30
	v_lshlrev_b32_e32 v29, 2, v31
	v_lshlrev_b32_e32 v28, 2, v28
	v_mul_lo_u32 v33, 0x1010101, v33
	v_mul_lo_u32 v30, 0x1010101, v30
	s_clause 0x1
	global_load_dword v31, v29, s[6:7]
	global_load_dword v32, v28, s[6:7]
	global_load_dwordx2 v[28:29], v[16:17], off
	v_add_co_u32 v16, vcc_lo, v16, 8
	v_add_co_ci_u32_e64 v17, null, 0, v17, vcc_lo
	v_not_b32_e32 v33, v33
	v_not_b32_e32 v30, v30
	v_and_b32_e32 v34, 0x8040201, v33
	v_and_b32_e32 v35, 0x40000, v33
	;; [unrolled: 1-line block ×5, first 2 shown]
	v_cmp_gt_u32_e32 vcc_lo, 0x1000000, v34
	v_and_b32_e32 v38, 0x40000, v30
	v_and_b32_e32 v39, 0x200, v30
	;; [unrolled: 1-line block ×3, first 2 shown]
	v_cndmask_b32_e64 v34, 0, -1, vcc_lo
	v_cmp_eq_u32_e32 vcc_lo, 0, v35
	v_lshlrev_b32_e32 v34, 24, v34
	v_cndmask_b32_e64 v35, 0, 0xff0000, vcc_lo
	v_cmp_eq_u32_e32 vcc_lo, 0, v36
	v_cndmask_b32_e64 v36, 0, 0xff00, vcc_lo
	v_cmp_eq_u32_e32 vcc_lo, 0, v33
	v_cndmask_b32_e64 v33, 0, 0xff, vcc_lo
	v_cmp_gt_u32_e32 vcc_lo, 0x1000000, v37
	v_or_b32_e32 v40, v36, v33
	v_cndmask_b32_e64 v37, 0, -1, vcc_lo
	v_cmp_eq_u32_e32 vcc_lo, 0, v38
	v_or3_b32 v40, v40, v35, v34
	v_lshlrev_b32_e32 v37, 24, v37
	v_cndmask_b32_e64 v38, 0, 0xff0000, vcc_lo
	v_cmp_eq_u32_e32 vcc_lo, 0, v39
	v_cndmask_b32_e64 v39, 0, 0xff00, vcc_lo
	v_cmp_eq_u32_e32 vcc_lo, 0, v30
	v_cndmask_b32_e64 v30, 0, 0xff, vcc_lo
	v_add_co_u32 v12, vcc_lo, v12, 1
	v_add_co_ci_u32_e64 v13, null, 0, v13, vcc_lo
	v_or_b32_e32 v41, v39, v30
	v_add_co_u32 v14, vcc_lo, v14, 2
	v_add_co_ci_u32_e64 v15, null, 0, v15, vcc_lo
	v_or3_b32 v41, v41, v38, v37
	s_waitcnt vmcnt(2)
	v_xor_b32_e32 v31, v40, v31
	s_waitcnt vmcnt(1)
	v_xor_b32_e32 v32, v41, v32
	v_sub_nc_u32_e32 v34, v31, v34
	v_sub_nc_u32_e32 v35, v31, v35
	;; [unrolled: 1-line block ×8, first 2 shown]
	v_and_b32_e32 v32, 0xff000000, v34
	v_and_b32_e32 v34, 0xff00, v36
	v_perm_b32 v31, v35, v31, 0xc060c00
	v_and_b32_e32 v33, 0xff000000, v33
	v_and_b32_e32 v35, 0xff00, v38
	v_perm_b32 v30, v37, v30, 0xc060c00
	v_or3_b32 v31, v31, v32, v34
	v_or3_b32 v30, v30, v33, v35
	s_waitcnt vmcnt(0)
	v_dot4c_i32_i8 v26, v31, v28
	v_dot4c_i32_i8 v26, v30, v29
	s_cbranch_scc1 .LBB271_4
; %bb.5:                                ;   in Loop: Header=BB271_3 Depth=1
	v_add_co_u32 v12, vcc_lo, v8, v22
	v_add_co_ci_u32_e64 v13, null, 0, v9, vcc_lo
	v_add_nc_u32_e32 v18, 4, v18
	v_add_nc_u32_e32 v24, 4, v24
	s_clause 0x1
	global_load_ubyte v12, v[12:13], off offset:106
	global_load_ushort v8, v[8:9], off
	global_load_dword v9, v[10:11], off
	v_cmp_le_u32_e32 vcc_lo, s12, v18
	s_or_b32 s9, vcc_lo, s9
	s_waitcnt vmcnt(2)
	v_bfe_u32 v10, v12, v23, 4
	s_waitcnt vmcnt(1)
	v_cvt_f32_f16_e32 v8, v8
	s_waitcnt vmcnt(0)
	v_cvt_f32_f16_e32 v9, v9
	v_cvt_f32_ubyte0_e32 v10, v10
	v_add_f32_e32 v10, 0.5, v10
	v_mul_f32_e32 v8, v10, v8
	v_mul_f32_e32 v8, v8, v9
	v_cvt_f32_i32_e32 v9, v26
	v_mul_f32_e32 v8, 0.5, v8
	v_fmac_f32_e32 v19, v8, v9
	s_andn2_b32 exec_lo, exec_lo, s9
	s_cbranch_execnz .LBB271_3
; %bb.6:
	s_or_b32 exec_lo, exec_lo, s9
.LBB271_7:
	s_or_b32 exec_lo, exec_lo, s1
	v_mbcnt_lo_u32_b32 v2, -1, 0
	v_xor_b32_e32 v3, 16, v2
	v_xor_b32_e32 v4, 8, v2
	;; [unrolled: 1-line block ×3, first 2 shown]
	v_cmp_gt_i32_e32 vcc_lo, 32, v3
	v_cndmask_b32_e32 v3, v2, v3, vcc_lo
	v_cmp_gt_i32_e32 vcc_lo, 32, v4
	v_lshlrev_b32_e32 v3, 2, v3
	v_cndmask_b32_e32 v4, v2, v4, vcc_lo
	v_cmp_gt_i32_e32 vcc_lo, 32, v5
	ds_bpermute_b32 v3, v3, v19
	v_lshlrev_b32_e32 v4, 2, v4
	v_cndmask_b32_e32 v5, v2, v5, vcc_lo
	v_lshlrev_b32_e32 v5, 2, v5
	s_waitcnt lgkmcnt(0)
	v_add_f32_e32 v3, v19, v3
	ds_bpermute_b32 v4, v4, v3
	s_waitcnt lgkmcnt(0)
	v_add_f32_e32 v3, v3, v4
	ds_bpermute_b32 v4, v5, v3
	v_xor_b32_e32 v5, 2, v2
	v_cmp_gt_i32_e32 vcc_lo, 32, v5
	v_cndmask_b32_e32 v5, v2, v5, vcc_lo
	v_lshlrev_b32_e32 v5, 2, v5
	s_waitcnt lgkmcnt(0)
	v_add_f32_e32 v3, v3, v4
	ds_bpermute_b32 v4, v5, v3
	v_xor_b32_e32 v5, 1, v2
	v_cmp_gt_i32_e32 vcc_lo, 32, v5
	v_cndmask_b32_e32 v5, v2, v5, vcc_lo
	v_cmp_eq_u32_e32 vcc_lo, 0, v0
	s_waitcnt lgkmcnt(0)
	v_add_f32_e32 v2, v3, v4
	v_lshlrev_b32_e32 v3, 2, v5
	ds_bpermute_b32 v3, v3, v2
	s_and_b32 exec_lo, exec_lo, vcc_lo
	s_cbranch_execz .LBB271_9
; %bb.8:
	v_mad_u64_u32 v[0:1], null, s2, s8, v[1:2]
	v_mov_b32_e32 v1, 0
	s_waitcnt lgkmcnt(0)
	v_add_f32_e32 v2, v2, v3
	v_cvt_f16_f32_e32 v2, v2
	v_lshlrev_b64 v[0:1], 1, v[0:1]
	v_add_co_u32 v0, vcc_lo, s10, v0
	v_add_co_ci_u32_e64 v1, null, s11, v1, vcc_lo
	global_store_short v[0:1], v2, off
.LBB271_9:
	s_endpgm
	.section	.rodata,"a",@progbits
	.p2align	6, 0x0
	.amdhsa_kernel _ZL9moe_vec_qIN3c104HalfELi256ELi8E11block_iq3_sLi1EXadL_ZL18vec_dot_iq3_s_q8_1PKvPK10block_q8_1RKiEEEvS4_S4_PT_PS8_iiii
		.amdhsa_group_segment_fixed_size 0
		.amdhsa_private_segment_fixed_size 0
		.amdhsa_kernarg_size 304
		.amdhsa_user_sgpr_count 6
		.amdhsa_user_sgpr_private_segment_buffer 1
		.amdhsa_user_sgpr_dispatch_ptr 0
		.amdhsa_user_sgpr_queue_ptr 0
		.amdhsa_user_sgpr_kernarg_segment_ptr 1
		.amdhsa_user_sgpr_dispatch_id 0
		.amdhsa_user_sgpr_flat_scratch_init 0
		.amdhsa_user_sgpr_private_segment_size 0
		.amdhsa_wavefront_size32 1
		.amdhsa_uses_dynamic_stack 0
		.amdhsa_system_sgpr_private_segment_wavefront_offset 0
		.amdhsa_system_sgpr_workgroup_id_x 1
		.amdhsa_system_sgpr_workgroup_id_y 0
		.amdhsa_system_sgpr_workgroup_id_z 1
		.amdhsa_system_sgpr_workgroup_info 0
		.amdhsa_system_vgpr_workitem_id 1
		.amdhsa_next_free_vgpr 42
		.amdhsa_next_free_sgpr 18
		.amdhsa_reserve_vcc 1
		.amdhsa_reserve_flat_scratch 0
		.amdhsa_float_round_mode_32 0
		.amdhsa_float_round_mode_16_64 0
		.amdhsa_float_denorm_mode_32 3
		.amdhsa_float_denorm_mode_16_64 3
		.amdhsa_dx10_clamp 1
		.amdhsa_ieee_mode 1
		.amdhsa_fp16_overflow 0
		.amdhsa_workgroup_processor_mode 1
		.amdhsa_memory_ordered 1
		.amdhsa_forward_progress 1
		.amdhsa_shared_vgpr_count 0
		.amdhsa_exception_fp_ieee_invalid_op 0
		.amdhsa_exception_fp_denorm_src 0
		.amdhsa_exception_fp_ieee_div_zero 0
		.amdhsa_exception_fp_ieee_overflow 0
		.amdhsa_exception_fp_ieee_underflow 0
		.amdhsa_exception_fp_ieee_inexact 0
		.amdhsa_exception_int_div_zero 0
	.end_amdhsa_kernel
	.section	.text._ZL9moe_vec_qIN3c104HalfELi256ELi8E11block_iq3_sLi1EXadL_ZL18vec_dot_iq3_s_q8_1PKvPK10block_q8_1RKiEEEvS4_S4_PT_PS8_iiii,"axG",@progbits,_ZL9moe_vec_qIN3c104HalfELi256ELi8E11block_iq3_sLi1EXadL_ZL18vec_dot_iq3_s_q8_1PKvPK10block_q8_1RKiEEEvS4_S4_PT_PS8_iiii,comdat
.Lfunc_end271:
	.size	_ZL9moe_vec_qIN3c104HalfELi256ELi8E11block_iq3_sLi1EXadL_ZL18vec_dot_iq3_s_q8_1PKvPK10block_q8_1RKiEEEvS4_S4_PT_PS8_iiii, .Lfunc_end271-_ZL9moe_vec_qIN3c104HalfELi256ELi8E11block_iq3_sLi1EXadL_ZL18vec_dot_iq3_s_q8_1PKvPK10block_q8_1RKiEEEvS4_S4_PT_PS8_iiii
                                        ; -- End function
	.set _ZL9moe_vec_qIN3c104HalfELi256ELi8E11block_iq3_sLi1EXadL_ZL18vec_dot_iq3_s_q8_1PKvPK10block_q8_1RKiEEEvS4_S4_PT_PS8_iiii.num_vgpr, 42
	.set _ZL9moe_vec_qIN3c104HalfELi256ELi8E11block_iq3_sLi1EXadL_ZL18vec_dot_iq3_s_q8_1PKvPK10block_q8_1RKiEEEvS4_S4_PT_PS8_iiii.num_agpr, 0
	.set _ZL9moe_vec_qIN3c104HalfELi256ELi8E11block_iq3_sLi1EXadL_ZL18vec_dot_iq3_s_q8_1PKvPK10block_q8_1RKiEEEvS4_S4_PT_PS8_iiii.numbered_sgpr, 18
	.set _ZL9moe_vec_qIN3c104HalfELi256ELi8E11block_iq3_sLi1EXadL_ZL18vec_dot_iq3_s_q8_1PKvPK10block_q8_1RKiEEEvS4_S4_PT_PS8_iiii.num_named_barrier, 0
	.set _ZL9moe_vec_qIN3c104HalfELi256ELi8E11block_iq3_sLi1EXadL_ZL18vec_dot_iq3_s_q8_1PKvPK10block_q8_1RKiEEEvS4_S4_PT_PS8_iiii.private_seg_size, 0
	.set _ZL9moe_vec_qIN3c104HalfELi256ELi8E11block_iq3_sLi1EXadL_ZL18vec_dot_iq3_s_q8_1PKvPK10block_q8_1RKiEEEvS4_S4_PT_PS8_iiii.uses_vcc, 1
	.set _ZL9moe_vec_qIN3c104HalfELi256ELi8E11block_iq3_sLi1EXadL_ZL18vec_dot_iq3_s_q8_1PKvPK10block_q8_1RKiEEEvS4_S4_PT_PS8_iiii.uses_flat_scratch, 0
	.set _ZL9moe_vec_qIN3c104HalfELi256ELi8E11block_iq3_sLi1EXadL_ZL18vec_dot_iq3_s_q8_1PKvPK10block_q8_1RKiEEEvS4_S4_PT_PS8_iiii.has_dyn_sized_stack, 0
	.set _ZL9moe_vec_qIN3c104HalfELi256ELi8E11block_iq3_sLi1EXadL_ZL18vec_dot_iq3_s_q8_1PKvPK10block_q8_1RKiEEEvS4_S4_PT_PS8_iiii.has_recursion, 0
	.set _ZL9moe_vec_qIN3c104HalfELi256ELi8E11block_iq3_sLi1EXadL_ZL18vec_dot_iq3_s_q8_1PKvPK10block_q8_1RKiEEEvS4_S4_PT_PS8_iiii.has_indirect_call, 0
	.section	.AMDGPU.csdata,"",@progbits
; Kernel info:
; codeLenInByte = 1484
; TotalNumSgprs: 20
; NumVgprs: 42
; ScratchSize: 0
; MemoryBound: 0
; FloatMode: 240
; IeeeMode: 1
; LDSByteSize: 0 bytes/workgroup (compile time only)
; SGPRBlocks: 0
; VGPRBlocks: 5
; NumSGPRsForWavesPerEU: 20
; NumVGPRsForWavesPerEU: 42
; Occupancy: 16
; WaveLimiterHint : 1
; COMPUTE_PGM_RSRC2:SCRATCH_EN: 0
; COMPUTE_PGM_RSRC2:USER_SGPR: 6
; COMPUTE_PGM_RSRC2:TRAP_HANDLER: 0
; COMPUTE_PGM_RSRC2:TGID_X_EN: 1
; COMPUTE_PGM_RSRC2:TGID_Y_EN: 0
; COMPUTE_PGM_RSRC2:TGID_Z_EN: 1
; COMPUTE_PGM_RSRC2:TIDIG_COMP_CNT: 1
	.section	.text._ZL9moe_vec_qIN3c104HalfELi256ELi8E11block_iq2_sLi1EXadL_ZL18vec_dot_iq2_s_q8_1PKvPK10block_q8_1RKiEEEvS4_S4_PT_PS8_iiii,"axG",@progbits,_ZL9moe_vec_qIN3c104HalfELi256ELi8E11block_iq2_sLi1EXadL_ZL18vec_dot_iq2_s_q8_1PKvPK10block_q8_1RKiEEEvS4_S4_PT_PS8_iiii,comdat
	.globl	_ZL9moe_vec_qIN3c104HalfELi256ELi8E11block_iq2_sLi1EXadL_ZL18vec_dot_iq2_s_q8_1PKvPK10block_q8_1RKiEEEvS4_S4_PT_PS8_iiii ; -- Begin function _ZL9moe_vec_qIN3c104HalfELi256ELi8E11block_iq2_sLi1EXadL_ZL18vec_dot_iq2_s_q8_1PKvPK10block_q8_1RKiEEEvS4_S4_PT_PS8_iiii
	.p2align	8
	.type	_ZL9moe_vec_qIN3c104HalfELi256ELi8E11block_iq2_sLi1EXadL_ZL18vec_dot_iq2_s_q8_1PKvPK10block_q8_1RKiEEEvS4_S4_PT_PS8_iiii,@function
_ZL9moe_vec_qIN3c104HalfELi256ELi8E11block_iq2_sLi1EXadL_ZL18vec_dot_iq2_s_q8_1PKvPK10block_q8_1RKiEEEvS4_S4_PT_PS8_iiii: ; @_ZL9moe_vec_qIN3c104HalfELi256ELi8E11block_iq2_sLi1EXadL_ZL18vec_dot_iq2_s_q8_1PKvPK10block_q8_1RKiEEEvS4_S4_PT_PS8_iiii
; %bb.0:
	s_mov_b32 s8, s7
	s_clause 0x1
	s_load_dword s7, s[4:5], 0x3c
	s_load_dwordx4 s[0:3], s[4:5], 0x20
	s_waitcnt lgkmcnt(0)
	s_lshr_b32 s7, s7, 16
	v_mad_u64_u32 v[5:6], null, s6, s7, v[1:2]
	s_mov_b32 s6, exec_lo
	v_cmpx_gt_u32_e64 s2, v5
	s_cbranch_execz .LBB272_7
; %bb.1:
	s_load_dwordx2 s[6:7], s[4:5], 0x10
	s_ashr_i32 s9, s1, 31
	v_lshrrev_b32_e32 v12, 3, v0
	s_lshr_b32 s9, s9, 24
	v_mov_b32_e32 v13, 0
	s_add_i32 s1, s1, s9
	s_mov_b32 s10, exec_lo
	s_ashr_i32 s11, s1, 8
	v_cmpx_gt_u32_e64 s11, v12
	s_cbranch_execz .LBB272_5
; %bb.2:
	s_load_dwordx2 s[12:13], s[4:5], 0x18
	s_mov_b32 s9, 0
	v_cvt_f32_u32_e32 v1, s0
	s_lshl_b64 s[14:15], s[8:9], 2
	v_and_b32_e32 v14, 7, v0
	v_mul_lo_u32 v15, v5, s11
	v_mov_b32_e32 v13, 0
	v_rcp_iflag_f32_e32 v1, v1
	v_lshlrev_b32_e32 v17, 3, v12
	v_lshlrev_b32_e32 v16, 2, v14
	v_mul_f32_e32 v1, 0x4f7ffffe, v1
	s_waitcnt lgkmcnt(0)
	s_add_u32 s12, s12, s14
	s_addc_u32 s13, s13, s15
	v_cvt_u32_f32_e32 v1, v1
	s_load_dword s1, s[12:13], 0x0
	s_load_dwordx4 s[12:15], s[4:5], 0x0
	s_mul_i32 s4, s11, s2
	v_readfirstlane_b32 s16, v1
	s_waitcnt lgkmcnt(0)
	s_mul_i32 s1, s4, s1
	s_mul_i32 s4, s1, 0x52
	s_mul_hi_i32 s1, s1, 0x52
	s_add_u32 s4, s12, s4
	s_addc_u32 s5, s13, s1
	s_sub_i32 s1, 0, s0
	s_mul_i32 s1, s1, s16
	s_mul_hi_u32 s1, s16, s1
	s_add_i32 s16, s16, s1
	s_mul_hi_u32 s1, s8, s16
	s_mul_i32 s12, s1, s0
	s_add_i32 s13, s1, 1
	s_sub_i32 s12, s8, s12
	s_sub_i32 s16, s12, s0
	s_cmp_ge_u32 s12, s0
	s_cselect_b32 s1, s13, s1
	s_cselect_b32 s12, s16, s12
	s_add_i32 s13, s1, 1
	s_cmp_ge_u32 s12, s0
	s_cselect_b32 s0, s13, s1
	s_mov_b32 s1, s9
	s_mul_i32 s0, s0, s3
	s_lshl_b64 s[0:1], s[0:1], 2
	s_add_u32 s0, s14, s0
	s_addc_u32 s1, s15, s1
	v_mad_u64_u32 v[6:7], null, v14, 36, s[0:1]
.LBB272_3:                              ; =>This Inner Loop Header: Depth=1
	v_add_nc_u32_e32 v1, v15, v12
	v_mad_i64_i32 v[10:11], null, v17, 36, v[6:7]
	s_getpc_b64 s[0:1]
	s_add_u32 s0, s0, _ZL9iq2s_grid@rel32@lo+4
	s_addc_u32 s1, s1, _ZL9iq2s_grid@rel32@hi+12
	v_add_nc_u32_e32 v12, 4, v12
	v_mad_i64_i32 v[8:9], null, 0x52, v1, s[4:5]
	v_add_nc_u32_e32 v17, 32, v17
	s_clause 0x1
	global_load_dwordx4 v[1:4], v[10:11], off
	global_load_dword v18, v[10:11], off offset:32
	v_add_co_u32 v19, vcc_lo, v8, v16
	v_add_co_ci_u32_e64 v20, null, 0, v9, vcc_lo
	v_add_co_u32 v21, vcc_lo, v8, v14
	v_add_co_ci_u32_e64 v22, null, 0, v9, vcc_lo
	s_clause 0x3
	global_load_dword v23, v[19:20], off offset:2
	global_load_ubyte v24, v[21:22], off offset:66
	global_load_dword v20, v[19:20], off offset:34
	global_load_ubyte v19, v[21:22], off offset:74
	s_waitcnt vmcnt(5)
	v_cvt_f32_f16_e32 v1, v1
	s_waitcnt vmcnt(3)
	v_and_b32_e32 v22, 0xff, v23
	s_waitcnt vmcnt(2)
	v_lshlrev_b32_e32 v25, 8, v24
	s_waitcnt vmcnt(1)
	v_and_b32_e32 v28, 15, v20
	v_lshrrev_b16 v29, 4, v20
	v_bfe_u32 v30, v23, 8, 8
	v_lshlrev_b32_e32 v31, 6, v24
	v_lshrrev_b32_e32 v21, 24, v23
	v_lshrrev_b32_e32 v26, 8, v20
	;; [unrolled: 1-line block ×3, first 2 shown]
	v_bfe_u32 v32, v20, 8, 4
	v_bfe_u32 v23, v23, 16, 8
	v_lshlrev_b32_e32 v33, 4, v24
	v_bfe_u32 v34, v20, 16, 4
	v_bfe_u32 v35, v20, 20, 4
	;; [unrolled: 1-line block ×3, first 2 shown]
	v_lshlrev_b32_e32 v24, 2, v24
	v_and_or_b32 v22, 0x300, v25, v22
	v_mul_lo_u32 v25, 0x1010101, v28
	v_and_b32_e32 v28, 15, v29
	v_and_or_b32 v29, 0x300, v31, v30
	v_lshrrev_b16 v26, 4, v26
	v_and_or_b32 v23, 0x300, v33, v23
	v_mul_lo_u32 v20, 0x1010101, v20
	v_and_or_b32 v21, 0x300, v24, v21
	v_lshrrev_b16 v24, 4, v27
	v_lshlrev_b32_e32 v22, 3, v22
	v_lshlrev_b32_e32 v27, 3, v29
	v_and_b32_e32 v29, 15, v26
	v_lshlrev_b32_e32 v26, 3, v23
	v_lshlrev_b32_e32 v33, 3, v21
	v_mul_lo_u32 v30, 0x1010101, v32
	v_mul_lo_u32 v31, 0x1010101, v34
	;; [unrolled: 1-line block ×3, first 2 shown]
	v_and_b32_e32 v34, 0xffff, v24
	v_not_b32_e32 v35, v25
	v_not_b32_e32 v36, v20
	s_clause 0x3
	global_load_dwordx2 v[20:21], v22, s[0:1]
	global_load_dwordx2 v[22:23], v27, s[0:1]
	;; [unrolled: 1-line block ×4, first 2 shown]
	v_and_b32_e32 v28, 0xffff, v28
	v_mul_lo_u32 v33, 0x1010101, v34
	v_and_b32_e32 v34, 0x8040201, v35
	v_and_b32_e32 v37, 0x40000, v35
	;; [unrolled: 1-line block ×3, first 2 shown]
	v_not_b32_e32 v30, v30
	v_and_b32_e32 v35, 1, v35
	v_cmp_gt_u32_e32 vcc_lo, 0x1000000, v34
	v_not_b32_e32 v31, v31
	v_not_b32_e32 v32, v32
	v_and_b32_e32 v39, 0x8040201, v30
	v_and_b32_e32 v40, 0x40000, v30
	v_cndmask_b32_e64 v34, 0, -1, vcc_lo
	v_cmp_eq_u32_e32 vcc_lo, 0, v37
	v_and_b32_e32 v41, 0x200, v30
	v_and_b32_e32 v30, 1, v30
	v_and_b32_e32 v42, 0x8040201, v31
	v_and_b32_e32 v43, 0x40000, v31
	v_cndmask_b32_e64 v37, 0, 0xff0000, vcc_lo
	v_cmp_eq_u32_e32 vcc_lo, 0, v38
	v_and_b32_e32 v44, 0x200, v31
	v_and_b32_e32 v31, 1, v31
	v_and_b32_e32 v45, 0x8040201, v32
	v_and_b32_e32 v46, 0x40000, v32
	v_cndmask_b32_e64 v38, 0, 0xff00, vcc_lo
	;; [unrolled: 6-line block ×3, first 2 shown]
	v_cmp_gt_u32_e32 vcc_lo, 0x1000000, v39
	v_mul_lo_u32 v28, 0x1010101, v28
	v_and_b32_e32 v50, 0x200, v36
	v_and_b32_e32 v36, 1, v36
	;; [unrolled: 1-line block ×3, first 2 shown]
	v_cndmask_b32_e64 v39, 0, -1, vcc_lo
	v_cmp_eq_u32_e32 vcc_lo, 0, v40
	v_lshlrev_b32_e32 v34, 24, v34
	v_or_b32_e32 v51, v38, v35
	v_not_b32_e32 v28, v28
	v_mul_lo_u32 v29, 0x1010101, v29
	v_cndmask_b32_e64 v40, 0, 0xff0000, vcc_lo
	v_cmp_eq_u32_e32 vcc_lo, 0, v41
	v_not_b32_e32 v33, v33
	v_and_b32_e32 v52, 0x8040201, v28
	v_and_b32_e32 v53, 0x40000, v28
	;; [unrolled: 1-line block ×3, first 2 shown]
	v_cndmask_b32_e64 v41, 0, 0xff00, vcc_lo
	v_cmp_eq_u32_e32 vcc_lo, 0, v30
	v_not_b32_e32 v29, v29
	v_and_b32_e32 v28, 1, v28
	v_lshlrev_b32_e32 v39, 24, v39
	v_or3_b32 v51, v51, v37, v34
	v_cndmask_b32_e64 v30, 0, 0xff, vcc_lo
	v_cmp_gt_u32_e32 vcc_lo, 0x1000000, v42
	v_and_b32_e32 v60, 0x8040201, v29
	v_and_b32_e32 v61, 0x200, v29
	;; [unrolled: 1-line block ×4, first 2 shown]
	v_cndmask_b32_e64 v42, 0, -1, vcc_lo
	v_cmp_eq_u32_e32 vcc_lo, 0, v43
	v_cmp_gt_u32_e64 s0, 0x1000000, v60
	v_or_b32_e32 v55, v41, v30
	v_and_b32_e32 v58, 0x40000, v33
	v_lshlrev_b32_e32 v42, 24, v42
	v_cndmask_b32_e64 v43, 0, 0xff0000, vcc_lo
	v_cmp_eq_u32_e32 vcc_lo, 0, v44
	v_cndmask_b32_e64 v60, 0, -1, s0
	v_cmp_eq_u32_e64 s0, 0, v61
	v_or3_b32 v55, v55, v40, v39
	v_cndmask_b32_e64 v44, 0, 0xff00, vcc_lo
	v_cmp_eq_u32_e32 vcc_lo, 0, v31
	v_cndmask_b32_e64 v61, 0, 0xff00, s0
	v_cmp_eq_u32_e64 s0, 0, v29
	v_lshlrev_b32_e32 v60, 24, v60
	v_cndmask_b32_e64 v31, 0, 0xff, vcc_lo
	v_cmp_gt_u32_e32 vcc_lo, 0x1000000, v45
	v_cndmask_b32_e64 v29, 0, 0xff, s0
	v_or_b32_e32 v56, v44, v31
	v_cndmask_b32_e64 v45, 0, -1, vcc_lo
	v_cmp_eq_u32_e32 vcc_lo, 0, v46
	v_lshlrev_b32_e32 v45, 24, v45
	v_cndmask_b32_e64 v46, 0, 0xff0000, vcc_lo
	v_cmp_eq_u32_e32 vcc_lo, 0, v47
	v_cndmask_b32_e64 v47, 0, 0xff00, vcc_lo
	v_cmp_eq_u32_e32 vcc_lo, 0, v32
	v_cndmask_b32_e64 v32, 0, 0xff, vcc_lo
	v_cmp_gt_u32_e32 vcc_lo, 0x1000000, v48
	v_or_b32_e32 v57, v47, v32
	v_cndmask_b32_e64 v48, 0, -1, vcc_lo
	v_cmp_eq_u32_e32 vcc_lo, 0, v49
	v_lshlrev_b32_e32 v48, 24, v48
	v_cndmask_b32_e64 v49, 0, 0xff0000, vcc_lo
	v_cmp_eq_u32_e32 vcc_lo, 0, v50
	v_cndmask_b32_e64 v50, 0, 0xff00, vcc_lo
	v_cmp_eq_u32_e32 vcc_lo, 0, v36
	v_cndmask_b32_e64 v36, 0, 0xff, vcc_lo
	v_cmp_gt_u32_e32 vcc_lo, 0x1000000, v52
	v_cndmask_b32_e64 v52, 0, -1, vcc_lo
	v_cmp_eq_u32_e32 vcc_lo, 0, v53
	v_lshlrev_b32_e32 v52, 24, v52
	v_cndmask_b32_e64 v53, 0, 0xff0000, vcc_lo
	v_cmp_eq_u32_e32 vcc_lo, 0, v54
	v_cndmask_b32_e64 v54, 0, 0xff00, vcc_lo
	v_cmp_eq_u32_e32 vcc_lo, 0, v28
	;; [unrolled: 2-line block ×3, first 2 shown]
	v_or_b32_e32 v59, v54, v28
	v_cndmask_b32_e64 v62, 0, 0xff0000, vcc_lo
	v_cmp_eq_u32_e32 vcc_lo, 0, v58
	v_or3_b32 v59, v59, v53, v52
	s_waitcnt vmcnt(3)
	v_xor_b32_e32 v51, v51, v20
	v_xor_b32_e32 v59, v59, v21
	v_or_b32_e32 v20, v61, v29
	v_and_b32_e32 v21, 0x8040201, v33
	s_waitcnt vmcnt(2)
	v_xor_b32_e32 v55, v55, v22
	v_and_b32_e32 v22, 0x200, v33
	v_sub_nc_u32_e32 v35, v51, v35
	v_or3_b32 v20, v20, v62, v60
	v_cmp_gt_u32_e64 s0, 0x1000000, v21
	v_sub_nc_u32_e32 v40, v55, v40
	v_sub_nc_u32_e32 v30, v55, v30
	;; [unrolled: 1-line block ×3, first 2 shown]
	v_xor_b32_e32 v63, v20, v23
	v_and_b32_e32 v23, 1, v33
	v_cndmask_b32_e64 v21, 0, -1, s0
	v_cmp_eq_u32_e64 s0, 0, v22
	v_or3_b32 v33, v56, v43, v42
	v_or3_b32 v56, v57, v46, v45
	v_or_b32_e32 v20, v50, v36
	v_perm_b32 v30, v40, v30, 0xc060c00
	v_cndmask_b32_e64 v57, 0, 0xff00, s0
	v_cmp_eq_u32_e64 s0, 0, v23
	s_waitcnt vmcnt(1)
	v_xor_b32_e32 v24, v33, v24
	v_xor_b32_e32 v25, v56, v25
	v_cndmask_b32_e64 v33, 0, 0xff0000, vcc_lo
	v_lshlrev_b32_e32 v56, 24, v21
	v_cndmask_b32_e64 v58, 0, 0xff, s0
	v_or3_b32 v20, v20, v49, v48
	v_sub_nc_u32_e32 v42, v24, v42
	v_sub_nc_u32_e32 v43, v24, v43
	;; [unrolled: 1-line block ×3, first 2 shown]
	v_or_b32_e32 v21, v57, v58
	s_waitcnt vmcnt(0)
	v_xor_b32_e32 v26, v20, v26
	v_sub_nc_u32_e32 v24, v24, v31
	v_sub_nc_u32_e32 v31, v25, v45
	;; [unrolled: 1-line block ×3, first 2 shown]
	v_or3_b32 v21, v21, v33, v56
	v_sub_nc_u32_e32 v46, v25, v47
	v_sub_nc_u32_e32 v25, v25, v32
	v_and_b32_e32 v40, 0xff000000, v42
	v_and_b32_e32 v42, 0xff00, v44
	v_xor_b32_e32 v27, v21, v27
	global_load_dwordx4 v[20:23], v[10:11], off offset:16
	global_load_ushort v8, v[8:9], off
	v_sub_nc_u32_e32 v10, v51, v34
	v_sub_nc_u32_e32 v11, v51, v37
	;; [unrolled: 1-line block ×3, first 2 shown]
	v_perm_b32 v24, v43, v24, 0xc060c00
	v_mov_b32_e32 v9, 0
	v_sub_nc_u32_e32 v38, v59, v52
	v_sub_nc_u32_e32 v51, v59, v53
	;; [unrolled: 1-line block ×11, first 2 shown]
	v_and_b32_e32 v10, 0xff000000, v10
	v_perm_b32 v11, v11, v35, 0xc060c00
	v_and_b32_e32 v31, 0xff000000, v31
	v_and_b32_e32 v43, 0xff00, v46
	v_perm_b32 v25, v45, v25, 0xc060c00
	v_and_b32_e32 v34, 0xff00, v34
	v_or3_b32 v24, v24, v40, v42
	v_mov_b32_e32 v37, 0
	v_sub_nc_u32_e32 v39, v55, v39
	v_sub_nc_u32_e32 v41, v55, v41
	v_and_b32_e32 v35, 0xff000000, v38
	v_perm_b32 v28, v51, v28, 0xc060c00
	v_and_b32_e32 v32, 0xff000000, v32
	v_and_b32_e32 v44, 0xff00, v48
	v_perm_b32 v26, v47, v26, 0xc060c00
	v_perm_b32 v27, v33, v27, 0xc060c00
	v_and_b32_e32 v33, 0xff00, v52
	v_or3_b32 v25, v25, v31, v43
	v_or3_b32 v10, v11, v10, v34
	v_sub_nc_u32_e32 v54, v63, v60
	v_sub_nc_u32_e32 v55, v63, v62
	;; [unrolled: 1-line block ×4, first 2 shown]
	v_and_b32_e32 v38, 0xff000000, v39
	v_and_b32_e32 v36, 0xff000000, v36
	;; [unrolled: 1-line block ×4, first 2 shown]
	v_dot4c_i32_i8 v37, v10, v2
	v_lshrrev_b16 v53, 4, v19
	v_and_b32_e32 v39, 0xff000000, v54
	v_perm_b32 v29, v55, v29, 0xc060c00
	v_and_b32_e32 v2, 0xff00, v59
	v_or3_b32 v10, v27, v36, v45
	v_or3_b32 v11, v30, v38, v11
	v_cmp_le_u32_e32 vcc_lo, s11, v12
	v_or3_b32 v2, v29, v39, v2
	s_or_b32 s9, vcc_lo, s9
	s_waitcnt vmcnt(1)
	v_dot4c_i32_i8 v9, v24, v21
	v_or3_b32 v21, v26, v32, v44
	v_or3_b32 v24, v28, v35, v33
	v_dot4c_i32_i8 v9, v25, v22
	v_dot4c_i32_i8 v37, v24, v3
	v_and_b32_e32 v3, 15, v19
	v_cvt_f32_ubyte0_e32 v19, v53
	v_dot4c_i32_i8 v9, v21, v23
	v_dot4c_i32_i8 v37, v11, v4
	s_waitcnt vmcnt(0)
	v_cvt_f32_f16_e32 v4, v8
	v_cvt_f32_ubyte0_e32 v3, v3
	v_dot4c_i32_i8 v9, v10, v18
	v_add_f32_e32 v8, 0.5, v19
	v_dot4c_i32_i8 v37, v2, v20
	v_mul_f32_e32 v1, v4, v1
	v_add_f32_e32 v3, 0.5, v3
	v_cvt_f32_i32_e32 v2, v9
	v_cvt_f32_i32_e32 v4, v37
	v_mul_f32_e32 v1, 0x3e800000, v1
	v_mul_f32_e32 v2, v8, v2
	v_fmac_f32_e32 v2, v3, v4
	v_fmac_f32_e32 v13, v1, v2
	s_andn2_b32 exec_lo, exec_lo, s9
	s_cbranch_execnz .LBB272_3
; %bb.4:
	s_or_b32 exec_lo, exec_lo, s9
.LBB272_5:
	s_or_b32 exec_lo, exec_lo, s10
	v_mbcnt_lo_u32_b32 v1, -1, 0
	v_xor_b32_e32 v2, 16, v1
	v_xor_b32_e32 v3, 8, v1
	;; [unrolled: 1-line block ×3, first 2 shown]
	v_cmp_gt_i32_e32 vcc_lo, 32, v2
	v_cndmask_b32_e32 v2, v1, v2, vcc_lo
	v_cmp_gt_i32_e32 vcc_lo, 32, v3
	v_lshlrev_b32_e32 v2, 2, v2
	v_cndmask_b32_e32 v3, v1, v3, vcc_lo
	v_cmp_gt_i32_e32 vcc_lo, 32, v4
	ds_bpermute_b32 v2, v2, v13
	v_lshlrev_b32_e32 v3, 2, v3
	v_cndmask_b32_e32 v4, v1, v4, vcc_lo
	v_lshlrev_b32_e32 v4, 2, v4
	s_waitcnt lgkmcnt(0)
	v_add_f32_e32 v2, v13, v2
	ds_bpermute_b32 v3, v3, v2
	s_waitcnt lgkmcnt(0)
	v_add_f32_e32 v2, v2, v3
	ds_bpermute_b32 v3, v4, v2
	v_xor_b32_e32 v4, 2, v1
	v_cmp_gt_i32_e32 vcc_lo, 32, v4
	v_cndmask_b32_e32 v4, v1, v4, vcc_lo
	v_lshlrev_b32_e32 v4, 2, v4
	s_waitcnt lgkmcnt(0)
	v_add_f32_e32 v2, v2, v3
	ds_bpermute_b32 v3, v4, v2
	v_xor_b32_e32 v4, 1, v1
	v_cmp_gt_i32_e32 vcc_lo, 32, v4
	v_cndmask_b32_e32 v4, v1, v4, vcc_lo
	v_cmp_eq_u32_e32 vcc_lo, 0, v0
	s_waitcnt lgkmcnt(0)
	v_add_f32_e32 v1, v2, v3
	v_lshlrev_b32_e32 v2, 2, v4
	ds_bpermute_b32 v2, v2, v1
	s_and_b32 exec_lo, exec_lo, vcc_lo
	s_cbranch_execz .LBB272_7
; %bb.6:
	v_mad_u64_u32 v[3:4], null, s2, s8, v[5:6]
	v_mov_b32_e32 v4, 0
	s_waitcnt lgkmcnt(0)
	v_add_f32_e32 v2, v1, v2
	v_cvt_f16_f32_e32 v2, v2
	v_lshlrev_b64 v[0:1], 1, v[3:4]
	v_add_co_u32 v0, vcc_lo, s6, v0
	v_add_co_ci_u32_e64 v1, null, s7, v1, vcc_lo
	global_store_short v[0:1], v2, off
.LBB272_7:
	s_endpgm
	.section	.rodata,"a",@progbits
	.p2align	6, 0x0
	.amdhsa_kernel _ZL9moe_vec_qIN3c104HalfELi256ELi8E11block_iq2_sLi1EXadL_ZL18vec_dot_iq2_s_q8_1PKvPK10block_q8_1RKiEEEvS4_S4_PT_PS8_iiii
		.amdhsa_group_segment_fixed_size 0
		.amdhsa_private_segment_fixed_size 0
		.amdhsa_kernarg_size 304
		.amdhsa_user_sgpr_count 6
		.amdhsa_user_sgpr_private_segment_buffer 1
		.amdhsa_user_sgpr_dispatch_ptr 0
		.amdhsa_user_sgpr_queue_ptr 0
		.amdhsa_user_sgpr_kernarg_segment_ptr 1
		.amdhsa_user_sgpr_dispatch_id 0
		.amdhsa_user_sgpr_flat_scratch_init 0
		.amdhsa_user_sgpr_private_segment_size 0
		.amdhsa_wavefront_size32 1
		.amdhsa_uses_dynamic_stack 0
		.amdhsa_system_sgpr_private_segment_wavefront_offset 0
		.amdhsa_system_sgpr_workgroup_id_x 1
		.amdhsa_system_sgpr_workgroup_id_y 0
		.amdhsa_system_sgpr_workgroup_id_z 1
		.amdhsa_system_sgpr_workgroup_info 0
		.amdhsa_system_vgpr_workitem_id 1
		.amdhsa_next_free_vgpr 64
		.amdhsa_next_free_sgpr 17
		.amdhsa_reserve_vcc 1
		.amdhsa_reserve_flat_scratch 0
		.amdhsa_float_round_mode_32 0
		.amdhsa_float_round_mode_16_64 0
		.amdhsa_float_denorm_mode_32 3
		.amdhsa_float_denorm_mode_16_64 3
		.amdhsa_dx10_clamp 1
		.amdhsa_ieee_mode 1
		.amdhsa_fp16_overflow 0
		.amdhsa_workgroup_processor_mode 1
		.amdhsa_memory_ordered 1
		.amdhsa_forward_progress 1
		.amdhsa_shared_vgpr_count 0
		.amdhsa_exception_fp_ieee_invalid_op 0
		.amdhsa_exception_fp_denorm_src 0
		.amdhsa_exception_fp_ieee_div_zero 0
		.amdhsa_exception_fp_ieee_overflow 0
		.amdhsa_exception_fp_ieee_underflow 0
		.amdhsa_exception_fp_ieee_inexact 0
		.amdhsa_exception_int_div_zero 0
	.end_amdhsa_kernel
	.section	.text._ZL9moe_vec_qIN3c104HalfELi256ELi8E11block_iq2_sLi1EXadL_ZL18vec_dot_iq2_s_q8_1PKvPK10block_q8_1RKiEEEvS4_S4_PT_PS8_iiii,"axG",@progbits,_ZL9moe_vec_qIN3c104HalfELi256ELi8E11block_iq2_sLi1EXadL_ZL18vec_dot_iq2_s_q8_1PKvPK10block_q8_1RKiEEEvS4_S4_PT_PS8_iiii,comdat
.Lfunc_end272:
	.size	_ZL9moe_vec_qIN3c104HalfELi256ELi8E11block_iq2_sLi1EXadL_ZL18vec_dot_iq2_s_q8_1PKvPK10block_q8_1RKiEEEvS4_S4_PT_PS8_iiii, .Lfunc_end272-_ZL9moe_vec_qIN3c104HalfELi256ELi8E11block_iq2_sLi1EXadL_ZL18vec_dot_iq2_s_q8_1PKvPK10block_q8_1RKiEEEvS4_S4_PT_PS8_iiii
                                        ; -- End function
	.set _ZL9moe_vec_qIN3c104HalfELi256ELi8E11block_iq2_sLi1EXadL_ZL18vec_dot_iq2_s_q8_1PKvPK10block_q8_1RKiEEEvS4_S4_PT_PS8_iiii.num_vgpr, 64
	.set _ZL9moe_vec_qIN3c104HalfELi256ELi8E11block_iq2_sLi1EXadL_ZL18vec_dot_iq2_s_q8_1PKvPK10block_q8_1RKiEEEvS4_S4_PT_PS8_iiii.num_agpr, 0
	.set _ZL9moe_vec_qIN3c104HalfELi256ELi8E11block_iq2_sLi1EXadL_ZL18vec_dot_iq2_s_q8_1PKvPK10block_q8_1RKiEEEvS4_S4_PT_PS8_iiii.numbered_sgpr, 17
	.set _ZL9moe_vec_qIN3c104HalfELi256ELi8E11block_iq2_sLi1EXadL_ZL18vec_dot_iq2_s_q8_1PKvPK10block_q8_1RKiEEEvS4_S4_PT_PS8_iiii.num_named_barrier, 0
	.set _ZL9moe_vec_qIN3c104HalfELi256ELi8E11block_iq2_sLi1EXadL_ZL18vec_dot_iq2_s_q8_1PKvPK10block_q8_1RKiEEEvS4_S4_PT_PS8_iiii.private_seg_size, 0
	.set _ZL9moe_vec_qIN3c104HalfELi256ELi8E11block_iq2_sLi1EXadL_ZL18vec_dot_iq2_s_q8_1PKvPK10block_q8_1RKiEEEvS4_S4_PT_PS8_iiii.uses_vcc, 1
	.set _ZL9moe_vec_qIN3c104HalfELi256ELi8E11block_iq2_sLi1EXadL_ZL18vec_dot_iq2_s_q8_1PKvPK10block_q8_1RKiEEEvS4_S4_PT_PS8_iiii.uses_flat_scratch, 0
	.set _ZL9moe_vec_qIN3c104HalfELi256ELi8E11block_iq2_sLi1EXadL_ZL18vec_dot_iq2_s_q8_1PKvPK10block_q8_1RKiEEEvS4_S4_PT_PS8_iiii.has_dyn_sized_stack, 0
	.set _ZL9moe_vec_qIN3c104HalfELi256ELi8E11block_iq2_sLi1EXadL_ZL18vec_dot_iq2_s_q8_1PKvPK10block_q8_1RKiEEEvS4_S4_PT_PS8_iiii.has_recursion, 0
	.set _ZL9moe_vec_qIN3c104HalfELi256ELi8E11block_iq2_sLi1EXadL_ZL18vec_dot_iq2_s_q8_1PKvPK10block_q8_1RKiEEEvS4_S4_PT_PS8_iiii.has_indirect_call, 0
	.section	.AMDGPU.csdata,"",@progbits
; Kernel info:
; codeLenInByte = 2588
; TotalNumSgprs: 19
; NumVgprs: 64
; ScratchSize: 0
; MemoryBound: 0
; FloatMode: 240
; IeeeMode: 1
; LDSByteSize: 0 bytes/workgroup (compile time only)
; SGPRBlocks: 0
; VGPRBlocks: 7
; NumSGPRsForWavesPerEU: 19
; NumVGPRsForWavesPerEU: 64
; Occupancy: 16
; WaveLimiterHint : 1
; COMPUTE_PGM_RSRC2:SCRATCH_EN: 0
; COMPUTE_PGM_RSRC2:USER_SGPR: 6
; COMPUTE_PGM_RSRC2:TRAP_HANDLER: 0
; COMPUTE_PGM_RSRC2:TGID_X_EN: 1
; COMPUTE_PGM_RSRC2:TGID_Y_EN: 0
; COMPUTE_PGM_RSRC2:TGID_Z_EN: 1
; COMPUTE_PGM_RSRC2:TIDIG_COMP_CNT: 1
	.section	.text._ZL9moe_vec_qIN3c104HalfELi256ELi8E12block_iq4_xsLi1EXadL_ZL19vec_dot_iq4_xs_q8_1PKvPK10block_q8_1RKiEEEvS4_S4_PT_PS8_iiii,"axG",@progbits,_ZL9moe_vec_qIN3c104HalfELi256ELi8E12block_iq4_xsLi1EXadL_ZL19vec_dot_iq4_xs_q8_1PKvPK10block_q8_1RKiEEEvS4_S4_PT_PS8_iiii,comdat
	.globl	_ZL9moe_vec_qIN3c104HalfELi256ELi8E12block_iq4_xsLi1EXadL_ZL19vec_dot_iq4_xs_q8_1PKvPK10block_q8_1RKiEEEvS4_S4_PT_PS8_iiii ; -- Begin function _ZL9moe_vec_qIN3c104HalfELi256ELi8E12block_iq4_xsLi1EXadL_ZL19vec_dot_iq4_xs_q8_1PKvPK10block_q8_1RKiEEEvS4_S4_PT_PS8_iiii
	.p2align	8
	.type	_ZL9moe_vec_qIN3c104HalfELi256ELi8E12block_iq4_xsLi1EXadL_ZL19vec_dot_iq4_xs_q8_1PKvPK10block_q8_1RKiEEEvS4_S4_PT_PS8_iiii,@function
_ZL9moe_vec_qIN3c104HalfELi256ELi8E12block_iq4_xsLi1EXadL_ZL19vec_dot_iq4_xs_q8_1PKvPK10block_q8_1RKiEEEvS4_S4_PT_PS8_iiii: ; @_ZL9moe_vec_qIN3c104HalfELi256ELi8E12block_iq4_xsLi1EXadL_ZL19vec_dot_iq4_xs_q8_1PKvPK10block_q8_1RKiEEEvS4_S4_PT_PS8_iiii
; %bb.0:
	s_mov_b32 s8, s7
	s_clause 0x1
	s_load_dword s7, s[4:5], 0x3c
	s_load_dwordx4 s[0:3], s[4:5], 0x20
	s_waitcnt lgkmcnt(0)
	s_lshr_b32 s7, s7, 16
	v_mad_u64_u32 v[1:2], null, s6, s7, v[1:2]
	s_mov_b32 s6, exec_lo
	v_cmpx_gt_u32_e64 s2, v1
	s_cbranch_execz .LBB273_7
; %bb.1:
	s_load_dwordx2 s[10:11], s[4:5], 0x10
	s_ashr_i32 s6, s1, 31
	v_lshrrev_b32_e32 v4, 3, v0
	s_lshr_b32 s6, s6, 24
	v_mov_b32_e32 v5, 0
	s_add_i32 s1, s1, s6
	s_mov_b32 s12, exec_lo
	s_ashr_i32 s13, s1, 8
	v_cmpx_gt_u32_e64 s13, v4
	s_cbranch_execz .LBB273_5
; %bb.2:
	s_load_dwordx2 s[6:7], s[4:5], 0x18
	s_mov_b32 s9, 0
	v_cvt_f32_u32_e32 v2, s0
	s_lshl_b64 s[14:15], s[8:9], 2
	v_and_b32_e32 v9, 7, v0
	v_lshlrev_b32_e32 v8, 2, v0
	v_mul_lo_u32 v6, v1, s13
	v_rcp_iflag_f32_e32 v2, v2
	v_mov_b32_e32 v5, 0
	v_lshlrev_b32_e32 v11, 2, v9
	v_bfe_u32 v7, v0, 1, 2
	v_and_b32_e32 v8, 4, v8
	v_lshlrev_b32_e32 v10, 3, v4
	v_lshlrev_b32_e32 v11, 2, v11
	v_mul_f32_e32 v2, 0x4f7ffffe, v2
	s_waitcnt lgkmcnt(0)
	s_add_u32 s6, s6, s14
	s_addc_u32 s7, s7, s15
	v_cvt_u32_f32_e32 v2, v2
	s_load_dword s1, s[6:7], 0x0
	s_load_dwordx4 s[4:7], s[4:5], 0x0
	s_mul_i32 s14, s13, s2
	s_waitcnt lgkmcnt(0)
	s_mul_i32 s1, s14, s1
	v_readfirstlane_b32 s14, v2
	s_mul_i32 s15, s1, 0x88
	s_mul_hi_i32 s1, s1, 0x88
	s_add_u32 s4, s4, s15
	s_addc_u32 s5, s5, s1
	s_sub_i32 s1, 0, s0
	s_mul_i32 s1, s1, s14
	s_mul_hi_u32 s1, s14, s1
	s_add_i32 s14, s14, s1
	s_mul_hi_u32 s1, s8, s14
	s_mul_i32 s14, s1, s0
	s_add_i32 s15, s1, 1
	s_sub_i32 s14, s8, s14
	s_sub_i32 s16, s14, s0
	s_cmp_ge_u32 s14, s0
	s_cselect_b32 s1, s15, s1
	s_cselect_b32 s14, s16, s14
	s_add_i32 s15, s1, 1
	s_cmp_ge_u32 s14, s0
	s_cselect_b32 s0, s15, s1
	s_mov_b32 s1, s9
	s_mul_i32 s0, s0, s3
	s_lshl_b64 s[0:1], s[0:1], 2
	s_add_u32 s0, s6, s0
	s_addc_u32 s1, s7, s1
	v_mad_u64_u32 v[2:3], null, v9, 36, s[0:1]
	v_lshlrev_b32_e32 v9, 1, v9
.LBB273_3:                              ; =>This Inner Loop Header: Depth=1
	v_add_nc_u32_e32 v12, v6, v4
	v_mad_i64_i32 v[26:27], null, v10, 36, v[2:3]
	s_getpc_b64 s[0:1]
	s_add_u32 s0, s0, _ZL13kvalues_iq4nl@rel32@lo+4
	s_addc_u32 s1, s1, _ZL13kvalues_iq4nl@rel32@hi+12
	v_mov_b32_e32 v56, 0
	v_mad_i64_i32 v[24:25], null, 0x88, v12, s[4:5]
	v_add_nc_u32_e32 v4, 4, v4
	v_add_nc_u32_e32 v10, 32, v10
	v_add_co_u32 v12, vcc_lo, v24, v11
	v_add_co_ci_u32_e64 v13, null, 0, v25, vcc_lo
	v_add_co_u32 v16, vcc_lo, v24, v7
	v_add_co_ci_u32_e64 v17, null, 0, v25, vcc_lo
	s_clause 0x1
	global_load_dwordx4 v[12:15], v[12:13], off offset:8
	global_load_ubyte v28, v[16:17], off offset:4
	s_clause 0x1
	global_load_dwordx4 v[16:19], v[26:27], off
	global_load_dwordx4 v[20:23], v[26:27], off offset:16
	global_load_dword v24, v[24:25], off
	v_cmp_le_u32_e32 vcc_lo, s13, v4
	s_or_b32 s9, vcc_lo, s9
	s_waitcnt vmcnt(4)
	v_and_b32_e32 v29, 15, v12
	v_bfe_u32 v30, v12, 8, 4
	v_bfe_u32 v31, v12, 16, 4
	;; [unrolled: 1-line block ×5, first 2 shown]
	v_lshrrev_b32_e32 v33, 28, v12
	v_bfe_u32 v12, v12, 12, 4
	v_bfe_u32 v35, v13, 24, 4
	v_and_b32_e32 v36, 15, v13
	v_bfe_u32 v37, v13, 8, 4
	v_bfe_u32 v38, v13, 16, 4
	v_bfe_u32 v39, v13, 20, 4
	v_lshrrev_b32_e32 v40, 28, v13
	v_bfe_u32 v41, v13, 4, 4
	v_bfe_u32 v13, v13, 12, 4
	v_bfe_u32 v42, v14, 24, 4
	v_and_b32_e32 v43, 15, v14
	v_bfe_u32 v44, v14, 8, 4
	v_bfe_u32 v45, v14, 16, 4
	v_bfe_u32 v46, v14, 20, 4
	v_lshrrev_b32_e32 v47, 28, v14
	v_bfe_u32 v48, v14, 4, 4
	;; [unrolled: 8-line block ×3, first 2 shown]
	v_bfe_u32 v15, v15, 12, 4
	s_clause 0x1f
	global_load_ubyte v29, v29, s[0:1]
	global_load_ubyte v30, v30, s[0:1]
	;; [unrolled: 1-line block ×32, first 2 shown]
	global_load_dword v26, v[26:27], off offset:32
	v_mov_b32_e32 v27, 0
	s_waitcnt vmcnt(33)
	v_lshrrev_b32_sdwa v57, v9, v24 dst_sel:DWORD dst_unused:UNUSED_PAD src0_sel:DWORD src1_sel:WORD_1
	v_bfe_u32 v28, v28, v8, 4
	v_lshlrev_b32_e32 v57, 4, v57
	v_and_or_b32 v28, v57, 48, v28
	s_waitcnt vmcnt(31)
	v_lshl_or_b32 v29, v30, 8, v29
	s_waitcnt vmcnt(30)
	v_lshlrev_b32_e32 v31, 16, v31
	s_waitcnt vmcnt(28)
	v_lshl_or_b32 v12, v12, 8, v34
	s_waitcnt vmcnt(27)
	v_lshlrev_b32_e32 v32, 16, v32
	s_waitcnt vmcnt(26)
	v_lshlrev_b32_e32 v30, 24, v33
	;; [unrolled: 2-line block ×4, first 2 shown]
	v_or3_b32 v12, v12, v32, v30
	s_waitcnt vmcnt(20)
	v_lshl_or_b32 v13, v13, 8, v41
	v_or3_b32 v25, v29, v31, v25
	s_waitcnt vmcnt(17)
	v_lshlrev_b32_e32 v33, 24, v35
	v_lshl_or_b32 v35, v37, 8, v36
	v_lshlrev_b32_e32 v36, 24, v40
	v_lshlrev_b32_e32 v37, 16, v39
	s_waitcnt vmcnt(14)
	v_lshlrev_b32_e32 v39, 16, v45
	v_lshl_or_b32 v40, v44, 8, v43
	s_waitcnt vmcnt(12)
	v_lshl_or_b32 v14, v14, 8, v48
	s_waitcnt vmcnt(10)
	v_lshlrev_b32_e32 v41, 24, v47
	s_waitcnt vmcnt(9)
	v_lshlrev_b32_e32 v38, 24, v42
	v_lshlrev_b32_e32 v42, 16, v46
	v_or3_b32 v30, v35, v34, v33
	v_or3_b32 v13, v13, v37, v36
	v_dot4c_i32_i8 v27, v25, v17
	v_dot4c_i32_i8 v56, v12, v21
	s_waitcnt vmcnt(3)
	v_lshlrev_b32_e32 v43, 24, v49
	v_lshlrev_b32_e32 v44, 16, v52
	s_waitcnt vmcnt(2)
	v_lshl_or_b32 v45, v51, 8, v50
	v_lshlrev_b32_e32 v46, 24, v54
	v_lshlrev_b32_e32 v29, 16, v53
	s_waitcnt vmcnt(1)
	v_lshl_or_b32 v12, v15, 8, v55
	v_or3_b32 v15, v40, v39, v38
	v_or3_b32 v14, v14, v42, v41
	v_dot4c_i32_i8 v27, v30, v18
	v_dot4c_i32_i8 v56, v13, v22
	v_subrev_nc_u32_e32 v13, 32, v28
	v_or3_b32 v17, v45, v44, v43
	v_or3_b32 v12, v12, v29, v46
	v_dot4c_i32_i8 v27, v15, v19
	v_dot4c_i32_i8 v56, v14, v23
	v_cvt_f32_f16_e32 v14, v24
	v_cvt_f32_i32_e32 v13, v13
	v_dot4c_i32_i8 v27, v17, v20
	s_waitcnt vmcnt(0)
	v_dot4c_i32_i8 v56, v12, v26
	v_cvt_f32_f16_e32 v12, v16
	v_mul_f32_e32 v13, v14, v13
	v_add_nc_u32_e32 v14, v56, v27
	v_mul_f32_e32 v12, v13, v12
	v_cvt_f32_i32_e32 v13, v14
	v_fmac_f32_e32 v5, v12, v13
	s_andn2_b32 exec_lo, exec_lo, s9
	s_cbranch_execnz .LBB273_3
; %bb.4:
	s_or_b32 exec_lo, exec_lo, s9
.LBB273_5:
	s_or_b32 exec_lo, exec_lo, s12
	v_mbcnt_lo_u32_b32 v2, -1, 0
	v_xor_b32_e32 v3, 16, v2
	v_xor_b32_e32 v4, 8, v2
	v_cmp_gt_i32_e32 vcc_lo, 32, v3
	v_cndmask_b32_e32 v3, v2, v3, vcc_lo
	v_cmp_gt_i32_e32 vcc_lo, 32, v4
	v_lshlrev_b32_e32 v3, 2, v3
	v_cndmask_b32_e32 v4, v2, v4, vcc_lo
	ds_bpermute_b32 v3, v3, v5
	v_lshlrev_b32_e32 v4, 2, v4
	s_waitcnt lgkmcnt(0)
	v_add_f32_e32 v3, v5, v3
	v_xor_b32_e32 v5, 4, v2
	ds_bpermute_b32 v4, v4, v3
	v_cmp_gt_i32_e32 vcc_lo, 32, v5
	v_cndmask_b32_e32 v5, v2, v5, vcc_lo
	v_lshlrev_b32_e32 v5, 2, v5
	s_waitcnt lgkmcnt(0)
	v_add_f32_e32 v3, v3, v4
	ds_bpermute_b32 v4, v5, v3
	v_xor_b32_e32 v5, 2, v2
	v_cmp_gt_i32_e32 vcc_lo, 32, v5
	v_cndmask_b32_e32 v5, v2, v5, vcc_lo
	v_lshlrev_b32_e32 v5, 2, v5
	s_waitcnt lgkmcnt(0)
	v_add_f32_e32 v3, v3, v4
	ds_bpermute_b32 v4, v5, v3
	v_xor_b32_e32 v5, 1, v2
	v_cmp_gt_i32_e32 vcc_lo, 32, v5
	v_cndmask_b32_e32 v5, v2, v5, vcc_lo
	v_cmp_eq_u32_e32 vcc_lo, 0, v0
	s_waitcnt lgkmcnt(0)
	v_add_f32_e32 v2, v3, v4
	v_lshlrev_b32_e32 v3, 2, v5
	ds_bpermute_b32 v3, v3, v2
	s_and_b32 exec_lo, exec_lo, vcc_lo
	s_cbranch_execz .LBB273_7
; %bb.6:
	v_mad_u64_u32 v[0:1], null, s2, s8, v[1:2]
	v_mov_b32_e32 v1, 0
	s_waitcnt lgkmcnt(0)
	v_add_f32_e32 v2, v2, v3
	v_cvt_f16_f32_e32 v2, v2
	v_lshlrev_b64 v[0:1], 1, v[0:1]
	v_add_co_u32 v0, vcc_lo, s10, v0
	v_add_co_ci_u32_e64 v1, null, s11, v1, vcc_lo
	global_store_short v[0:1], v2, off
.LBB273_7:
	s_endpgm
	.section	.rodata,"a",@progbits
	.p2align	6, 0x0
	.amdhsa_kernel _ZL9moe_vec_qIN3c104HalfELi256ELi8E12block_iq4_xsLi1EXadL_ZL19vec_dot_iq4_xs_q8_1PKvPK10block_q8_1RKiEEEvS4_S4_PT_PS8_iiii
		.amdhsa_group_segment_fixed_size 0
		.amdhsa_private_segment_fixed_size 0
		.amdhsa_kernarg_size 304
		.amdhsa_user_sgpr_count 6
		.amdhsa_user_sgpr_private_segment_buffer 1
		.amdhsa_user_sgpr_dispatch_ptr 0
		.amdhsa_user_sgpr_queue_ptr 0
		.amdhsa_user_sgpr_kernarg_segment_ptr 1
		.amdhsa_user_sgpr_dispatch_id 0
		.amdhsa_user_sgpr_flat_scratch_init 0
		.amdhsa_user_sgpr_private_segment_size 0
		.amdhsa_wavefront_size32 1
		.amdhsa_uses_dynamic_stack 0
		.amdhsa_system_sgpr_private_segment_wavefront_offset 0
		.amdhsa_system_sgpr_workgroup_id_x 1
		.amdhsa_system_sgpr_workgroup_id_y 0
		.amdhsa_system_sgpr_workgroup_id_z 1
		.amdhsa_system_sgpr_workgroup_info 0
		.amdhsa_system_vgpr_workitem_id 1
		.amdhsa_next_free_vgpr 58
		.amdhsa_next_free_sgpr 17
		.amdhsa_reserve_vcc 1
		.amdhsa_reserve_flat_scratch 0
		.amdhsa_float_round_mode_32 0
		.amdhsa_float_round_mode_16_64 0
		.amdhsa_float_denorm_mode_32 3
		.amdhsa_float_denorm_mode_16_64 3
		.amdhsa_dx10_clamp 1
		.amdhsa_ieee_mode 1
		.amdhsa_fp16_overflow 0
		.amdhsa_workgroup_processor_mode 1
		.amdhsa_memory_ordered 1
		.amdhsa_forward_progress 1
		.amdhsa_shared_vgpr_count 0
		.amdhsa_exception_fp_ieee_invalid_op 0
		.amdhsa_exception_fp_denorm_src 0
		.amdhsa_exception_fp_ieee_div_zero 0
		.amdhsa_exception_fp_ieee_overflow 0
		.amdhsa_exception_fp_ieee_underflow 0
		.amdhsa_exception_fp_ieee_inexact 0
		.amdhsa_exception_int_div_zero 0
	.end_amdhsa_kernel
	.section	.text._ZL9moe_vec_qIN3c104HalfELi256ELi8E12block_iq4_xsLi1EXadL_ZL19vec_dot_iq4_xs_q8_1PKvPK10block_q8_1RKiEEEvS4_S4_PT_PS8_iiii,"axG",@progbits,_ZL9moe_vec_qIN3c104HalfELi256ELi8E12block_iq4_xsLi1EXadL_ZL19vec_dot_iq4_xs_q8_1PKvPK10block_q8_1RKiEEEvS4_S4_PT_PS8_iiii,comdat
.Lfunc_end273:
	.size	_ZL9moe_vec_qIN3c104HalfELi256ELi8E12block_iq4_xsLi1EXadL_ZL19vec_dot_iq4_xs_q8_1PKvPK10block_q8_1RKiEEEvS4_S4_PT_PS8_iiii, .Lfunc_end273-_ZL9moe_vec_qIN3c104HalfELi256ELi8E12block_iq4_xsLi1EXadL_ZL19vec_dot_iq4_xs_q8_1PKvPK10block_q8_1RKiEEEvS4_S4_PT_PS8_iiii
                                        ; -- End function
	.set _ZL9moe_vec_qIN3c104HalfELi256ELi8E12block_iq4_xsLi1EXadL_ZL19vec_dot_iq4_xs_q8_1PKvPK10block_q8_1RKiEEEvS4_S4_PT_PS8_iiii.num_vgpr, 58
	.set _ZL9moe_vec_qIN3c104HalfELi256ELi8E12block_iq4_xsLi1EXadL_ZL19vec_dot_iq4_xs_q8_1PKvPK10block_q8_1RKiEEEvS4_S4_PT_PS8_iiii.num_agpr, 0
	.set _ZL9moe_vec_qIN3c104HalfELi256ELi8E12block_iq4_xsLi1EXadL_ZL19vec_dot_iq4_xs_q8_1PKvPK10block_q8_1RKiEEEvS4_S4_PT_PS8_iiii.numbered_sgpr, 17
	.set _ZL9moe_vec_qIN3c104HalfELi256ELi8E12block_iq4_xsLi1EXadL_ZL19vec_dot_iq4_xs_q8_1PKvPK10block_q8_1RKiEEEvS4_S4_PT_PS8_iiii.num_named_barrier, 0
	.set _ZL9moe_vec_qIN3c104HalfELi256ELi8E12block_iq4_xsLi1EXadL_ZL19vec_dot_iq4_xs_q8_1PKvPK10block_q8_1RKiEEEvS4_S4_PT_PS8_iiii.private_seg_size, 0
	.set _ZL9moe_vec_qIN3c104HalfELi256ELi8E12block_iq4_xsLi1EXadL_ZL19vec_dot_iq4_xs_q8_1PKvPK10block_q8_1RKiEEEvS4_S4_PT_PS8_iiii.uses_vcc, 1
	.set _ZL9moe_vec_qIN3c104HalfELi256ELi8E12block_iq4_xsLi1EXadL_ZL19vec_dot_iq4_xs_q8_1PKvPK10block_q8_1RKiEEEvS4_S4_PT_PS8_iiii.uses_flat_scratch, 0
	.set _ZL9moe_vec_qIN3c104HalfELi256ELi8E12block_iq4_xsLi1EXadL_ZL19vec_dot_iq4_xs_q8_1PKvPK10block_q8_1RKiEEEvS4_S4_PT_PS8_iiii.has_dyn_sized_stack, 0
	.set _ZL9moe_vec_qIN3c104HalfELi256ELi8E12block_iq4_xsLi1EXadL_ZL19vec_dot_iq4_xs_q8_1PKvPK10block_q8_1RKiEEEvS4_S4_PT_PS8_iiii.has_recursion, 0
	.set _ZL9moe_vec_qIN3c104HalfELi256ELi8E12block_iq4_xsLi1EXadL_ZL19vec_dot_iq4_xs_q8_1PKvPK10block_q8_1RKiEEEvS4_S4_PT_PS8_iiii.has_indirect_call, 0
	.section	.AMDGPU.csdata,"",@progbits
; Kernel info:
; codeLenInByte = 1596
; TotalNumSgprs: 19
; NumVgprs: 58
; ScratchSize: 0
; MemoryBound: 0
; FloatMode: 240
; IeeeMode: 1
; LDSByteSize: 0 bytes/workgroup (compile time only)
; SGPRBlocks: 0
; VGPRBlocks: 7
; NumSGPRsForWavesPerEU: 19
; NumVGPRsForWavesPerEU: 58
; Occupancy: 16
; WaveLimiterHint : 1
; COMPUTE_PGM_RSRC2:SCRATCH_EN: 0
; COMPUTE_PGM_RSRC2:USER_SGPR: 6
; COMPUTE_PGM_RSRC2:TRAP_HANDLER: 0
; COMPUTE_PGM_RSRC2:TGID_X_EN: 1
; COMPUTE_PGM_RSRC2:TGID_Y_EN: 0
; COMPUTE_PGM_RSRC2:TGID_Z_EN: 1
; COMPUTE_PGM_RSRC2:TIDIG_COMP_CNT: 1
	.section	.text._ZL9moe_vec_qIN3c104HalfELi256ELi8E11block_iq1_mLi1EXadL_ZL18vec_dot_iq1_m_q8_1PKvPK10block_q8_1RKiEEEvS4_S4_PT_PS8_iiii,"axG",@progbits,_ZL9moe_vec_qIN3c104HalfELi256ELi8E11block_iq1_mLi1EXadL_ZL18vec_dot_iq1_m_q8_1PKvPK10block_q8_1RKiEEEvS4_S4_PT_PS8_iiii,comdat
	.globl	_ZL9moe_vec_qIN3c104HalfELi256ELi8E11block_iq1_mLi1EXadL_ZL18vec_dot_iq1_m_q8_1PKvPK10block_q8_1RKiEEEvS4_S4_PT_PS8_iiii ; -- Begin function _ZL9moe_vec_qIN3c104HalfELi256ELi8E11block_iq1_mLi1EXadL_ZL18vec_dot_iq1_m_q8_1PKvPK10block_q8_1RKiEEEvS4_S4_PT_PS8_iiii
	.p2align	8
	.type	_ZL9moe_vec_qIN3c104HalfELi256ELi8E11block_iq1_mLi1EXadL_ZL18vec_dot_iq1_m_q8_1PKvPK10block_q8_1RKiEEEvS4_S4_PT_PS8_iiii,@function
_ZL9moe_vec_qIN3c104HalfELi256ELi8E11block_iq1_mLi1EXadL_ZL18vec_dot_iq1_m_q8_1PKvPK10block_q8_1RKiEEEvS4_S4_PT_PS8_iiii: ; @_ZL9moe_vec_qIN3c104HalfELi256ELi8E11block_iq1_mLi1EXadL_ZL18vec_dot_iq1_m_q8_1PKvPK10block_q8_1RKiEEEvS4_S4_PT_PS8_iiii
; %bb.0:
	s_mov_b32 s8, s7
	s_clause 0x1
	s_load_dword s7, s[4:5], 0x3c
	s_load_dwordx4 s[0:3], s[4:5], 0x20
	s_waitcnt lgkmcnt(0)
	s_lshr_b32 s7, s7, 16
	v_mad_u64_u32 v[1:2], null, s6, s7, v[1:2]
	s_mov_b32 s6, exec_lo
	v_cmpx_gt_u32_e64 s2, v1
	s_cbranch_execz .LBB274_7
; %bb.1:
	s_load_dwordx2 s[10:11], s[4:5], 0x10
	s_ashr_i32 s6, s1, 31
	v_lshrrev_b32_e32 v4, 3, v0
	s_lshr_b32 s6, s6, 24
	v_mov_b32_e32 v5, 0
	s_add_i32 s1, s1, s6
	s_ashr_i32 s12, s1, 8
	s_mov_b32 s1, exec_lo
	v_cmpx_gt_u32_e64 s12, v4
	s_cbranch_execz .LBB274_5
; %bb.2:
	s_load_dwordx2 s[6:7], s[4:5], 0x18
	s_mov_b32 s9, 0
	v_cvt_f32_u32_e32 v2, s0
	s_lshl_b64 s[14:15], s[8:9], 2
	v_and_b32_e32 v3, 1, v0
	v_bfe_u32 v11, v0, 1, 2
	v_mul_lo_u32 v6, v1, s12
	v_rcp_iflag_f32_e32 v2, v2
	v_mov_b32_e32 v5, 0
	v_cmp_eq_u32_e32 vcc_lo, 1, v3
	v_lshlrev_b32_e32 v7, 3, v4
	v_lshlrev_b32_e32 v11, 1, v11
	v_mov_b32_e32 v12, 0xf0
	v_mov_b32_e32 v13, 0xffff
	v_cndmask_b32_e64 v9, 0, 6, vcc_lo
	v_mov_b32_e32 v14, 8
	v_mul_f32_e32 v2, 0x4f7ffffe, v2
	s_waitcnt lgkmcnt(0)
	s_add_u32 s6, s6, s14
	s_addc_u32 s7, s7, s15
	v_cvt_u32_f32_e32 v2, v2
	s_load_dword s13, s[6:7], 0x0
	s_load_dwordx4 s[4:7], s[4:5], 0x0
	s_mul_i32 s14, s12, s2
	s_waitcnt lgkmcnt(0)
	s_mul_i32 s13, s14, s13
	v_readfirstlane_b32 s14, v2
	s_mul_i32 s15, s13, 56
	s_mul_hi_i32 s13, s13, 56
	s_add_u32 s4, s4, s15
	s_addc_u32 s5, s5, s13
	s_sub_i32 s13, 0, s0
	v_and_b32_e32 v2, 7, v0
	s_mul_i32 s13, s13, s14
	s_mul_hi_u32 s13, s14, s13
	s_add_i32 s14, s14, s13
	v_lshlrev_b32_e32 v8, 1, v2
	s_mul_hi_u32 s13, s8, s14
	v_lshlrev_b32_e32 v10, 2, v2
	s_mul_i32 s14, s13, s0
	s_add_i32 s15, s13, 1
	s_sub_i32 s14, s8, s14
	s_sub_i32 s16, s14, s0
	s_cmp_ge_u32 s14, s0
	s_cselect_b32 s13, s15, s13
	s_cselect_b32 s14, s16, s14
	s_add_i32 s16, s13, 1
	s_cmp_ge_u32 s14, s0
	s_mov_b32 s15, s9
	s_cselect_b32 s0, s16, s13
	s_mul_i32 s14, s0, s3
	s_mov_b32 s0, 0xbd000000
	s_lshl_b64 s[14:15], s[14:15], 2
	s_add_u32 s6, s6, s14
	s_addc_u32 s7, s7, s15
	v_mad_u64_u32 v[2:3], null, v2, 36, s[6:7]
	s_getpc_b64 s[6:7]
	s_add_u32 s6, s6, _ZL13iq1s_grid_gpu@rel32@lo+4
	s_addc_u32 s7, s7, _ZL13iq1s_grid_gpu@rel32@hi+12
.LBB274_3:                              ; =>This Inner Loop Header: Depth=1
	v_add_nc_u32_e32 v15, v6, v4
	v_mad_i64_i32 v[25:26], null, v7, 36, v[2:3]
	v_mov_b32_e32 v38, 0
	v_mov_b32_e32 v37, 0
	v_mad_i64_i32 v[23:24], null, v15, 56, s[4:5]
	v_add_nc_u32_e32 v4, 4, v4
	v_add_nc_u32_e32 v7, 32, v7
	v_add_co_u32 v15, vcc_lo, v23, v8
	v_add_co_ci_u32_e64 v16, null, 0, v24, vcc_lo
	v_add_co_u32 v17, vcc_lo, v23, v11
	v_add_co_ci_u32_e64 v18, null, 0, v24, vcc_lo
	;; [unrolled: 2-line block ×3, first 2 shown]
	s_clause 0x2
	global_load_ushort v27, v[17:18], off offset:48
	global_load_ushort v28, v[15:16], off offset:32
	global_load_dword v29, v[19:20], off
	s_clause 0x1
	global_load_dwordx4 v[15:18], v[25:26], off
	global_load_dwordx4 v[19:22], v[25:26], off offset:16
	global_load_dwordx2 v[23:24], v[23:24], off offset:48
	v_cmp_le_u32_e32 vcc_lo, s12, v4
	s_or_b32 s9, vcc_lo, s9
	s_waitcnt vmcnt(5)
	v_lshrrev_b32_e32 v27, v9, v27
	s_waitcnt vmcnt(4)
	v_and_b32_sdwa v31, v13, v28 dst_sel:DWORD dst_unused:UNUSED_PAD src0_sel:DWORD src1_sel:BYTE_1
	s_waitcnt vmcnt(3)
	v_and_b32_e32 v30, 0xff, v29
	v_lshlrev_b32_e32 v33, 8, v28
	v_bfe_u32 v35, v29, 16, 8
	v_bfe_u32 v32, v29, 8, 8
	v_lshrrev_b32_e32 v36, 4, v31
	v_lshlrev_b32_e32 v31, 8, v31
	v_lshlrev_b32_e32 v34, 4, v28
	v_and_or_b32 v30, 0x700, v33, v30
	v_bfe_u32 v39, v28, 4, 4
	v_alignbit_b32 v29, v36, v29, 24
	v_and_or_b32 v31, 0x700, v31, v35
	v_and_or_b32 v32, 0x700, v34, v32
	v_lshlrev_b32_e32 v30, 3, v30
	v_mov_b32_e32 v34, 0
	v_and_b32_e32 v29, 0x7ff, v29
	v_lshlrev_b32_e32 v31, 3, v31
	v_lshlrev_b32_e32 v32, 3, v32
	s_clause 0x1
	global_load_dword v30, v30, s[6:7]
	global_load_dword v32, v32, s[6:7]
	v_lshlrev_b32_e32 v29, 3, v29
	s_clause 0x1
	global_load_dword v31, v31, s[6:7]
	global_load_dword v29, v29, s[6:7]
	global_load_dword v25, v[25:26], off offset:32
	v_mov_b32_e32 v26, 0
	s_waitcnt vmcnt(6)
	v_dot4c_i32_i8 v34, 0x1010101, v20
	v_and_b32_sdwa v40, v28, v14 dst_sel:DWORD dst_unused:UNUSED_PAD src0_sel:BYTE_1 src1_sel:DWORD
	v_and_b32_e32 v28, 8, v28
	v_and_b32_e32 v36, 8, v36
	v_dot4c_i32_i8 v26, 0x1010101, v16
	v_dot4c_i32_i8 v34, 0x1010101, v21
	v_cvt_f32_ubyte0_e32 v40, v40
	v_cvt_f32_ubyte0_e32 v28, v28
	v_mov_b32_e32 v35, 0
	v_dot4c_i32_i8 v26, 0x1010101, v17
	v_cvt_f32_i32_e32 v34, v34
	v_fmaak_f32 v40, s0, v40, 0xbf600000
	v_fmaak_f32 v28, s0, v28, 0xbf600000
	v_mov_b32_e32 v33, 0
	v_cvt_f32_i32_e32 v26, v26
	v_dot4c_i32_i8 v35, 0x1010101, v22
	s_waitcnt vmcnt(5)
	v_pk_lshrrev_b16 v23, 0x8000c, v23
	v_pk_lshrrev_b16 v24, 4, v24
	v_dot4c_i32_i8 v33, 0x1010101, v18
	v_fma_f32 v26, v28, v26, 0
	v_fma_f32 v28, v40, v34, 0
	v_cvt_f32_ubyte0_e32 v34, v36
	v_and_b32_sdwa v41, v23, v12 dst_sel:DWORD dst_unused:UNUSED_PAD src0_sel:WORD_1 src1_sel:DWORD
	v_lshlrev_b32_e32 v42, 1, v27
	v_lshrrev_b32_e32 v27, 2, v27
	v_and_b32_e32 v39, 8, v39
	v_dot4c_i32_i8 v33, 0x1010101, v19
	v_and_b32_e32 v24, 0xf0000f00, v24
	v_or_b32_e32 v23, v41, v23
	v_and_b32_e32 v27, 14, v27
	v_cvt_f32_ubyte0_e32 v39, v39
	v_cvt_f32_i32_e32 v33, v33
	v_and_b32_e32 v41, 14, v42
	v_or_b32_e32 v23, v23, v24
	v_cvt_f32_f16_e32 v15, v15
	s_waitcnt vmcnt(4)
	v_lshrrev_b32_e32 v40, 4, v30
	v_and_b32_e32 v30, 0xf0f0f0f, v30
	s_waitcnt vmcnt(2)
	v_lshrrev_b32_e32 v36, 4, v31
	v_and_b32_e32 v31, 0xf0f0f0f, v31
	v_dot4c_i32_i8 v37, v30, v16
	s_waitcnt vmcnt(1)
	v_and_b32_e32 v16, 0xf0f0f0f, v29
	v_lshrrev_b32_e32 v29, 4, v29
	v_and_b32_e32 v36, 0xf0f0f0f, v36
	v_dot4c_i32_i8 v38, v31, v20
	v_and_b32_e32 v20, 0xf0f0f0f, v40
	s_waitcnt vmcnt(0)
	v_dot4c_i32_i8 v35, 0x1010101, v25
	v_lshrrev_b32_e32 v30, 4, v32
	v_dot4c_i32_i8 v38, v36, v21
	v_and_b32_e32 v21, 0xf0f0f0f, v32
	v_dot4c_i32_i8 v37, v20, v17
	v_and_b32_e32 v17, 0xf0f0f0f, v29
	v_cvt_f32_i32_e32 v35, v35
	v_dot4c_i32_i8 v38, v16, v22
	v_fmaak_f32 v20, s0, v34, 0xbf600000
	v_and_b32_e32 v22, 0xf0f0f0f, v30
	v_dot4c_i32_i8 v37, v21, v18
	v_fmaak_f32 v16, s0, v39, 0xbf600000
	v_dot4c_i32_i8 v38, v17, v25
	v_or_b32_e32 v17, 1, v27
	v_fmac_f32_e32 v28, v20, v35
	v_dot4c_i32_i8 v37, v22, v19
	v_or_b32_e32 v18, 1, v41
	v_cvt_f32_i32_e32 v19, v38
	v_or_b32_sdwa v20, v23, v24 dst_sel:DWORD dst_unused:UNUSED_PAD src0_sel:DWORD src1_sel:WORD_1
	v_fmac_f32_e32 v26, v16, v33
	v_cvt_f32_ubyte0_e32 v16, v17
	v_cvt_f32_i32_e32 v17, v37
	v_add_f32_e32 v19, v28, v19
	v_cvt_f32_ubyte0_e32 v18, v18
	v_cvt_f32_f16_e32 v20, v20
	v_add_f32_e32 v17, v26, v17
	v_mul_f32_e32 v16, v19, v16
	v_mul_f32_e32 v15, v15, v20
	v_fmac_f32_e32 v16, v17, v18
	v_fmac_f32_e32 v5, v15, v16
	s_andn2_b32 exec_lo, exec_lo, s9
	s_cbranch_execnz .LBB274_3
; %bb.4:
	s_or_b32 exec_lo, exec_lo, s9
.LBB274_5:
	s_or_b32 exec_lo, exec_lo, s1
	v_mbcnt_lo_u32_b32 v2, -1, 0
	v_xor_b32_e32 v3, 16, v2
	v_xor_b32_e32 v4, 8, v2
	v_cmp_gt_i32_e32 vcc_lo, 32, v3
	v_cndmask_b32_e32 v3, v2, v3, vcc_lo
	v_cmp_gt_i32_e32 vcc_lo, 32, v4
	v_lshlrev_b32_e32 v3, 2, v3
	v_cndmask_b32_e32 v4, v2, v4, vcc_lo
	ds_bpermute_b32 v3, v3, v5
	v_lshlrev_b32_e32 v4, 2, v4
	s_waitcnt lgkmcnt(0)
	v_add_f32_e32 v3, v5, v3
	v_xor_b32_e32 v5, 4, v2
	ds_bpermute_b32 v4, v4, v3
	v_cmp_gt_i32_e32 vcc_lo, 32, v5
	v_cndmask_b32_e32 v5, v2, v5, vcc_lo
	v_lshlrev_b32_e32 v5, 2, v5
	s_waitcnt lgkmcnt(0)
	v_add_f32_e32 v3, v3, v4
	ds_bpermute_b32 v4, v5, v3
	v_xor_b32_e32 v5, 2, v2
	v_cmp_gt_i32_e32 vcc_lo, 32, v5
	v_cndmask_b32_e32 v5, v2, v5, vcc_lo
	v_lshlrev_b32_e32 v5, 2, v5
	s_waitcnt lgkmcnt(0)
	v_add_f32_e32 v3, v3, v4
	ds_bpermute_b32 v4, v5, v3
	v_xor_b32_e32 v5, 1, v2
	v_cmp_gt_i32_e32 vcc_lo, 32, v5
	v_cndmask_b32_e32 v5, v2, v5, vcc_lo
	v_cmp_eq_u32_e32 vcc_lo, 0, v0
	s_waitcnt lgkmcnt(0)
	v_add_f32_e32 v2, v3, v4
	v_lshlrev_b32_e32 v3, 2, v5
	ds_bpermute_b32 v3, v3, v2
	s_and_b32 exec_lo, exec_lo, vcc_lo
	s_cbranch_execz .LBB274_7
; %bb.6:
	v_mad_u64_u32 v[0:1], null, s2, s8, v[1:2]
	v_mov_b32_e32 v1, 0
	s_waitcnt lgkmcnt(0)
	v_add_f32_e32 v2, v2, v3
	v_cvt_f16_f32_e32 v2, v2
	v_lshlrev_b64 v[0:1], 1, v[0:1]
	v_add_co_u32 v0, vcc_lo, s10, v0
	v_add_co_ci_u32_e64 v1, null, s11, v1, vcc_lo
	global_store_short v[0:1], v2, off
.LBB274_7:
	s_endpgm
	.section	.rodata,"a",@progbits
	.p2align	6, 0x0
	.amdhsa_kernel _ZL9moe_vec_qIN3c104HalfELi256ELi8E11block_iq1_mLi1EXadL_ZL18vec_dot_iq1_m_q8_1PKvPK10block_q8_1RKiEEEvS4_S4_PT_PS8_iiii
		.amdhsa_group_segment_fixed_size 0
		.amdhsa_private_segment_fixed_size 0
		.amdhsa_kernarg_size 304
		.amdhsa_user_sgpr_count 6
		.amdhsa_user_sgpr_private_segment_buffer 1
		.amdhsa_user_sgpr_dispatch_ptr 0
		.amdhsa_user_sgpr_queue_ptr 0
		.amdhsa_user_sgpr_kernarg_segment_ptr 1
		.amdhsa_user_sgpr_dispatch_id 0
		.amdhsa_user_sgpr_flat_scratch_init 0
		.amdhsa_user_sgpr_private_segment_size 0
		.amdhsa_wavefront_size32 1
		.amdhsa_uses_dynamic_stack 0
		.amdhsa_system_sgpr_private_segment_wavefront_offset 0
		.amdhsa_system_sgpr_workgroup_id_x 1
		.amdhsa_system_sgpr_workgroup_id_y 0
		.amdhsa_system_sgpr_workgroup_id_z 1
		.amdhsa_system_sgpr_workgroup_info 0
		.amdhsa_system_vgpr_workitem_id 1
		.amdhsa_next_free_vgpr 43
		.amdhsa_next_free_sgpr 17
		.amdhsa_reserve_vcc 1
		.amdhsa_reserve_flat_scratch 0
		.amdhsa_float_round_mode_32 0
		.amdhsa_float_round_mode_16_64 0
		.amdhsa_float_denorm_mode_32 3
		.amdhsa_float_denorm_mode_16_64 3
		.amdhsa_dx10_clamp 1
		.amdhsa_ieee_mode 1
		.amdhsa_fp16_overflow 0
		.amdhsa_workgroup_processor_mode 1
		.amdhsa_memory_ordered 1
		.amdhsa_forward_progress 1
		.amdhsa_shared_vgpr_count 0
		.amdhsa_exception_fp_ieee_invalid_op 0
		.amdhsa_exception_fp_denorm_src 0
		.amdhsa_exception_fp_ieee_div_zero 0
		.amdhsa_exception_fp_ieee_overflow 0
		.amdhsa_exception_fp_ieee_underflow 0
		.amdhsa_exception_fp_ieee_inexact 0
		.amdhsa_exception_int_div_zero 0
	.end_amdhsa_kernel
	.section	.text._ZL9moe_vec_qIN3c104HalfELi256ELi8E11block_iq1_mLi1EXadL_ZL18vec_dot_iq1_m_q8_1PKvPK10block_q8_1RKiEEEvS4_S4_PT_PS8_iiii,"axG",@progbits,_ZL9moe_vec_qIN3c104HalfELi256ELi8E11block_iq1_mLi1EXadL_ZL18vec_dot_iq1_m_q8_1PKvPK10block_q8_1RKiEEEvS4_S4_PT_PS8_iiii,comdat
.Lfunc_end274:
	.size	_ZL9moe_vec_qIN3c104HalfELi256ELi8E11block_iq1_mLi1EXadL_ZL18vec_dot_iq1_m_q8_1PKvPK10block_q8_1RKiEEEvS4_S4_PT_PS8_iiii, .Lfunc_end274-_ZL9moe_vec_qIN3c104HalfELi256ELi8E11block_iq1_mLi1EXadL_ZL18vec_dot_iq1_m_q8_1PKvPK10block_q8_1RKiEEEvS4_S4_PT_PS8_iiii
                                        ; -- End function
	.set _ZL9moe_vec_qIN3c104HalfELi256ELi8E11block_iq1_mLi1EXadL_ZL18vec_dot_iq1_m_q8_1PKvPK10block_q8_1RKiEEEvS4_S4_PT_PS8_iiii.num_vgpr, 43
	.set _ZL9moe_vec_qIN3c104HalfELi256ELi8E11block_iq1_mLi1EXadL_ZL18vec_dot_iq1_m_q8_1PKvPK10block_q8_1RKiEEEvS4_S4_PT_PS8_iiii.num_agpr, 0
	.set _ZL9moe_vec_qIN3c104HalfELi256ELi8E11block_iq1_mLi1EXadL_ZL18vec_dot_iq1_m_q8_1PKvPK10block_q8_1RKiEEEvS4_S4_PT_PS8_iiii.numbered_sgpr, 17
	.set _ZL9moe_vec_qIN3c104HalfELi256ELi8E11block_iq1_mLi1EXadL_ZL18vec_dot_iq1_m_q8_1PKvPK10block_q8_1RKiEEEvS4_S4_PT_PS8_iiii.num_named_barrier, 0
	.set _ZL9moe_vec_qIN3c104HalfELi256ELi8E11block_iq1_mLi1EXadL_ZL18vec_dot_iq1_m_q8_1PKvPK10block_q8_1RKiEEEvS4_S4_PT_PS8_iiii.private_seg_size, 0
	.set _ZL9moe_vec_qIN3c104HalfELi256ELi8E11block_iq1_mLi1EXadL_ZL18vec_dot_iq1_m_q8_1PKvPK10block_q8_1RKiEEEvS4_S4_PT_PS8_iiii.uses_vcc, 1
	.set _ZL9moe_vec_qIN3c104HalfELi256ELi8E11block_iq1_mLi1EXadL_ZL18vec_dot_iq1_m_q8_1PKvPK10block_q8_1RKiEEEvS4_S4_PT_PS8_iiii.uses_flat_scratch, 0
	.set _ZL9moe_vec_qIN3c104HalfELi256ELi8E11block_iq1_mLi1EXadL_ZL18vec_dot_iq1_m_q8_1PKvPK10block_q8_1RKiEEEvS4_S4_PT_PS8_iiii.has_dyn_sized_stack, 0
	.set _ZL9moe_vec_qIN3c104HalfELi256ELi8E11block_iq1_mLi1EXadL_ZL18vec_dot_iq1_m_q8_1PKvPK10block_q8_1RKiEEEvS4_S4_PT_PS8_iiii.has_recursion, 0
	.set _ZL9moe_vec_qIN3c104HalfELi256ELi8E11block_iq1_mLi1EXadL_ZL18vec_dot_iq1_m_q8_1PKvPK10block_q8_1RKiEEEvS4_S4_PT_PS8_iiii.has_indirect_call, 0
	.section	.AMDGPU.csdata,"",@progbits
; Kernel info:
; codeLenInByte = 1424
; TotalNumSgprs: 19
; NumVgprs: 43
; ScratchSize: 0
; MemoryBound: 0
; FloatMode: 240
; IeeeMode: 1
; LDSByteSize: 0 bytes/workgroup (compile time only)
; SGPRBlocks: 0
; VGPRBlocks: 5
; NumSGPRsForWavesPerEU: 19
; NumVGPRsForWavesPerEU: 43
; Occupancy: 16
; WaveLimiterHint : 1
; COMPUTE_PGM_RSRC2:SCRATCH_EN: 0
; COMPUTE_PGM_RSRC2:USER_SGPR: 6
; COMPUTE_PGM_RSRC2:TRAP_HANDLER: 0
; COMPUTE_PGM_RSRC2:TGID_X_EN: 1
; COMPUTE_PGM_RSRC2:TGID_Y_EN: 0
; COMPUTE_PGM_RSRC2:TGID_Z_EN: 1
; COMPUTE_PGM_RSRC2:TIDIG_COMP_CNT: 1
	.section	.text._ZL9moe_vec_qIN3c108BFloat16ELi32ELi4E10block_q4_0Li2EXadL_ZL17vec_dot_q4_0_q8_1PKvPK10block_q8_1RKiEEEvS4_S4_PT_PS8_iiii,"axG",@progbits,_ZL9moe_vec_qIN3c108BFloat16ELi32ELi4E10block_q4_0Li2EXadL_ZL17vec_dot_q4_0_q8_1PKvPK10block_q8_1RKiEEEvS4_S4_PT_PS8_iiii,comdat
	.globl	_ZL9moe_vec_qIN3c108BFloat16ELi32ELi4E10block_q4_0Li2EXadL_ZL17vec_dot_q4_0_q8_1PKvPK10block_q8_1RKiEEEvS4_S4_PT_PS8_iiii ; -- Begin function _ZL9moe_vec_qIN3c108BFloat16ELi32ELi4E10block_q4_0Li2EXadL_ZL17vec_dot_q4_0_q8_1PKvPK10block_q8_1RKiEEEvS4_S4_PT_PS8_iiii
	.p2align	8
	.type	_ZL9moe_vec_qIN3c108BFloat16ELi32ELi4E10block_q4_0Li2EXadL_ZL17vec_dot_q4_0_q8_1PKvPK10block_q8_1RKiEEEvS4_S4_PT_PS8_iiii,@function
_ZL9moe_vec_qIN3c108BFloat16ELi32ELi4E10block_q4_0Li2EXadL_ZL17vec_dot_q4_0_q8_1PKvPK10block_q8_1RKiEEEvS4_S4_PT_PS8_iiii: ; @_ZL9moe_vec_qIN3c108BFloat16ELi32ELi4E10block_q4_0Li2EXadL_ZL17vec_dot_q4_0_q8_1PKvPK10block_q8_1RKiEEEvS4_S4_PT_PS8_iiii
; %bb.0:
	s_mov_b32 s8, s7
	s_clause 0x1
	s_load_dword s7, s[4:5], 0x3c
	s_load_dwordx4 s[0:3], s[4:5], 0x20
	s_waitcnt lgkmcnt(0)
	s_lshr_b32 s7, s7, 16
	v_mad_u64_u32 v[1:2], null, s6, s7, v[1:2]
	s_mov_b32 s6, exec_lo
	v_cmpx_gt_u32_e64 s2, v1
	s_cbranch_execz .LBB275_7
; %bb.1:
	v_cvt_f32_u32_e32 v2, s0
	s_load_dwordx2 s[10:11], s[4:5], 0x10
	s_ashr_i32 s6, s1, 31
	s_mov_b32 s12, exec_lo
	s_lshr_b32 s6, s6, 27
	v_rcp_iflag_f32_e32 v2, v2
	s_add_i32 s1, s1, s6
	s_ashr_i32 s13, s1, 5
	v_mul_f32_e32 v3, 0x4f7ffffe, v2
	v_lshrrev_b32_e32 v2, 1, v0
	v_cvt_u32_f32_e32 v3, v3
	v_readfirstlane_b32 s1, v3
	v_mov_b32_e32 v3, 0
	v_cmpx_gt_u32_e64 s13, v2
	s_cbranch_execz .LBB275_5
; %bb.2:
	s_load_dwordx2 s[6:7], s[4:5], 0x18
	s_sub_i32 s9, 0, s0
	v_lshlrev_b32_e32 v3, 3, v0
	s_mul_i32 s14, s9, s1
	s_mov_b32 s9, 0
	s_mul_hi_u32 s16, s1, s14
	s_lshl_b64 s[14:15], s[8:9], 2
	s_add_i32 s1, s1, s16
	s_mul_i32 s16, s13, s2
	s_mul_hi_u32 s1, s8, s1
	v_mul_lo_u32 v4, v1, s13
	v_and_b32_e32 v5, 8, v3
	v_mov_b32_e32 v3, 0
	s_waitcnt lgkmcnt(0)
	s_add_u32 s6, s6, s14
	s_addc_u32 s7, s7, s15
	s_mul_i32 s15, s1, s0
	s_load_dword s14, s[6:7], 0x0
	s_load_dwordx4 s[4:7], s[4:5], 0x0
	s_sub_i32 s17, s8, s15
	s_add_i32 s18, s1, 1
	s_sub_i32 s19, s17, s0
	s_cmp_ge_u32 s17, s0
	s_mov_b32 s15, s9
	s_cselect_b32 s1, s18, s1
	s_cselect_b32 s17, s19, s17
	s_add_i32 s18, s1, 1
	s_cmp_ge_u32 s17, s0
	s_cselect_b32 s0, s18, s1
	s_waitcnt lgkmcnt(0)
	s_mul_i32 s1, s16, s14
	s_mul_i32 s14, s0, s3
	;; [unrolled: 1-line block ×3, first 2 shown]
	s_mul_hi_i32 s1, s1, 18
	s_add_u32 s0, s4, s0
	s_addc_u32 s1, s5, s1
	s_lshl_b64 s[4:5], s[14:15], 2
	s_add_u32 s4, s6, s4
	s_addc_u32 s5, s7, s5
.LBB275_3:                              ; =>This Inner Loop Header: Depth=1
	v_add_nc_u32_e32 v6, v4, v2
	v_mad_i64_i32 v[8:9], null, v2, 36, s[4:5]
	v_add_nc_u32_e32 v2, 16, v2
	v_mad_i64_i32 v[6:7], null, v6, 18, s[0:1]
	v_add_co_u32 v10, vcc_lo, v6, v5
	v_add_co_ci_u32_e64 v11, null, 0, v7, vcc_lo
	v_add_co_u32 v12, vcc_lo, v8, v5
	v_add_co_ci_u32_e64 v13, null, 0, v9, vcc_lo
	global_load_dwordx2 v[10:11], v[10:11], off offset:2
	s_clause 0x2
	global_load_dwordx2 v[14:15], v[12:13], off offset:4
	global_load_dwordx2 v[12:13], v[12:13], off offset:20
	global_load_dword v8, v[8:9], off
	global_load_ushort v6, v[6:7], off
	v_mov_b32_e32 v7, 0
	v_cmp_le_u32_e32 vcc_lo, s13, v2
	s_or_b32 s9, vcc_lo, s9
	s_waitcnt vmcnt(4)
	v_lshrrev_b32_e32 v9, 4, v10
	v_and_b32_e32 v10, 0xf0f0f0f, v10
	v_and_b32_e32 v9, 0xf0f0f0f, v9
	s_waitcnt vmcnt(3)
	v_dot4c_i32_i8 v7, v10, v14
	v_and_b32_e32 v10, 0xf0f0f0f, v11
	v_lshrrev_b32_e32 v11, 4, v11
	s_waitcnt vmcnt(2)
	v_dot4c_i32_i8 v7, v9, v12
	v_and_b32_e32 v9, 0xf0f0f0f, v11
	v_dot4c_i32_i8 v7, v10, v15
	s_waitcnt vmcnt(1)
	v_cvt_f32_f16_sdwa v10, v8 dst_sel:DWORD dst_unused:UNUSED_PAD src0_sel:WORD_1
	v_dot4c_i32_i8 v7, v9, v13
	v_mul_f32_e32 v9, -4.0, v10
	v_cvt_f32_i32_e32 v7, v7
	v_fma_mix_f32 v7, v7, v8, v9 op_sel_hi:[0,1,0]
	s_waitcnt vmcnt(0)
	v_fma_mix_f32 v3, v7, v6, v3 op_sel_hi:[0,1,0]
	s_andn2_b32 exec_lo, exec_lo, s9
	s_cbranch_execnz .LBB275_3
; %bb.4:
	s_or_b32 exec_lo, exec_lo, s9
.LBB275_5:
	s_or_b32 exec_lo, exec_lo, s12
	v_mbcnt_lo_u32_b32 v2, -1, 0
	v_xor_b32_e32 v4, 16, v2
	v_xor_b32_e32 v5, 8, v2
	v_cmp_gt_i32_e32 vcc_lo, 32, v4
	v_cndmask_b32_e32 v4, v2, v4, vcc_lo
	v_cmp_gt_i32_e32 vcc_lo, 32, v5
	v_lshlrev_b32_e32 v4, 2, v4
	v_cndmask_b32_e32 v5, v2, v5, vcc_lo
	ds_bpermute_b32 v4, v4, v3
	v_lshlrev_b32_e32 v5, 2, v5
	s_waitcnt lgkmcnt(0)
	v_add_f32_e32 v3, v3, v4
	ds_bpermute_b32 v4, v5, v3
	v_xor_b32_e32 v5, 4, v2
	v_cmp_gt_i32_e32 vcc_lo, 32, v5
	v_cndmask_b32_e32 v5, v2, v5, vcc_lo
	v_lshlrev_b32_e32 v5, 2, v5
	s_waitcnt lgkmcnt(0)
	v_add_f32_e32 v3, v3, v4
	ds_bpermute_b32 v4, v5, v3
	v_xor_b32_e32 v5, 2, v2
	v_cmp_gt_i32_e32 vcc_lo, 32, v5
	v_cndmask_b32_e32 v5, v2, v5, vcc_lo
	;; [unrolled: 7-line block ×3, first 2 shown]
	v_cmp_eq_u32_e32 vcc_lo, 0, v0
	s_waitcnt lgkmcnt(0)
	v_add_f32_e32 v2, v3, v4
	v_lshlrev_b32_e32 v3, 2, v5
	ds_bpermute_b32 v3, v3, v2
	s_and_b32 exec_lo, exec_lo, vcc_lo
	s_cbranch_execz .LBB275_7
; %bb.6:
	s_waitcnt lgkmcnt(0)
	v_add_f32_e32 v2, v2, v3
	v_mov_b32_e32 v4, 0x7fc0
	v_mad_u64_u32 v[0:1], null, s2, s8, v[1:2]
	v_mov_b32_e32 v1, 0
	v_bfe_u32 v3, v2, 16, 1
	v_cmp_o_f32_e32 vcc_lo, v2, v2
	v_add3_u32 v2, v2, v3, 0x7fff
	v_lshlrev_b64 v[0:1], 1, v[0:1]
	v_cndmask_b32_sdwa v2, v4, v2, vcc_lo dst_sel:DWORD dst_unused:UNUSED_PAD src0_sel:DWORD src1_sel:WORD_1
	v_add_co_u32 v0, vcc_lo, s10, v0
	v_add_co_ci_u32_e64 v1, null, s11, v1, vcc_lo
	global_store_short v[0:1], v2, off
.LBB275_7:
	s_endpgm
	.section	.rodata,"a",@progbits
	.p2align	6, 0x0
	.amdhsa_kernel _ZL9moe_vec_qIN3c108BFloat16ELi32ELi4E10block_q4_0Li2EXadL_ZL17vec_dot_q4_0_q8_1PKvPK10block_q8_1RKiEEEvS4_S4_PT_PS8_iiii
		.amdhsa_group_segment_fixed_size 0
		.amdhsa_private_segment_fixed_size 0
		.amdhsa_kernarg_size 304
		.amdhsa_user_sgpr_count 6
		.amdhsa_user_sgpr_private_segment_buffer 1
		.amdhsa_user_sgpr_dispatch_ptr 0
		.amdhsa_user_sgpr_queue_ptr 0
		.amdhsa_user_sgpr_kernarg_segment_ptr 1
		.amdhsa_user_sgpr_dispatch_id 0
		.amdhsa_user_sgpr_flat_scratch_init 0
		.amdhsa_user_sgpr_private_segment_size 0
		.amdhsa_wavefront_size32 1
		.amdhsa_uses_dynamic_stack 0
		.amdhsa_system_sgpr_private_segment_wavefront_offset 0
		.amdhsa_system_sgpr_workgroup_id_x 1
		.amdhsa_system_sgpr_workgroup_id_y 0
		.amdhsa_system_sgpr_workgroup_id_z 1
		.amdhsa_system_sgpr_workgroup_info 0
		.amdhsa_system_vgpr_workitem_id 1
		.amdhsa_next_free_vgpr 16
		.amdhsa_next_free_sgpr 20
		.amdhsa_reserve_vcc 1
		.amdhsa_reserve_flat_scratch 0
		.amdhsa_float_round_mode_32 0
		.amdhsa_float_round_mode_16_64 0
		.amdhsa_float_denorm_mode_32 3
		.amdhsa_float_denorm_mode_16_64 3
		.amdhsa_dx10_clamp 1
		.amdhsa_ieee_mode 1
		.amdhsa_fp16_overflow 0
		.amdhsa_workgroup_processor_mode 1
		.amdhsa_memory_ordered 1
		.amdhsa_forward_progress 1
		.amdhsa_shared_vgpr_count 0
		.amdhsa_exception_fp_ieee_invalid_op 0
		.amdhsa_exception_fp_denorm_src 0
		.amdhsa_exception_fp_ieee_div_zero 0
		.amdhsa_exception_fp_ieee_overflow 0
		.amdhsa_exception_fp_ieee_underflow 0
		.amdhsa_exception_fp_ieee_inexact 0
		.amdhsa_exception_int_div_zero 0
	.end_amdhsa_kernel
	.section	.text._ZL9moe_vec_qIN3c108BFloat16ELi32ELi4E10block_q4_0Li2EXadL_ZL17vec_dot_q4_0_q8_1PKvPK10block_q8_1RKiEEEvS4_S4_PT_PS8_iiii,"axG",@progbits,_ZL9moe_vec_qIN3c108BFloat16ELi32ELi4E10block_q4_0Li2EXadL_ZL17vec_dot_q4_0_q8_1PKvPK10block_q8_1RKiEEEvS4_S4_PT_PS8_iiii,comdat
.Lfunc_end275:
	.size	_ZL9moe_vec_qIN3c108BFloat16ELi32ELi4E10block_q4_0Li2EXadL_ZL17vec_dot_q4_0_q8_1PKvPK10block_q8_1RKiEEEvS4_S4_PT_PS8_iiii, .Lfunc_end275-_ZL9moe_vec_qIN3c108BFloat16ELi32ELi4E10block_q4_0Li2EXadL_ZL17vec_dot_q4_0_q8_1PKvPK10block_q8_1RKiEEEvS4_S4_PT_PS8_iiii
                                        ; -- End function
	.set _ZL9moe_vec_qIN3c108BFloat16ELi32ELi4E10block_q4_0Li2EXadL_ZL17vec_dot_q4_0_q8_1PKvPK10block_q8_1RKiEEEvS4_S4_PT_PS8_iiii.num_vgpr, 16
	.set _ZL9moe_vec_qIN3c108BFloat16ELi32ELi4E10block_q4_0Li2EXadL_ZL17vec_dot_q4_0_q8_1PKvPK10block_q8_1RKiEEEvS4_S4_PT_PS8_iiii.num_agpr, 0
	.set _ZL9moe_vec_qIN3c108BFloat16ELi32ELi4E10block_q4_0Li2EXadL_ZL17vec_dot_q4_0_q8_1PKvPK10block_q8_1RKiEEEvS4_S4_PT_PS8_iiii.numbered_sgpr, 20
	.set _ZL9moe_vec_qIN3c108BFloat16ELi32ELi4E10block_q4_0Li2EXadL_ZL17vec_dot_q4_0_q8_1PKvPK10block_q8_1RKiEEEvS4_S4_PT_PS8_iiii.num_named_barrier, 0
	.set _ZL9moe_vec_qIN3c108BFloat16ELi32ELi4E10block_q4_0Li2EXadL_ZL17vec_dot_q4_0_q8_1PKvPK10block_q8_1RKiEEEvS4_S4_PT_PS8_iiii.private_seg_size, 0
	.set _ZL9moe_vec_qIN3c108BFloat16ELi32ELi4E10block_q4_0Li2EXadL_ZL17vec_dot_q4_0_q8_1PKvPK10block_q8_1RKiEEEvS4_S4_PT_PS8_iiii.uses_vcc, 1
	.set _ZL9moe_vec_qIN3c108BFloat16ELi32ELi4E10block_q4_0Li2EXadL_ZL17vec_dot_q4_0_q8_1PKvPK10block_q8_1RKiEEEvS4_S4_PT_PS8_iiii.uses_flat_scratch, 0
	.set _ZL9moe_vec_qIN3c108BFloat16ELi32ELi4E10block_q4_0Li2EXadL_ZL17vec_dot_q4_0_q8_1PKvPK10block_q8_1RKiEEEvS4_S4_PT_PS8_iiii.has_dyn_sized_stack, 0
	.set _ZL9moe_vec_qIN3c108BFloat16ELi32ELi4E10block_q4_0Li2EXadL_ZL17vec_dot_q4_0_q8_1PKvPK10block_q8_1RKiEEEvS4_S4_PT_PS8_iiii.has_recursion, 0
	.set _ZL9moe_vec_qIN3c108BFloat16ELi32ELi4E10block_q4_0Li2EXadL_ZL17vec_dot_q4_0_q8_1PKvPK10block_q8_1RKiEEEvS4_S4_PT_PS8_iiii.has_indirect_call, 0
	.section	.AMDGPU.csdata,"",@progbits
; Kernel info:
; codeLenInByte = 804
; TotalNumSgprs: 22
; NumVgprs: 16
; ScratchSize: 0
; MemoryBound: 0
; FloatMode: 240
; IeeeMode: 1
; LDSByteSize: 0 bytes/workgroup (compile time only)
; SGPRBlocks: 0
; VGPRBlocks: 1
; NumSGPRsForWavesPerEU: 22
; NumVGPRsForWavesPerEU: 16
; Occupancy: 16
; WaveLimiterHint : 1
; COMPUTE_PGM_RSRC2:SCRATCH_EN: 0
; COMPUTE_PGM_RSRC2:USER_SGPR: 6
; COMPUTE_PGM_RSRC2:TRAP_HANDLER: 0
; COMPUTE_PGM_RSRC2:TGID_X_EN: 1
; COMPUTE_PGM_RSRC2:TGID_Y_EN: 0
; COMPUTE_PGM_RSRC2:TGID_Z_EN: 1
; COMPUTE_PGM_RSRC2:TIDIG_COMP_CNT: 1
	.section	.text._ZL9moe_vec_qIN3c108BFloat16ELi32ELi4E10block_q4_1Li2EXadL_ZL17vec_dot_q4_1_q8_1PKvPK10block_q8_1RKiEEEvS4_S4_PT_PS8_iiii,"axG",@progbits,_ZL9moe_vec_qIN3c108BFloat16ELi32ELi4E10block_q4_1Li2EXadL_ZL17vec_dot_q4_1_q8_1PKvPK10block_q8_1RKiEEEvS4_S4_PT_PS8_iiii,comdat
	.globl	_ZL9moe_vec_qIN3c108BFloat16ELi32ELi4E10block_q4_1Li2EXadL_ZL17vec_dot_q4_1_q8_1PKvPK10block_q8_1RKiEEEvS4_S4_PT_PS8_iiii ; -- Begin function _ZL9moe_vec_qIN3c108BFloat16ELi32ELi4E10block_q4_1Li2EXadL_ZL17vec_dot_q4_1_q8_1PKvPK10block_q8_1RKiEEEvS4_S4_PT_PS8_iiii
	.p2align	8
	.type	_ZL9moe_vec_qIN3c108BFloat16ELi32ELi4E10block_q4_1Li2EXadL_ZL17vec_dot_q4_1_q8_1PKvPK10block_q8_1RKiEEEvS4_S4_PT_PS8_iiii,@function
_ZL9moe_vec_qIN3c108BFloat16ELi32ELi4E10block_q4_1Li2EXadL_ZL17vec_dot_q4_1_q8_1PKvPK10block_q8_1RKiEEEvS4_S4_PT_PS8_iiii: ; @_ZL9moe_vec_qIN3c108BFloat16ELi32ELi4E10block_q4_1Li2EXadL_ZL17vec_dot_q4_1_q8_1PKvPK10block_q8_1RKiEEEvS4_S4_PT_PS8_iiii
; %bb.0:
	s_mov_b32 s8, s7
	s_clause 0x1
	s_load_dword s7, s[4:5], 0x3c
	s_load_dwordx4 s[0:3], s[4:5], 0x20
	s_waitcnt lgkmcnt(0)
	s_lshr_b32 s7, s7, 16
	v_mad_u64_u32 v[1:2], null, s6, s7, v[1:2]
	s_mov_b32 s6, exec_lo
	v_cmpx_gt_u32_e64 s2, v1
	s_cbranch_execz .LBB276_7
; %bb.1:
	v_cvt_f32_u32_e32 v2, s0
	s_load_dwordx2 s[10:11], s[4:5], 0x10
	s_ashr_i32 s6, s1, 31
	s_mov_b32 s12, exec_lo
	s_lshr_b32 s6, s6, 27
	v_rcp_iflag_f32_e32 v2, v2
	s_add_i32 s1, s1, s6
	s_ashr_i32 s13, s1, 5
	v_mul_f32_e32 v3, 0x4f7ffffe, v2
	v_lshrrev_b32_e32 v2, 1, v0
	v_cvt_u32_f32_e32 v3, v3
	v_readfirstlane_b32 s1, v3
	v_mov_b32_e32 v3, 0
	v_cmpx_gt_u32_e64 s13, v2
	s_cbranch_execz .LBB276_5
; %bb.2:
	s_load_dwordx2 s[6:7], s[4:5], 0x18
	s_sub_i32 s9, 0, s0
	v_lshlrev_b32_e32 v3, 3, v0
	s_mul_i32 s14, s9, s1
	s_mov_b32 s9, 0
	s_mul_hi_u32 s16, s1, s14
	s_lshl_b64 s[14:15], s[8:9], 2
	s_add_i32 s1, s1, s16
	s_mul_i32 s16, s13, s2
	s_mul_hi_u32 s1, s8, s1
	v_mul_lo_u32 v4, v1, s13
	v_and_b32_e32 v5, 8, v3
	v_mov_b32_e32 v3, 0
	s_waitcnt lgkmcnt(0)
	s_add_u32 s6, s6, s14
	s_addc_u32 s7, s7, s15
	s_mul_i32 s15, s1, s0
	s_load_dword s14, s[6:7], 0x0
	s_load_dwordx4 s[4:7], s[4:5], 0x0
	s_sub_i32 s17, s8, s15
	s_add_i32 s18, s1, 1
	s_sub_i32 s19, s17, s0
	s_cmp_ge_u32 s17, s0
	s_mov_b32 s15, s9
	s_cselect_b32 s1, s18, s1
	s_cselect_b32 s17, s19, s17
	s_add_i32 s18, s1, 1
	s_cmp_ge_u32 s17, s0
	s_cselect_b32 s0, s18, s1
	s_waitcnt lgkmcnt(0)
	s_mul_i32 s1, s16, s14
	s_mul_i32 s14, s0, s3
	;; [unrolled: 1-line block ×3, first 2 shown]
	s_mul_hi_i32 s1, s1, 20
	s_add_u32 s0, s4, s0
	s_addc_u32 s1, s5, s1
	s_lshl_b64 s[4:5], s[14:15], 2
	s_add_u32 s4, s6, s4
	s_addc_u32 s5, s7, s5
.LBB276_3:                              ; =>This Inner Loop Header: Depth=1
	v_add_nc_u32_e32 v6, v4, v2
	v_mad_i64_i32 v[8:9], null, v2, 36, s[4:5]
	v_add_nc_u32_e32 v2, 16, v2
	v_mad_i64_i32 v[6:7], null, v6, 20, s[0:1]
	v_add_co_u32 v10, vcc_lo, v6, v5
	v_add_co_ci_u32_e64 v11, null, 0, v7, vcc_lo
	v_add_co_u32 v12, vcc_lo, v8, v5
	v_add_co_ci_u32_e64 v13, null, 0, v9, vcc_lo
	global_load_dwordx2 v[10:11], v[10:11], off offset:4
	s_clause 0x2
	global_load_dwordx2 v[14:15], v[12:13], off offset:4
	global_load_dwordx2 v[12:13], v[12:13], off offset:20
	global_load_dword v8, v[8:9], off
	global_load_dword v6, v[6:7], off
	v_mov_b32_e32 v7, 0
	v_cmp_le_u32_e32 vcc_lo, s13, v2
	s_or_b32 s9, vcc_lo, s9
	s_waitcnt vmcnt(4)
	v_lshrrev_b32_e32 v9, 4, v10
	v_and_b32_e32 v10, 0xf0f0f0f, v10
	s_waitcnt vmcnt(0)
	v_pk_mul_f16 v6, v6, v8
	v_and_b32_e32 v9, 0xf0f0f0f, v9
	v_dot4c_i32_i8 v7, v10, v14
	v_and_b32_e32 v10, 0xf0f0f0f, v11
	v_lshrrev_b32_e32 v11, 4, v11
	v_dot4c_i32_i8 v7, v9, v12
	v_cvt_f32_f16_sdwa v9, v6 dst_sel:DWORD dst_unused:UNUSED_PAD src0_sel:WORD_1
	v_and_b32_e32 v8, 0xf0f0f0f, v11
	v_dot4c_i32_i8 v7, v10, v15
	v_dot4c_i32_i8 v7, v8, v13
	v_mul_f32_e32 v8, 0.5, v9
	v_cvt_f32_i32_e32 v7, v7
	v_fma_mix_f32 v6, v7, v6, v8 op_sel_hi:[0,1,0]
	v_add_f32_e32 v3, v3, v6
	s_andn2_b32 exec_lo, exec_lo, s9
	s_cbranch_execnz .LBB276_3
; %bb.4:
	s_or_b32 exec_lo, exec_lo, s9
.LBB276_5:
	s_or_b32 exec_lo, exec_lo, s12
	v_mbcnt_lo_u32_b32 v2, -1, 0
	v_xor_b32_e32 v4, 16, v2
	v_xor_b32_e32 v5, 8, v2
	v_cmp_gt_i32_e32 vcc_lo, 32, v4
	v_cndmask_b32_e32 v4, v2, v4, vcc_lo
	v_cmp_gt_i32_e32 vcc_lo, 32, v5
	v_lshlrev_b32_e32 v4, 2, v4
	v_cndmask_b32_e32 v5, v2, v5, vcc_lo
	ds_bpermute_b32 v4, v4, v3
	v_lshlrev_b32_e32 v5, 2, v5
	s_waitcnt lgkmcnt(0)
	v_add_f32_e32 v3, v3, v4
	ds_bpermute_b32 v4, v5, v3
	v_xor_b32_e32 v5, 4, v2
	v_cmp_gt_i32_e32 vcc_lo, 32, v5
	v_cndmask_b32_e32 v5, v2, v5, vcc_lo
	v_lshlrev_b32_e32 v5, 2, v5
	s_waitcnt lgkmcnt(0)
	v_add_f32_e32 v3, v3, v4
	ds_bpermute_b32 v4, v5, v3
	v_xor_b32_e32 v5, 2, v2
	v_cmp_gt_i32_e32 vcc_lo, 32, v5
	v_cndmask_b32_e32 v5, v2, v5, vcc_lo
	;; [unrolled: 7-line block ×3, first 2 shown]
	v_cmp_eq_u32_e32 vcc_lo, 0, v0
	s_waitcnt lgkmcnt(0)
	v_add_f32_e32 v2, v3, v4
	v_lshlrev_b32_e32 v3, 2, v5
	ds_bpermute_b32 v3, v3, v2
	s_and_b32 exec_lo, exec_lo, vcc_lo
	s_cbranch_execz .LBB276_7
; %bb.6:
	s_waitcnt lgkmcnt(0)
	v_add_f32_e32 v2, v2, v3
	v_mov_b32_e32 v4, 0x7fc0
	v_mad_u64_u32 v[0:1], null, s2, s8, v[1:2]
	v_mov_b32_e32 v1, 0
	v_bfe_u32 v3, v2, 16, 1
	v_cmp_o_f32_e32 vcc_lo, v2, v2
	v_add3_u32 v2, v2, v3, 0x7fff
	v_lshlrev_b64 v[0:1], 1, v[0:1]
	v_cndmask_b32_sdwa v2, v4, v2, vcc_lo dst_sel:DWORD dst_unused:UNUSED_PAD src0_sel:DWORD src1_sel:WORD_1
	v_add_co_u32 v0, vcc_lo, s10, v0
	v_add_co_ci_u32_e64 v1, null, s11, v1, vcc_lo
	global_store_short v[0:1], v2, off
.LBB276_7:
	s_endpgm
	.section	.rodata,"a",@progbits
	.p2align	6, 0x0
	.amdhsa_kernel _ZL9moe_vec_qIN3c108BFloat16ELi32ELi4E10block_q4_1Li2EXadL_ZL17vec_dot_q4_1_q8_1PKvPK10block_q8_1RKiEEEvS4_S4_PT_PS8_iiii
		.amdhsa_group_segment_fixed_size 0
		.amdhsa_private_segment_fixed_size 0
		.amdhsa_kernarg_size 304
		.amdhsa_user_sgpr_count 6
		.amdhsa_user_sgpr_private_segment_buffer 1
		.amdhsa_user_sgpr_dispatch_ptr 0
		.amdhsa_user_sgpr_queue_ptr 0
		.amdhsa_user_sgpr_kernarg_segment_ptr 1
		.amdhsa_user_sgpr_dispatch_id 0
		.amdhsa_user_sgpr_flat_scratch_init 0
		.amdhsa_user_sgpr_private_segment_size 0
		.amdhsa_wavefront_size32 1
		.amdhsa_uses_dynamic_stack 0
		.amdhsa_system_sgpr_private_segment_wavefront_offset 0
		.amdhsa_system_sgpr_workgroup_id_x 1
		.amdhsa_system_sgpr_workgroup_id_y 0
		.amdhsa_system_sgpr_workgroup_id_z 1
		.amdhsa_system_sgpr_workgroup_info 0
		.amdhsa_system_vgpr_workitem_id 1
		.amdhsa_next_free_vgpr 16
		.amdhsa_next_free_sgpr 20
		.amdhsa_reserve_vcc 1
		.amdhsa_reserve_flat_scratch 0
		.amdhsa_float_round_mode_32 0
		.amdhsa_float_round_mode_16_64 0
		.amdhsa_float_denorm_mode_32 3
		.amdhsa_float_denorm_mode_16_64 3
		.amdhsa_dx10_clamp 1
		.amdhsa_ieee_mode 1
		.amdhsa_fp16_overflow 0
		.amdhsa_workgroup_processor_mode 1
		.amdhsa_memory_ordered 1
		.amdhsa_forward_progress 1
		.amdhsa_shared_vgpr_count 0
		.amdhsa_exception_fp_ieee_invalid_op 0
		.amdhsa_exception_fp_denorm_src 0
		.amdhsa_exception_fp_ieee_div_zero 0
		.amdhsa_exception_fp_ieee_overflow 0
		.amdhsa_exception_fp_ieee_underflow 0
		.amdhsa_exception_fp_ieee_inexact 0
		.amdhsa_exception_int_div_zero 0
	.end_amdhsa_kernel
	.section	.text._ZL9moe_vec_qIN3c108BFloat16ELi32ELi4E10block_q4_1Li2EXadL_ZL17vec_dot_q4_1_q8_1PKvPK10block_q8_1RKiEEEvS4_S4_PT_PS8_iiii,"axG",@progbits,_ZL9moe_vec_qIN3c108BFloat16ELi32ELi4E10block_q4_1Li2EXadL_ZL17vec_dot_q4_1_q8_1PKvPK10block_q8_1RKiEEEvS4_S4_PT_PS8_iiii,comdat
.Lfunc_end276:
	.size	_ZL9moe_vec_qIN3c108BFloat16ELi32ELi4E10block_q4_1Li2EXadL_ZL17vec_dot_q4_1_q8_1PKvPK10block_q8_1RKiEEEvS4_S4_PT_PS8_iiii, .Lfunc_end276-_ZL9moe_vec_qIN3c108BFloat16ELi32ELi4E10block_q4_1Li2EXadL_ZL17vec_dot_q4_1_q8_1PKvPK10block_q8_1RKiEEEvS4_S4_PT_PS8_iiii
                                        ; -- End function
	.set _ZL9moe_vec_qIN3c108BFloat16ELi32ELi4E10block_q4_1Li2EXadL_ZL17vec_dot_q4_1_q8_1PKvPK10block_q8_1RKiEEEvS4_S4_PT_PS8_iiii.num_vgpr, 16
	.set _ZL9moe_vec_qIN3c108BFloat16ELi32ELi4E10block_q4_1Li2EXadL_ZL17vec_dot_q4_1_q8_1PKvPK10block_q8_1RKiEEEvS4_S4_PT_PS8_iiii.num_agpr, 0
	.set _ZL9moe_vec_qIN3c108BFloat16ELi32ELi4E10block_q4_1Li2EXadL_ZL17vec_dot_q4_1_q8_1PKvPK10block_q8_1RKiEEEvS4_S4_PT_PS8_iiii.numbered_sgpr, 20
	.set _ZL9moe_vec_qIN3c108BFloat16ELi32ELi4E10block_q4_1Li2EXadL_ZL17vec_dot_q4_1_q8_1PKvPK10block_q8_1RKiEEEvS4_S4_PT_PS8_iiii.num_named_barrier, 0
	.set _ZL9moe_vec_qIN3c108BFloat16ELi32ELi4E10block_q4_1Li2EXadL_ZL17vec_dot_q4_1_q8_1PKvPK10block_q8_1RKiEEEvS4_S4_PT_PS8_iiii.private_seg_size, 0
	.set _ZL9moe_vec_qIN3c108BFloat16ELi32ELi4E10block_q4_1Li2EXadL_ZL17vec_dot_q4_1_q8_1PKvPK10block_q8_1RKiEEEvS4_S4_PT_PS8_iiii.uses_vcc, 1
	.set _ZL9moe_vec_qIN3c108BFloat16ELi32ELi4E10block_q4_1Li2EXadL_ZL17vec_dot_q4_1_q8_1PKvPK10block_q8_1RKiEEEvS4_S4_PT_PS8_iiii.uses_flat_scratch, 0
	.set _ZL9moe_vec_qIN3c108BFloat16ELi32ELi4E10block_q4_1Li2EXadL_ZL17vec_dot_q4_1_q8_1PKvPK10block_q8_1RKiEEEvS4_S4_PT_PS8_iiii.has_dyn_sized_stack, 0
	.set _ZL9moe_vec_qIN3c108BFloat16ELi32ELi4E10block_q4_1Li2EXadL_ZL17vec_dot_q4_1_q8_1PKvPK10block_q8_1RKiEEEvS4_S4_PT_PS8_iiii.has_recursion, 0
	.set _ZL9moe_vec_qIN3c108BFloat16ELi32ELi4E10block_q4_1Li2EXadL_ZL17vec_dot_q4_1_q8_1PKvPK10block_q8_1RKiEEEvS4_S4_PT_PS8_iiii.has_indirect_call, 0
	.section	.AMDGPU.csdata,"",@progbits
; Kernel info:
; codeLenInByte = 796
; TotalNumSgprs: 22
; NumVgprs: 16
; ScratchSize: 0
; MemoryBound: 0
; FloatMode: 240
; IeeeMode: 1
; LDSByteSize: 0 bytes/workgroup (compile time only)
; SGPRBlocks: 0
; VGPRBlocks: 1
; NumSGPRsForWavesPerEU: 22
; NumVGPRsForWavesPerEU: 16
; Occupancy: 16
; WaveLimiterHint : 1
; COMPUTE_PGM_RSRC2:SCRATCH_EN: 0
; COMPUTE_PGM_RSRC2:USER_SGPR: 6
; COMPUTE_PGM_RSRC2:TRAP_HANDLER: 0
; COMPUTE_PGM_RSRC2:TGID_X_EN: 1
; COMPUTE_PGM_RSRC2:TGID_Y_EN: 0
; COMPUTE_PGM_RSRC2:TGID_Z_EN: 1
; COMPUTE_PGM_RSRC2:TIDIG_COMP_CNT: 1
	.section	.text._ZL9moe_vec_qIN3c108BFloat16ELi32ELi4E10block_q5_0Li2EXadL_ZL17vec_dot_q5_0_q8_1PKvPK10block_q8_1RKiEEEvS4_S4_PT_PS8_iiii,"axG",@progbits,_ZL9moe_vec_qIN3c108BFloat16ELi32ELi4E10block_q5_0Li2EXadL_ZL17vec_dot_q5_0_q8_1PKvPK10block_q8_1RKiEEEvS4_S4_PT_PS8_iiii,comdat
	.globl	_ZL9moe_vec_qIN3c108BFloat16ELi32ELi4E10block_q5_0Li2EXadL_ZL17vec_dot_q5_0_q8_1PKvPK10block_q8_1RKiEEEvS4_S4_PT_PS8_iiii ; -- Begin function _ZL9moe_vec_qIN3c108BFloat16ELi32ELi4E10block_q5_0Li2EXadL_ZL17vec_dot_q5_0_q8_1PKvPK10block_q8_1RKiEEEvS4_S4_PT_PS8_iiii
	.p2align	8
	.type	_ZL9moe_vec_qIN3c108BFloat16ELi32ELi4E10block_q5_0Li2EXadL_ZL17vec_dot_q5_0_q8_1PKvPK10block_q8_1RKiEEEvS4_S4_PT_PS8_iiii,@function
_ZL9moe_vec_qIN3c108BFloat16ELi32ELi4E10block_q5_0Li2EXadL_ZL17vec_dot_q5_0_q8_1PKvPK10block_q8_1RKiEEEvS4_S4_PT_PS8_iiii: ; @_ZL9moe_vec_qIN3c108BFloat16ELi32ELi4E10block_q5_0Li2EXadL_ZL17vec_dot_q5_0_q8_1PKvPK10block_q8_1RKiEEEvS4_S4_PT_PS8_iiii
; %bb.0:
	s_mov_b32 s8, s7
	s_clause 0x1
	s_load_dword s7, s[4:5], 0x3c
	s_load_dwordx4 s[0:3], s[4:5], 0x20
	s_waitcnt lgkmcnt(0)
	s_lshr_b32 s7, s7, 16
	v_mad_u64_u32 v[1:2], null, s6, s7, v[1:2]
	s_mov_b32 s6, exec_lo
	v_cmpx_gt_u32_e64 s2, v1
	s_cbranch_execz .LBB277_7
; %bb.1:
	v_cvt_f32_u32_e32 v2, s0
	s_load_dwordx2 s[10:11], s[4:5], 0x10
	s_ashr_i32 s6, s1, 31
	s_mov_b32 s12, exec_lo
	s_lshr_b32 s6, s6, 27
	v_rcp_iflag_f32_e32 v2, v2
	s_add_i32 s1, s1, s6
	s_ashr_i32 s13, s1, 5
	v_mul_f32_e32 v3, 0x4f7ffffe, v2
	v_lshrrev_b32_e32 v2, 1, v0
	v_cvt_u32_f32_e32 v3, v3
	v_readfirstlane_b32 s1, v3
	v_mov_b32_e32 v3, 0
	v_cmpx_gt_u32_e64 s13, v2
	s_cbranch_execz .LBB277_5
; %bb.2:
	s_load_dwordx2 s[6:7], s[4:5], 0x18
	s_sub_i32 s9, 0, s0
	v_lshlrev_b32_e32 v5, 3, v0
	s_mul_i32 s14, s9, s1
	s_mov_b32 s9, 0
	s_mul_hi_u32 s16, s1, s14
	s_lshl_b64 s[14:15], s[8:9], 2
	s_add_i32 s1, s1, s16
	s_mul_i32 s16, s13, s2
	s_mul_hi_u32 s1, s8, s1
	v_and_b32_e32 v5, 8, v5
	v_mul_lo_u32 v4, v1, s13
	v_mov_b32_e32 v3, 0
	v_or_b32_e32 v6, 4, v5
	s_waitcnt lgkmcnt(0)
	s_add_u32 s6, s6, s14
	s_addc_u32 s7, s7, s15
	s_mul_i32 s15, s1, s0
	s_load_dword s14, s[6:7], 0x0
	s_load_dwordx4 s[4:7], s[4:5], 0x0
	s_sub_i32 s17, s8, s15
	s_add_i32 s18, s1, 1
	s_sub_i32 s19, s17, s0
	s_cmp_ge_u32 s17, s0
	s_mov_b32 s15, s9
	s_cselect_b32 s1, s18, s1
	s_cselect_b32 s17, s19, s17
	s_add_i32 s18, s1, 1
	s_cmp_ge_u32 s17, s0
	s_cselect_b32 s0, s18, s1
	s_waitcnt lgkmcnt(0)
	s_mul_i32 s1, s16, s14
	s_mul_i32 s14, s0, s3
	;; [unrolled: 1-line block ×3, first 2 shown]
	s_mul_hi_i32 s1, s1, 22
	s_add_u32 s0, s4, s0
	s_addc_u32 s1, s5, s1
	s_lshl_b64 s[4:5], s[14:15], 2
	s_add_u32 s4, s6, s4
	s_addc_u32 s5, s7, s5
.LBB277_3:                              ; =>This Inner Loop Header: Depth=1
	v_add_nc_u32_e32 v7, v4, v2
	v_mad_i64_i32 v[11:12], null, v2, 36, s[4:5]
	v_add_nc_u32_e32 v2, 16, v2
	v_mad_i64_i32 v[7:8], null, v7, 22, s[0:1]
	v_add_co_u32 v9, vcc_lo, v7, v5
	v_add_co_ci_u32_e64 v10, null, 0, v8, vcc_lo
	v_add_co_u32 v13, vcc_lo, v11, v5
	s_clause 0x1
	global_load_dword v17, v[7:8], off offset:2
	global_load_dwordx2 v[9:10], v[9:10], off offset:6
	v_add_co_ci_u32_e64 v14, null, 0, v12, vcc_lo
	s_clause 0x2
	global_load_dwordx2 v[15:16], v[13:14], off offset:4
	global_load_dwordx2 v[13:14], v[13:14], off offset:20
	global_load_dword v11, v[11:12], off
	global_load_ushort v7, v[7:8], off
	v_mov_b32_e32 v8, 0
	v_cmp_le_u32_e32 vcc_lo, s13, v2
	s_or_b32 s9, vcc_lo, s9
	s_waitcnt vmcnt(5)
	v_ashrrev_i32_e32 v12, v5, v17
	v_ashrrev_i32_e32 v17, v6, v17
	s_waitcnt vmcnt(4)
	v_and_b32_e32 v18, 0xf0f0f0f, v9
	v_lshrrev_b32_e32 v9, 4, v9
	v_and_b32_e32 v26, 0xf0f0f0f, v10
	v_lshlrev_b32_e32 v19, 4, v12
	v_lshlrev_b32_e32 v20, 11, v12
	;; [unrolled: 1-line block ×4, first 2 shown]
	v_lshrrev_b32_e32 v23, 12, v12
	v_lshrrev_b32_e32 v24, 5, v12
	v_lshlrev_b32_e32 v25, 2, v12
	v_and_b32_e32 v19, 16, v19
	v_and_b32_e32 v20, 0x1000, v20
	v_lshlrev_b32_e32 v12, 9, v12
	v_lshlrev_b32_e32 v27, 4, v17
	;; [unrolled: 1-line block ×4, first 2 shown]
	v_and_b32_e32 v21, 0x100000, v21
	v_and_b32_e32 v22, 0x10000000, v22
	;; [unrolled: 1-line block ×5, first 2 shown]
	v_or3_b32 v18, v19, v18, v20
	v_lshlrev_b32_e32 v30, 25, v17
	v_lshrrev_b32_e32 v31, 12, v17
	v_lshrrev_b32_e32 v32, 5, v17
	v_lshlrev_b32_e32 v33, 2, v17
	v_and_b32_e32 v9, 0xf0f0f0f, v9
	v_and_b32_e32 v12, 0x10000000, v12
	;; [unrolled: 1-line block ×5, first 2 shown]
	v_or3_b32 v23, v24, v23, v25
	v_or3_b32 v18, v18, v21, v22
	v_lshrrev_b32_e32 v10, 4, v10
	v_lshlrev_b32_e32 v17, 9, v17
	v_and_b32_e32 v20, 0x10000000, v30
	v_and_b32_e32 v29, 16, v31
	;; [unrolled: 1-line block ×4, first 2 shown]
	v_or3_b32 v19, v28, v27, v19
	v_or3_b32 v9, v23, v12, v9
	s_waitcnt vmcnt(3)
	v_dot4c_i32_i8 v8, v18, v15
	v_and_b32_e32 v10, 0xf0f0f0f, v10
	v_and_b32_e32 v12, 0x10000000, v17
	v_or3_b32 v15, v21, v29, v22
	v_or3_b32 v17, v19, v20, v26
	s_waitcnt vmcnt(2)
	v_dot4c_i32_i8 v8, v9, v13
	v_or3_b32 v9, v15, v12, v10
	s_waitcnt vmcnt(1)
	v_cvt_f32_f16_sdwa v10, v11 dst_sel:DWORD dst_unused:UNUSED_PAD src0_sel:WORD_1
	v_dot4c_i32_i8 v8, v17, v16
	v_dot4c_i32_i8 v8, v9, v14
	v_mul_f32_e32 v9, 0xc1000000, v10
	v_cvt_f32_i32_e32 v8, v8
	v_fma_mix_f32 v8, v11, v8, v9 op_sel_hi:[1,0,0]
	s_waitcnt vmcnt(0)
	v_fma_mix_f32 v3, v8, v7, v3 op_sel_hi:[0,1,0]
	s_andn2_b32 exec_lo, exec_lo, s9
	s_cbranch_execnz .LBB277_3
; %bb.4:
	s_or_b32 exec_lo, exec_lo, s9
.LBB277_5:
	s_or_b32 exec_lo, exec_lo, s12
	v_mbcnt_lo_u32_b32 v2, -1, 0
	v_xor_b32_e32 v4, 16, v2
	v_xor_b32_e32 v5, 8, v2
	v_cmp_gt_i32_e32 vcc_lo, 32, v4
	v_cndmask_b32_e32 v4, v2, v4, vcc_lo
	v_cmp_gt_i32_e32 vcc_lo, 32, v5
	v_lshlrev_b32_e32 v4, 2, v4
	v_cndmask_b32_e32 v5, v2, v5, vcc_lo
	ds_bpermute_b32 v4, v4, v3
	v_lshlrev_b32_e32 v5, 2, v5
	s_waitcnt lgkmcnt(0)
	v_add_f32_e32 v3, v3, v4
	ds_bpermute_b32 v4, v5, v3
	v_xor_b32_e32 v5, 4, v2
	v_cmp_gt_i32_e32 vcc_lo, 32, v5
	v_cndmask_b32_e32 v5, v2, v5, vcc_lo
	v_lshlrev_b32_e32 v5, 2, v5
	s_waitcnt lgkmcnt(0)
	v_add_f32_e32 v3, v3, v4
	ds_bpermute_b32 v4, v5, v3
	v_xor_b32_e32 v5, 2, v2
	v_cmp_gt_i32_e32 vcc_lo, 32, v5
	v_cndmask_b32_e32 v5, v2, v5, vcc_lo
	;; [unrolled: 7-line block ×3, first 2 shown]
	v_cmp_eq_u32_e32 vcc_lo, 0, v0
	s_waitcnt lgkmcnt(0)
	v_add_f32_e32 v2, v3, v4
	v_lshlrev_b32_e32 v3, 2, v5
	ds_bpermute_b32 v3, v3, v2
	s_and_b32 exec_lo, exec_lo, vcc_lo
	s_cbranch_execz .LBB277_7
; %bb.6:
	s_waitcnt lgkmcnt(0)
	v_add_f32_e32 v2, v2, v3
	v_mov_b32_e32 v4, 0x7fc0
	v_mad_u64_u32 v[0:1], null, s2, s8, v[1:2]
	v_mov_b32_e32 v1, 0
	v_bfe_u32 v3, v2, 16, 1
	v_cmp_o_f32_e32 vcc_lo, v2, v2
	v_add3_u32 v2, v2, v3, 0x7fff
	v_lshlrev_b64 v[0:1], 1, v[0:1]
	v_cndmask_b32_sdwa v2, v4, v2, vcc_lo dst_sel:DWORD dst_unused:UNUSED_PAD src0_sel:DWORD src1_sel:WORD_1
	v_add_co_u32 v0, vcc_lo, s10, v0
	v_add_co_ci_u32_e64 v1, null, s11, v1, vcc_lo
	global_store_short v[0:1], v2, off
.LBB277_7:
	s_endpgm
	.section	.rodata,"a",@progbits
	.p2align	6, 0x0
	.amdhsa_kernel _ZL9moe_vec_qIN3c108BFloat16ELi32ELi4E10block_q5_0Li2EXadL_ZL17vec_dot_q5_0_q8_1PKvPK10block_q8_1RKiEEEvS4_S4_PT_PS8_iiii
		.amdhsa_group_segment_fixed_size 0
		.amdhsa_private_segment_fixed_size 0
		.amdhsa_kernarg_size 304
		.amdhsa_user_sgpr_count 6
		.amdhsa_user_sgpr_private_segment_buffer 1
		.amdhsa_user_sgpr_dispatch_ptr 0
		.amdhsa_user_sgpr_queue_ptr 0
		.amdhsa_user_sgpr_kernarg_segment_ptr 1
		.amdhsa_user_sgpr_dispatch_id 0
		.amdhsa_user_sgpr_flat_scratch_init 0
		.amdhsa_user_sgpr_private_segment_size 0
		.amdhsa_wavefront_size32 1
		.amdhsa_uses_dynamic_stack 0
		.amdhsa_system_sgpr_private_segment_wavefront_offset 0
		.amdhsa_system_sgpr_workgroup_id_x 1
		.amdhsa_system_sgpr_workgroup_id_y 0
		.amdhsa_system_sgpr_workgroup_id_z 1
		.amdhsa_system_sgpr_workgroup_info 0
		.amdhsa_system_vgpr_workitem_id 1
		.amdhsa_next_free_vgpr 34
		.amdhsa_next_free_sgpr 20
		.amdhsa_reserve_vcc 1
		.amdhsa_reserve_flat_scratch 0
		.amdhsa_float_round_mode_32 0
		.amdhsa_float_round_mode_16_64 0
		.amdhsa_float_denorm_mode_32 3
		.amdhsa_float_denorm_mode_16_64 3
		.amdhsa_dx10_clamp 1
		.amdhsa_ieee_mode 1
		.amdhsa_fp16_overflow 0
		.amdhsa_workgroup_processor_mode 1
		.amdhsa_memory_ordered 1
		.amdhsa_forward_progress 1
		.amdhsa_shared_vgpr_count 0
		.amdhsa_exception_fp_ieee_invalid_op 0
		.amdhsa_exception_fp_denorm_src 0
		.amdhsa_exception_fp_ieee_div_zero 0
		.amdhsa_exception_fp_ieee_overflow 0
		.amdhsa_exception_fp_ieee_underflow 0
		.amdhsa_exception_fp_ieee_inexact 0
		.amdhsa_exception_int_div_zero 0
	.end_amdhsa_kernel
	.section	.text._ZL9moe_vec_qIN3c108BFloat16ELi32ELi4E10block_q5_0Li2EXadL_ZL17vec_dot_q5_0_q8_1PKvPK10block_q8_1RKiEEEvS4_S4_PT_PS8_iiii,"axG",@progbits,_ZL9moe_vec_qIN3c108BFloat16ELi32ELi4E10block_q5_0Li2EXadL_ZL17vec_dot_q5_0_q8_1PKvPK10block_q8_1RKiEEEvS4_S4_PT_PS8_iiii,comdat
.Lfunc_end277:
	.size	_ZL9moe_vec_qIN3c108BFloat16ELi32ELi4E10block_q5_0Li2EXadL_ZL17vec_dot_q5_0_q8_1PKvPK10block_q8_1RKiEEEvS4_S4_PT_PS8_iiii, .Lfunc_end277-_ZL9moe_vec_qIN3c108BFloat16ELi32ELi4E10block_q5_0Li2EXadL_ZL17vec_dot_q5_0_q8_1PKvPK10block_q8_1RKiEEEvS4_S4_PT_PS8_iiii
                                        ; -- End function
	.set _ZL9moe_vec_qIN3c108BFloat16ELi32ELi4E10block_q5_0Li2EXadL_ZL17vec_dot_q5_0_q8_1PKvPK10block_q8_1RKiEEEvS4_S4_PT_PS8_iiii.num_vgpr, 34
	.set _ZL9moe_vec_qIN3c108BFloat16ELi32ELi4E10block_q5_0Li2EXadL_ZL17vec_dot_q5_0_q8_1PKvPK10block_q8_1RKiEEEvS4_S4_PT_PS8_iiii.num_agpr, 0
	.set _ZL9moe_vec_qIN3c108BFloat16ELi32ELi4E10block_q5_0Li2EXadL_ZL17vec_dot_q5_0_q8_1PKvPK10block_q8_1RKiEEEvS4_S4_PT_PS8_iiii.numbered_sgpr, 20
	.set _ZL9moe_vec_qIN3c108BFloat16ELi32ELi4E10block_q5_0Li2EXadL_ZL17vec_dot_q5_0_q8_1PKvPK10block_q8_1RKiEEEvS4_S4_PT_PS8_iiii.num_named_barrier, 0
	.set _ZL9moe_vec_qIN3c108BFloat16ELi32ELi4E10block_q5_0Li2EXadL_ZL17vec_dot_q5_0_q8_1PKvPK10block_q8_1RKiEEEvS4_S4_PT_PS8_iiii.private_seg_size, 0
	.set _ZL9moe_vec_qIN3c108BFloat16ELi32ELi4E10block_q5_0Li2EXadL_ZL17vec_dot_q5_0_q8_1PKvPK10block_q8_1RKiEEEvS4_S4_PT_PS8_iiii.uses_vcc, 1
	.set _ZL9moe_vec_qIN3c108BFloat16ELi32ELi4E10block_q5_0Li2EXadL_ZL17vec_dot_q5_0_q8_1PKvPK10block_q8_1RKiEEEvS4_S4_PT_PS8_iiii.uses_flat_scratch, 0
	.set _ZL9moe_vec_qIN3c108BFloat16ELi32ELi4E10block_q5_0Li2EXadL_ZL17vec_dot_q5_0_q8_1PKvPK10block_q8_1RKiEEEvS4_S4_PT_PS8_iiii.has_dyn_sized_stack, 0
	.set _ZL9moe_vec_qIN3c108BFloat16ELi32ELi4E10block_q5_0Li2EXadL_ZL17vec_dot_q5_0_q8_1PKvPK10block_q8_1RKiEEEvS4_S4_PT_PS8_iiii.has_recursion, 0
	.set _ZL9moe_vec_qIN3c108BFloat16ELi32ELi4E10block_q5_0Li2EXadL_ZL17vec_dot_q5_0_q8_1PKvPK10block_q8_1RKiEEEvS4_S4_PT_PS8_iiii.has_indirect_call, 0
	.section	.AMDGPU.csdata,"",@progbits
; Kernel info:
; codeLenInByte = 1076
; TotalNumSgprs: 22
; NumVgprs: 34
; ScratchSize: 0
; MemoryBound: 0
; FloatMode: 240
; IeeeMode: 1
; LDSByteSize: 0 bytes/workgroup (compile time only)
; SGPRBlocks: 0
; VGPRBlocks: 4
; NumSGPRsForWavesPerEU: 22
; NumVGPRsForWavesPerEU: 34
; Occupancy: 16
; WaveLimiterHint : 1
; COMPUTE_PGM_RSRC2:SCRATCH_EN: 0
; COMPUTE_PGM_RSRC2:USER_SGPR: 6
; COMPUTE_PGM_RSRC2:TRAP_HANDLER: 0
; COMPUTE_PGM_RSRC2:TGID_X_EN: 1
; COMPUTE_PGM_RSRC2:TGID_Y_EN: 0
; COMPUTE_PGM_RSRC2:TGID_Z_EN: 1
; COMPUTE_PGM_RSRC2:TIDIG_COMP_CNT: 1
	.section	.text._ZL9moe_vec_qIN3c108BFloat16ELi32ELi4E10block_q5_1Li2EXadL_ZL17vec_dot_q5_1_q8_1PKvPK10block_q8_1RKiEEEvS4_S4_PT_PS8_iiii,"axG",@progbits,_ZL9moe_vec_qIN3c108BFloat16ELi32ELi4E10block_q5_1Li2EXadL_ZL17vec_dot_q5_1_q8_1PKvPK10block_q8_1RKiEEEvS4_S4_PT_PS8_iiii,comdat
	.globl	_ZL9moe_vec_qIN3c108BFloat16ELi32ELi4E10block_q5_1Li2EXadL_ZL17vec_dot_q5_1_q8_1PKvPK10block_q8_1RKiEEEvS4_S4_PT_PS8_iiii ; -- Begin function _ZL9moe_vec_qIN3c108BFloat16ELi32ELi4E10block_q5_1Li2EXadL_ZL17vec_dot_q5_1_q8_1PKvPK10block_q8_1RKiEEEvS4_S4_PT_PS8_iiii
	.p2align	8
	.type	_ZL9moe_vec_qIN3c108BFloat16ELi32ELi4E10block_q5_1Li2EXadL_ZL17vec_dot_q5_1_q8_1PKvPK10block_q8_1RKiEEEvS4_S4_PT_PS8_iiii,@function
_ZL9moe_vec_qIN3c108BFloat16ELi32ELi4E10block_q5_1Li2EXadL_ZL17vec_dot_q5_1_q8_1PKvPK10block_q8_1RKiEEEvS4_S4_PT_PS8_iiii: ; @_ZL9moe_vec_qIN3c108BFloat16ELi32ELi4E10block_q5_1Li2EXadL_ZL17vec_dot_q5_1_q8_1PKvPK10block_q8_1RKiEEEvS4_S4_PT_PS8_iiii
; %bb.0:
	s_mov_b32 s8, s7
	s_clause 0x1
	s_load_dword s7, s[4:5], 0x3c
	s_load_dwordx4 s[0:3], s[4:5], 0x20
	s_waitcnt lgkmcnt(0)
	s_lshr_b32 s7, s7, 16
	v_mad_u64_u32 v[1:2], null, s6, s7, v[1:2]
	s_mov_b32 s6, exec_lo
	v_cmpx_gt_u32_e64 s2, v1
	s_cbranch_execz .LBB278_7
; %bb.1:
	v_cvt_f32_u32_e32 v2, s0
	s_load_dwordx2 s[10:11], s[4:5], 0x10
	s_ashr_i32 s6, s1, 31
	s_mov_b32 s12, exec_lo
	s_lshr_b32 s6, s6, 27
	v_rcp_iflag_f32_e32 v2, v2
	s_add_i32 s1, s1, s6
	s_ashr_i32 s13, s1, 5
	v_mul_f32_e32 v3, 0x4f7ffffe, v2
	v_lshrrev_b32_e32 v2, 1, v0
	v_cvt_u32_f32_e32 v3, v3
	v_readfirstlane_b32 s1, v3
	v_mov_b32_e32 v3, 0
	v_cmpx_gt_u32_e64 s13, v2
	s_cbranch_execz .LBB278_5
; %bb.2:
	s_load_dwordx2 s[6:7], s[4:5], 0x18
	s_sub_i32 s9, 0, s0
	v_lshlrev_b32_e32 v5, 3, v0
	s_mul_i32 s14, s9, s1
	s_mov_b32 s9, 0
	s_mul_hi_u32 s16, s1, s14
	s_lshl_b64 s[14:15], s[8:9], 2
	s_add_i32 s1, s1, s16
	s_mul_i32 s16, s13, s2
	s_mul_hi_u32 s1, s8, s1
	v_and_b32_e32 v5, 8, v5
	v_mul_lo_u32 v4, v1, s13
	v_mov_b32_e32 v3, 0
	v_or_b32_e32 v6, 4, v5
	s_waitcnt lgkmcnt(0)
	s_add_u32 s6, s6, s14
	s_addc_u32 s7, s7, s15
	s_mul_i32 s15, s1, s0
	s_load_dword s14, s[6:7], 0x0
	s_load_dwordx4 s[4:7], s[4:5], 0x0
	s_sub_i32 s17, s8, s15
	s_add_i32 s18, s1, 1
	s_sub_i32 s19, s17, s0
	s_cmp_ge_u32 s17, s0
	s_mov_b32 s15, s9
	s_cselect_b32 s1, s18, s1
	s_cselect_b32 s17, s19, s17
	s_add_i32 s18, s1, 1
	s_cmp_ge_u32 s17, s0
	s_cselect_b32 s0, s18, s1
	s_waitcnt lgkmcnt(0)
	s_mul_i32 s1, s16, s14
	s_mul_i32 s14, s0, s3
	;; [unrolled: 1-line block ×3, first 2 shown]
	s_mul_hi_i32 s1, s1, 24
	s_add_u32 s0, s4, s0
	s_addc_u32 s1, s5, s1
	s_lshl_b64 s[4:5], s[14:15], 2
	s_add_u32 s4, s6, s4
	s_addc_u32 s5, s7, s5
.LBB278_3:                              ; =>This Inner Loop Header: Depth=1
	v_add_nc_u32_e32 v7, v4, v2
	v_mad_i64_i32 v[11:12], null, v2, 36, s[4:5]
	v_add_nc_u32_e32 v2, 16, v2
	v_mad_i64_i32 v[7:8], null, v7, 24, s[0:1]
	v_add_co_u32 v9, vcc_lo, v7, v5
	v_add_co_ci_u32_e64 v10, null, 0, v8, vcc_lo
	v_add_co_u32 v13, vcc_lo, v11, v5
	s_clause 0x1
	global_load_dwordx2 v[7:8], v[7:8], off
	global_load_dwordx2 v[9:10], v[9:10], off offset:8
	v_add_co_ci_u32_e64 v14, null, 0, v12, vcc_lo
	s_clause 0x2
	global_load_dwordx2 v[15:16], v[13:14], off offset:4
	global_load_dwordx2 v[13:14], v[13:14], off offset:20
	global_load_dword v11, v[11:12], off
	v_mov_b32_e32 v12, 0
	v_cmp_le_u32_e32 vcc_lo, s13, v2
	s_or_b32 s9, vcc_lo, s9
	s_waitcnt vmcnt(4)
	v_ashrrev_i32_e32 v17, v5, v8
	v_ashrrev_i32_e32 v8, v6, v8
	s_waitcnt vmcnt(3)
	v_and_b32_e32 v18, 0xf0f0f0f, v9
	v_lshrrev_b32_e32 v9, 4, v9
	v_and_b32_e32 v26, 0xf0f0f0f, v10
	v_lshlrev_b32_e32 v19, 4, v17
	v_lshlrev_b32_e32 v20, 11, v17
	;; [unrolled: 1-line block ×4, first 2 shown]
	v_lshrrev_b32_e32 v23, 12, v17
	v_lshrrev_b32_e32 v24, 5, v17
	v_lshlrev_b32_e32 v25, 2, v17
	v_and_b32_e32 v19, 16, v19
	v_and_b32_e32 v20, 0x1000, v20
	v_lshlrev_b32_e32 v17, 9, v17
	v_lshlrev_b32_e32 v27, 4, v8
	;; [unrolled: 1-line block ×4, first 2 shown]
	v_and_b32_e32 v21, 0x100000, v21
	v_and_b32_e32 v22, 0x10000000, v22
	;; [unrolled: 1-line block ×5, first 2 shown]
	v_or3_b32 v18, v19, v18, v20
	v_lshlrev_b32_e32 v30, 25, v8
	v_lshrrev_b32_e32 v31, 12, v8
	v_lshrrev_b32_e32 v32, 5, v8
	v_lshlrev_b32_e32 v33, 2, v8
	v_and_b32_e32 v9, 0xf0f0f0f, v9
	v_and_b32_e32 v17, 0x10000000, v17
	;; [unrolled: 1-line block ×5, first 2 shown]
	v_or3_b32 v23, v24, v23, v25
	v_or3_b32 v18, v18, v21, v22
	v_lshrrev_b32_e32 v10, 4, v10
	v_lshlrev_b32_e32 v8, 9, v8
	v_and_b32_e32 v20, 0x10000000, v30
	v_and_b32_e32 v29, 16, v31
	;; [unrolled: 1-line block ×4, first 2 shown]
	v_or3_b32 v19, v28, v27, v19
	v_or3_b32 v9, v23, v17, v9
	s_waitcnt vmcnt(2)
	v_dot4c_i32_i8 v12, v18, v15
	v_and_b32_e32 v10, 0xf0f0f0f, v10
	v_and_b32_e32 v8, 0x10000000, v8
	v_or3_b32 v15, v21, v29, v22
	v_or3_b32 v17, v19, v20, v26
	s_waitcnt vmcnt(1)
	v_dot4c_i32_i8 v12, v9, v13
	s_waitcnt vmcnt(0)
	v_pk_mul_f16 v7, v7, v11
	v_or3_b32 v8, v15, v8, v10
	v_dot4c_i32_i8 v12, v17, v16
	v_cvt_f32_f16_sdwa v9, v7 dst_sel:DWORD dst_unused:UNUSED_PAD src0_sel:WORD_1
	v_dot4c_i32_i8 v12, v8, v14
	v_mul_f32_e32 v8, 0.5, v9
	v_cvt_f32_i32_e32 v9, v12
	v_fma_mix_f32 v7, v9, v7, v8 op_sel_hi:[0,1,0]
	v_add_f32_e32 v3, v3, v7
	s_andn2_b32 exec_lo, exec_lo, s9
	s_cbranch_execnz .LBB278_3
; %bb.4:
	s_or_b32 exec_lo, exec_lo, s9
.LBB278_5:
	s_or_b32 exec_lo, exec_lo, s12
	v_mbcnt_lo_u32_b32 v2, -1, 0
	v_xor_b32_e32 v4, 16, v2
	v_xor_b32_e32 v5, 8, v2
	v_cmp_gt_i32_e32 vcc_lo, 32, v4
	v_cndmask_b32_e32 v4, v2, v4, vcc_lo
	v_cmp_gt_i32_e32 vcc_lo, 32, v5
	v_lshlrev_b32_e32 v4, 2, v4
	v_cndmask_b32_e32 v5, v2, v5, vcc_lo
	ds_bpermute_b32 v4, v4, v3
	v_lshlrev_b32_e32 v5, 2, v5
	s_waitcnt lgkmcnt(0)
	v_add_f32_e32 v3, v3, v4
	ds_bpermute_b32 v4, v5, v3
	v_xor_b32_e32 v5, 4, v2
	v_cmp_gt_i32_e32 vcc_lo, 32, v5
	v_cndmask_b32_e32 v5, v2, v5, vcc_lo
	v_lshlrev_b32_e32 v5, 2, v5
	s_waitcnt lgkmcnt(0)
	v_add_f32_e32 v3, v3, v4
	ds_bpermute_b32 v4, v5, v3
	v_xor_b32_e32 v5, 2, v2
	v_cmp_gt_i32_e32 vcc_lo, 32, v5
	v_cndmask_b32_e32 v5, v2, v5, vcc_lo
	;; [unrolled: 7-line block ×3, first 2 shown]
	v_cmp_eq_u32_e32 vcc_lo, 0, v0
	s_waitcnt lgkmcnt(0)
	v_add_f32_e32 v2, v3, v4
	v_lshlrev_b32_e32 v3, 2, v5
	ds_bpermute_b32 v3, v3, v2
	s_and_b32 exec_lo, exec_lo, vcc_lo
	s_cbranch_execz .LBB278_7
; %bb.6:
	s_waitcnt lgkmcnt(0)
	v_add_f32_e32 v2, v2, v3
	v_mov_b32_e32 v4, 0x7fc0
	v_mad_u64_u32 v[0:1], null, s2, s8, v[1:2]
	v_mov_b32_e32 v1, 0
	v_bfe_u32 v3, v2, 16, 1
	v_cmp_o_f32_e32 vcc_lo, v2, v2
	v_add3_u32 v2, v2, v3, 0x7fff
	v_lshlrev_b64 v[0:1], 1, v[0:1]
	v_cndmask_b32_sdwa v2, v4, v2, vcc_lo dst_sel:DWORD dst_unused:UNUSED_PAD src0_sel:DWORD src1_sel:WORD_1
	v_add_co_u32 v0, vcc_lo, s10, v0
	v_add_co_ci_u32_e64 v1, null, s11, v1, vcc_lo
	global_store_short v[0:1], v2, off
.LBB278_7:
	s_endpgm
	.section	.rodata,"a",@progbits
	.p2align	6, 0x0
	.amdhsa_kernel _ZL9moe_vec_qIN3c108BFloat16ELi32ELi4E10block_q5_1Li2EXadL_ZL17vec_dot_q5_1_q8_1PKvPK10block_q8_1RKiEEEvS4_S4_PT_PS8_iiii
		.amdhsa_group_segment_fixed_size 0
		.amdhsa_private_segment_fixed_size 0
		.amdhsa_kernarg_size 304
		.amdhsa_user_sgpr_count 6
		.amdhsa_user_sgpr_private_segment_buffer 1
		.amdhsa_user_sgpr_dispatch_ptr 0
		.amdhsa_user_sgpr_queue_ptr 0
		.amdhsa_user_sgpr_kernarg_segment_ptr 1
		.amdhsa_user_sgpr_dispatch_id 0
		.amdhsa_user_sgpr_flat_scratch_init 0
		.amdhsa_user_sgpr_private_segment_size 0
		.amdhsa_wavefront_size32 1
		.amdhsa_uses_dynamic_stack 0
		.amdhsa_system_sgpr_private_segment_wavefront_offset 0
		.amdhsa_system_sgpr_workgroup_id_x 1
		.amdhsa_system_sgpr_workgroup_id_y 0
		.amdhsa_system_sgpr_workgroup_id_z 1
		.amdhsa_system_sgpr_workgroup_info 0
		.amdhsa_system_vgpr_workitem_id 1
		.amdhsa_next_free_vgpr 34
		.amdhsa_next_free_sgpr 20
		.amdhsa_reserve_vcc 1
		.amdhsa_reserve_flat_scratch 0
		.amdhsa_float_round_mode_32 0
		.amdhsa_float_round_mode_16_64 0
		.amdhsa_float_denorm_mode_32 3
		.amdhsa_float_denorm_mode_16_64 3
		.amdhsa_dx10_clamp 1
		.amdhsa_ieee_mode 1
		.amdhsa_fp16_overflow 0
		.amdhsa_workgroup_processor_mode 1
		.amdhsa_memory_ordered 1
		.amdhsa_forward_progress 1
		.amdhsa_shared_vgpr_count 0
		.amdhsa_exception_fp_ieee_invalid_op 0
		.amdhsa_exception_fp_denorm_src 0
		.amdhsa_exception_fp_ieee_div_zero 0
		.amdhsa_exception_fp_ieee_overflow 0
		.amdhsa_exception_fp_ieee_underflow 0
		.amdhsa_exception_fp_ieee_inexact 0
		.amdhsa_exception_int_div_zero 0
	.end_amdhsa_kernel
	.section	.text._ZL9moe_vec_qIN3c108BFloat16ELi32ELi4E10block_q5_1Li2EXadL_ZL17vec_dot_q5_1_q8_1PKvPK10block_q8_1RKiEEEvS4_S4_PT_PS8_iiii,"axG",@progbits,_ZL9moe_vec_qIN3c108BFloat16ELi32ELi4E10block_q5_1Li2EXadL_ZL17vec_dot_q5_1_q8_1PKvPK10block_q8_1RKiEEEvS4_S4_PT_PS8_iiii,comdat
.Lfunc_end278:
	.size	_ZL9moe_vec_qIN3c108BFloat16ELi32ELi4E10block_q5_1Li2EXadL_ZL17vec_dot_q5_1_q8_1PKvPK10block_q8_1RKiEEEvS4_S4_PT_PS8_iiii, .Lfunc_end278-_ZL9moe_vec_qIN3c108BFloat16ELi32ELi4E10block_q5_1Li2EXadL_ZL17vec_dot_q5_1_q8_1PKvPK10block_q8_1RKiEEEvS4_S4_PT_PS8_iiii
                                        ; -- End function
	.set _ZL9moe_vec_qIN3c108BFloat16ELi32ELi4E10block_q5_1Li2EXadL_ZL17vec_dot_q5_1_q8_1PKvPK10block_q8_1RKiEEEvS4_S4_PT_PS8_iiii.num_vgpr, 34
	.set _ZL9moe_vec_qIN3c108BFloat16ELi32ELi4E10block_q5_1Li2EXadL_ZL17vec_dot_q5_1_q8_1PKvPK10block_q8_1RKiEEEvS4_S4_PT_PS8_iiii.num_agpr, 0
	.set _ZL9moe_vec_qIN3c108BFloat16ELi32ELi4E10block_q5_1Li2EXadL_ZL17vec_dot_q5_1_q8_1PKvPK10block_q8_1RKiEEEvS4_S4_PT_PS8_iiii.numbered_sgpr, 20
	.set _ZL9moe_vec_qIN3c108BFloat16ELi32ELi4E10block_q5_1Li2EXadL_ZL17vec_dot_q5_1_q8_1PKvPK10block_q8_1RKiEEEvS4_S4_PT_PS8_iiii.num_named_barrier, 0
	.set _ZL9moe_vec_qIN3c108BFloat16ELi32ELi4E10block_q5_1Li2EXadL_ZL17vec_dot_q5_1_q8_1PKvPK10block_q8_1RKiEEEvS4_S4_PT_PS8_iiii.private_seg_size, 0
	.set _ZL9moe_vec_qIN3c108BFloat16ELi32ELi4E10block_q5_1Li2EXadL_ZL17vec_dot_q5_1_q8_1PKvPK10block_q8_1RKiEEEvS4_S4_PT_PS8_iiii.uses_vcc, 1
	.set _ZL9moe_vec_qIN3c108BFloat16ELi32ELi4E10block_q5_1Li2EXadL_ZL17vec_dot_q5_1_q8_1PKvPK10block_q8_1RKiEEEvS4_S4_PT_PS8_iiii.uses_flat_scratch, 0
	.set _ZL9moe_vec_qIN3c108BFloat16ELi32ELi4E10block_q5_1Li2EXadL_ZL17vec_dot_q5_1_q8_1PKvPK10block_q8_1RKiEEEvS4_S4_PT_PS8_iiii.has_dyn_sized_stack, 0
	.set _ZL9moe_vec_qIN3c108BFloat16ELi32ELi4E10block_q5_1Li2EXadL_ZL17vec_dot_q5_1_q8_1PKvPK10block_q8_1RKiEEEvS4_S4_PT_PS8_iiii.has_recursion, 0
	.set _ZL9moe_vec_qIN3c108BFloat16ELi32ELi4E10block_q5_1Li2EXadL_ZL17vec_dot_q5_1_q8_1PKvPK10block_q8_1RKiEEEvS4_S4_PT_PS8_iiii.has_indirect_call, 0
	.section	.AMDGPU.csdata,"",@progbits
; Kernel info:
; codeLenInByte = 1064
; TotalNumSgprs: 22
; NumVgprs: 34
; ScratchSize: 0
; MemoryBound: 0
; FloatMode: 240
; IeeeMode: 1
; LDSByteSize: 0 bytes/workgroup (compile time only)
; SGPRBlocks: 0
; VGPRBlocks: 4
; NumSGPRsForWavesPerEU: 22
; NumVGPRsForWavesPerEU: 34
; Occupancy: 16
; WaveLimiterHint : 1
; COMPUTE_PGM_RSRC2:SCRATCH_EN: 0
; COMPUTE_PGM_RSRC2:USER_SGPR: 6
; COMPUTE_PGM_RSRC2:TRAP_HANDLER: 0
; COMPUTE_PGM_RSRC2:TGID_X_EN: 1
; COMPUTE_PGM_RSRC2:TGID_Y_EN: 0
; COMPUTE_PGM_RSRC2:TGID_Z_EN: 1
; COMPUTE_PGM_RSRC2:TIDIG_COMP_CNT: 1
	.section	.text._ZL9moe_vec_qIN3c108BFloat16ELi32ELi8E10block_q8_0Li2EXadL_ZL17vec_dot_q8_0_q8_1PKvPK10block_q8_1RKiEEEvS4_S4_PT_PS8_iiii,"axG",@progbits,_ZL9moe_vec_qIN3c108BFloat16ELi32ELi8E10block_q8_0Li2EXadL_ZL17vec_dot_q8_0_q8_1PKvPK10block_q8_1RKiEEEvS4_S4_PT_PS8_iiii,comdat
	.globl	_ZL9moe_vec_qIN3c108BFloat16ELi32ELi8E10block_q8_0Li2EXadL_ZL17vec_dot_q8_0_q8_1PKvPK10block_q8_1RKiEEEvS4_S4_PT_PS8_iiii ; -- Begin function _ZL9moe_vec_qIN3c108BFloat16ELi32ELi8E10block_q8_0Li2EXadL_ZL17vec_dot_q8_0_q8_1PKvPK10block_q8_1RKiEEEvS4_S4_PT_PS8_iiii
	.p2align	8
	.type	_ZL9moe_vec_qIN3c108BFloat16ELi32ELi8E10block_q8_0Li2EXadL_ZL17vec_dot_q8_0_q8_1PKvPK10block_q8_1RKiEEEvS4_S4_PT_PS8_iiii,@function
_ZL9moe_vec_qIN3c108BFloat16ELi32ELi8E10block_q8_0Li2EXadL_ZL17vec_dot_q8_0_q8_1PKvPK10block_q8_1RKiEEEvS4_S4_PT_PS8_iiii: ; @_ZL9moe_vec_qIN3c108BFloat16ELi32ELi8E10block_q8_0Li2EXadL_ZL17vec_dot_q8_0_q8_1PKvPK10block_q8_1RKiEEEvS4_S4_PT_PS8_iiii
; %bb.0:
	s_mov_b32 s8, s7
	s_clause 0x1
	s_load_dword s7, s[4:5], 0x3c
	s_load_dwordx4 s[0:3], s[4:5], 0x20
	s_waitcnt lgkmcnt(0)
	s_lshr_b32 s7, s7, 16
	v_mad_u64_u32 v[1:2], null, s6, s7, v[1:2]
	s_mov_b32 s6, exec_lo
	v_cmpx_gt_u32_e64 s2, v1
	s_cbranch_execz .LBB279_7
; %bb.1:
	v_cvt_f32_u32_e32 v2, s0
	s_load_dwordx2 s[10:11], s[4:5], 0x10
	s_ashr_i32 s6, s1, 31
	s_mov_b32 s12, exec_lo
	s_lshr_b32 s6, s6, 27
	v_rcp_iflag_f32_e32 v2, v2
	s_add_i32 s1, s1, s6
	s_ashr_i32 s13, s1, 5
	v_mul_f32_e32 v3, 0x4f7ffffe, v2
	v_lshrrev_b32_e32 v2, 2, v0
	v_cvt_u32_f32_e32 v3, v3
	v_readfirstlane_b32 s1, v3
	v_mov_b32_e32 v3, 0
	v_cmpx_gt_u32_e64 s13, v2
	s_cbranch_execz .LBB279_5
; %bb.2:
	s_load_dwordx2 s[6:7], s[4:5], 0x18
	s_sub_i32 s9, 0, s0
	v_lshlrev_b32_e32 v3, 3, v0
	s_mul_i32 s14, s9, s1
	s_mov_b32 s9, 0
	s_mul_hi_u32 s16, s1, s14
	s_lshl_b64 s[14:15], s[8:9], 2
	s_add_i32 s1, s1, s16
	s_mul_i32 s16, s13, s2
	s_mul_hi_u32 s1, s8, s1
	v_mul_lo_u32 v4, v1, s13
	v_and_b32_e32 v5, 24, v3
	v_mov_b32_e32 v3, 0
	s_waitcnt lgkmcnt(0)
	s_add_u32 s6, s6, s14
	s_addc_u32 s7, s7, s15
	s_mul_i32 s15, s1, s0
	s_load_dword s14, s[6:7], 0x0
	s_load_dwordx4 s[4:7], s[4:5], 0x0
	s_sub_i32 s17, s8, s15
	s_add_i32 s18, s1, 1
	s_sub_i32 s19, s17, s0
	s_cmp_ge_u32 s17, s0
	s_mov_b32 s15, s9
	s_cselect_b32 s1, s18, s1
	s_cselect_b32 s17, s19, s17
	s_add_i32 s18, s1, 1
	s_cmp_ge_u32 s17, s0
	s_cselect_b32 s0, s18, s1
	s_waitcnt lgkmcnt(0)
	s_mul_i32 s1, s16, s14
	s_mul_i32 s14, s0, s3
	;; [unrolled: 1-line block ×3, first 2 shown]
	s_mul_hi_i32 s1, s1, 34
	s_add_u32 s0, s4, s0
	s_addc_u32 s1, s5, s1
	s_lshl_b64 s[4:5], s[14:15], 2
	s_add_u32 s4, s6, s4
	s_addc_u32 s5, s7, s5
	s_inst_prefetch 0x1
	.p2align	6
.LBB279_3:                              ; =>This Inner Loop Header: Depth=1
	v_add_nc_u32_e32 v8, v4, v2
	v_mad_i64_i32 v[6:7], null, v2, 36, s[4:5]
	v_add_nc_u32_e32 v2, 8, v2
	v_mad_i64_i32 v[8:9], null, v8, 34, s[0:1]
	v_add_co_u32 v10, vcc_lo, v6, v5
	v_add_co_ci_u32_e64 v11, null, 0, v7, vcc_lo
	v_add_co_u32 v12, vcc_lo, v8, v5
	v_add_co_ci_u32_e64 v13, null, 0, v9, vcc_lo
	v_cmp_le_u32_e32 vcc_lo, s13, v2
	global_load_dwordx2 v[10:11], v[10:11], off offset:4
	global_load_dwordx2 v[12:13], v[12:13], off offset:2
	global_load_dword v6, v[6:7], off
	global_load_ushort v7, v[8:9], off
	v_mov_b32_e32 v8, 0
	s_or_b32 s9, vcc_lo, s9
	s_waitcnt vmcnt(2)
	v_dot4c_i32_i8 v8, v12, v10
	s_waitcnt vmcnt(1)
	v_cvt_f32_f16_e32 v6, v6
	s_waitcnt vmcnt(0)
	v_cvt_f32_f16_e32 v7, v7
	v_dot4c_i32_i8 v8, v13, v11
	v_mul_f32_e32 v6, v7, v6
	v_cvt_f32_i32_e32 v7, v8
	v_fmac_f32_e32 v3, v6, v7
	s_andn2_b32 exec_lo, exec_lo, s9
	s_cbranch_execnz .LBB279_3
; %bb.4:
	s_inst_prefetch 0x2
	s_or_b32 exec_lo, exec_lo, s9
.LBB279_5:
	s_or_b32 exec_lo, exec_lo, s12
	v_mbcnt_lo_u32_b32 v2, -1, 0
	v_xor_b32_e32 v4, 16, v2
	v_xor_b32_e32 v5, 8, v2
	v_cmp_gt_i32_e32 vcc_lo, 32, v4
	v_cndmask_b32_e32 v4, v2, v4, vcc_lo
	v_cmp_gt_i32_e32 vcc_lo, 32, v5
	v_lshlrev_b32_e32 v4, 2, v4
	v_cndmask_b32_e32 v5, v2, v5, vcc_lo
	ds_bpermute_b32 v4, v4, v3
	v_lshlrev_b32_e32 v5, 2, v5
	s_waitcnt lgkmcnt(0)
	v_add_f32_e32 v3, v3, v4
	ds_bpermute_b32 v4, v5, v3
	v_xor_b32_e32 v5, 4, v2
	v_cmp_gt_i32_e32 vcc_lo, 32, v5
	v_cndmask_b32_e32 v5, v2, v5, vcc_lo
	v_lshlrev_b32_e32 v5, 2, v5
	s_waitcnt lgkmcnt(0)
	v_add_f32_e32 v3, v3, v4
	ds_bpermute_b32 v4, v5, v3
	v_xor_b32_e32 v5, 2, v2
	v_cmp_gt_i32_e32 vcc_lo, 32, v5
	v_cndmask_b32_e32 v5, v2, v5, vcc_lo
	;; [unrolled: 7-line block ×3, first 2 shown]
	v_cmp_eq_u32_e32 vcc_lo, 0, v0
	s_waitcnt lgkmcnt(0)
	v_add_f32_e32 v2, v3, v4
	v_lshlrev_b32_e32 v3, 2, v5
	ds_bpermute_b32 v3, v3, v2
	s_and_b32 exec_lo, exec_lo, vcc_lo
	s_cbranch_execz .LBB279_7
; %bb.6:
	s_waitcnt lgkmcnt(0)
	v_add_f32_e32 v2, v2, v3
	v_mov_b32_e32 v4, 0x7fc0
	v_mad_u64_u32 v[0:1], null, s2, s8, v[1:2]
	v_mov_b32_e32 v1, 0
	v_bfe_u32 v3, v2, 16, 1
	v_cmp_o_f32_e32 vcc_lo, v2, v2
	v_add3_u32 v2, v2, v3, 0x7fff
	v_lshlrev_b64 v[0:1], 1, v[0:1]
	v_cndmask_b32_sdwa v2, v4, v2, vcc_lo dst_sel:DWORD dst_unused:UNUSED_PAD src0_sel:DWORD src1_sel:WORD_1
	v_add_co_u32 v0, vcc_lo, s10, v0
	v_add_co_ci_u32_e64 v1, null, s11, v1, vcc_lo
	global_store_short v[0:1], v2, off
.LBB279_7:
	s_endpgm
	.section	.rodata,"a",@progbits
	.p2align	6, 0x0
	.amdhsa_kernel _ZL9moe_vec_qIN3c108BFloat16ELi32ELi8E10block_q8_0Li2EXadL_ZL17vec_dot_q8_0_q8_1PKvPK10block_q8_1RKiEEEvS4_S4_PT_PS8_iiii
		.amdhsa_group_segment_fixed_size 0
		.amdhsa_private_segment_fixed_size 0
		.amdhsa_kernarg_size 304
		.amdhsa_user_sgpr_count 6
		.amdhsa_user_sgpr_private_segment_buffer 1
		.amdhsa_user_sgpr_dispatch_ptr 0
		.amdhsa_user_sgpr_queue_ptr 0
		.amdhsa_user_sgpr_kernarg_segment_ptr 1
		.amdhsa_user_sgpr_dispatch_id 0
		.amdhsa_user_sgpr_flat_scratch_init 0
		.amdhsa_user_sgpr_private_segment_size 0
		.amdhsa_wavefront_size32 1
		.amdhsa_uses_dynamic_stack 0
		.amdhsa_system_sgpr_private_segment_wavefront_offset 0
		.amdhsa_system_sgpr_workgroup_id_x 1
		.amdhsa_system_sgpr_workgroup_id_y 0
		.amdhsa_system_sgpr_workgroup_id_z 1
		.amdhsa_system_sgpr_workgroup_info 0
		.amdhsa_system_vgpr_workitem_id 1
		.amdhsa_next_free_vgpr 14
		.amdhsa_next_free_sgpr 20
		.amdhsa_reserve_vcc 1
		.amdhsa_reserve_flat_scratch 0
		.amdhsa_float_round_mode_32 0
		.amdhsa_float_round_mode_16_64 0
		.amdhsa_float_denorm_mode_32 3
		.amdhsa_float_denorm_mode_16_64 3
		.amdhsa_dx10_clamp 1
		.amdhsa_ieee_mode 1
		.amdhsa_fp16_overflow 0
		.amdhsa_workgroup_processor_mode 1
		.amdhsa_memory_ordered 1
		.amdhsa_forward_progress 1
		.amdhsa_shared_vgpr_count 0
		.amdhsa_exception_fp_ieee_invalid_op 0
		.amdhsa_exception_fp_denorm_src 0
		.amdhsa_exception_fp_ieee_div_zero 0
		.amdhsa_exception_fp_ieee_overflow 0
		.amdhsa_exception_fp_ieee_underflow 0
		.amdhsa_exception_fp_ieee_inexact 0
		.amdhsa_exception_int_div_zero 0
	.end_amdhsa_kernel
	.section	.text._ZL9moe_vec_qIN3c108BFloat16ELi32ELi8E10block_q8_0Li2EXadL_ZL17vec_dot_q8_0_q8_1PKvPK10block_q8_1RKiEEEvS4_S4_PT_PS8_iiii,"axG",@progbits,_ZL9moe_vec_qIN3c108BFloat16ELi32ELi8E10block_q8_0Li2EXadL_ZL17vec_dot_q8_0_q8_1PKvPK10block_q8_1RKiEEEvS4_S4_PT_PS8_iiii,comdat
.Lfunc_end279:
	.size	_ZL9moe_vec_qIN3c108BFloat16ELi32ELi8E10block_q8_0Li2EXadL_ZL17vec_dot_q8_0_q8_1PKvPK10block_q8_1RKiEEEvS4_S4_PT_PS8_iiii, .Lfunc_end279-_ZL9moe_vec_qIN3c108BFloat16ELi32ELi8E10block_q8_0Li2EXadL_ZL17vec_dot_q8_0_q8_1PKvPK10block_q8_1RKiEEEvS4_S4_PT_PS8_iiii
                                        ; -- End function
	.set _ZL9moe_vec_qIN3c108BFloat16ELi32ELi8E10block_q8_0Li2EXadL_ZL17vec_dot_q8_0_q8_1PKvPK10block_q8_1RKiEEEvS4_S4_PT_PS8_iiii.num_vgpr, 14
	.set _ZL9moe_vec_qIN3c108BFloat16ELi32ELi8E10block_q8_0Li2EXadL_ZL17vec_dot_q8_0_q8_1PKvPK10block_q8_1RKiEEEvS4_S4_PT_PS8_iiii.num_agpr, 0
	.set _ZL9moe_vec_qIN3c108BFloat16ELi32ELi8E10block_q8_0Li2EXadL_ZL17vec_dot_q8_0_q8_1PKvPK10block_q8_1RKiEEEvS4_S4_PT_PS8_iiii.numbered_sgpr, 20
	.set _ZL9moe_vec_qIN3c108BFloat16ELi32ELi8E10block_q8_0Li2EXadL_ZL17vec_dot_q8_0_q8_1PKvPK10block_q8_1RKiEEEvS4_S4_PT_PS8_iiii.num_named_barrier, 0
	.set _ZL9moe_vec_qIN3c108BFloat16ELi32ELi8E10block_q8_0Li2EXadL_ZL17vec_dot_q8_0_q8_1PKvPK10block_q8_1RKiEEEvS4_S4_PT_PS8_iiii.private_seg_size, 0
	.set _ZL9moe_vec_qIN3c108BFloat16ELi32ELi8E10block_q8_0Li2EXadL_ZL17vec_dot_q8_0_q8_1PKvPK10block_q8_1RKiEEEvS4_S4_PT_PS8_iiii.uses_vcc, 1
	.set _ZL9moe_vec_qIN3c108BFloat16ELi32ELi8E10block_q8_0Li2EXadL_ZL17vec_dot_q8_0_q8_1PKvPK10block_q8_1RKiEEEvS4_S4_PT_PS8_iiii.uses_flat_scratch, 0
	.set _ZL9moe_vec_qIN3c108BFloat16ELi32ELi8E10block_q8_0Li2EXadL_ZL17vec_dot_q8_0_q8_1PKvPK10block_q8_1RKiEEEvS4_S4_PT_PS8_iiii.has_dyn_sized_stack, 0
	.set _ZL9moe_vec_qIN3c108BFloat16ELi32ELi8E10block_q8_0Li2EXadL_ZL17vec_dot_q8_0_q8_1PKvPK10block_q8_1RKiEEEvS4_S4_PT_PS8_iiii.has_recursion, 0
	.set _ZL9moe_vec_qIN3c108BFloat16ELi32ELi8E10block_q8_0Li2EXadL_ZL17vec_dot_q8_0_q8_1PKvPK10block_q8_1RKiEEEvS4_S4_PT_PS8_iiii.has_indirect_call, 0
	.section	.AMDGPU.csdata,"",@progbits
; Kernel info:
; codeLenInByte = 748
; TotalNumSgprs: 22
; NumVgprs: 14
; ScratchSize: 0
; MemoryBound: 0
; FloatMode: 240
; IeeeMode: 1
; LDSByteSize: 0 bytes/workgroup (compile time only)
; SGPRBlocks: 0
; VGPRBlocks: 1
; NumSGPRsForWavesPerEU: 22
; NumVGPRsForWavesPerEU: 14
; Occupancy: 16
; WaveLimiterHint : 1
; COMPUTE_PGM_RSRC2:SCRATCH_EN: 0
; COMPUTE_PGM_RSRC2:USER_SGPR: 6
; COMPUTE_PGM_RSRC2:TRAP_HANDLER: 0
; COMPUTE_PGM_RSRC2:TGID_X_EN: 1
; COMPUTE_PGM_RSRC2:TGID_Y_EN: 0
; COMPUTE_PGM_RSRC2:TGID_Z_EN: 1
; COMPUTE_PGM_RSRC2:TIDIG_COMP_CNT: 1
	.section	.text._ZL9moe_vec_qIN3c108BFloat16ELi256ELi16E10block_q2_KLi1EXadL_ZL17vec_dot_q2_K_q8_1PKvPK10block_q8_1RKiEEEvS4_S4_PT_PS8_iiii,"axG",@progbits,_ZL9moe_vec_qIN3c108BFloat16ELi256ELi16E10block_q2_KLi1EXadL_ZL17vec_dot_q2_K_q8_1PKvPK10block_q8_1RKiEEEvS4_S4_PT_PS8_iiii,comdat
	.globl	_ZL9moe_vec_qIN3c108BFloat16ELi256ELi16E10block_q2_KLi1EXadL_ZL17vec_dot_q2_K_q8_1PKvPK10block_q8_1RKiEEEvS4_S4_PT_PS8_iiii ; -- Begin function _ZL9moe_vec_qIN3c108BFloat16ELi256ELi16E10block_q2_KLi1EXadL_ZL17vec_dot_q2_K_q8_1PKvPK10block_q8_1RKiEEEvS4_S4_PT_PS8_iiii
	.p2align	8
	.type	_ZL9moe_vec_qIN3c108BFloat16ELi256ELi16E10block_q2_KLi1EXadL_ZL17vec_dot_q2_K_q8_1PKvPK10block_q8_1RKiEEEvS4_S4_PT_PS8_iiii,@function
_ZL9moe_vec_qIN3c108BFloat16ELi256ELi16E10block_q2_KLi1EXadL_ZL17vec_dot_q2_K_q8_1PKvPK10block_q8_1RKiEEEvS4_S4_PT_PS8_iiii: ; @_ZL9moe_vec_qIN3c108BFloat16ELi256ELi16E10block_q2_KLi1EXadL_ZL17vec_dot_q2_K_q8_1PKvPK10block_q8_1RKiEEEvS4_S4_PT_PS8_iiii
; %bb.0:
	s_mov_b32 s8, s7
	s_clause 0x1
	s_load_dword s7, s[4:5], 0x3c
	s_load_dwordx4 s[0:3], s[4:5], 0x20
	s_waitcnt lgkmcnt(0)
	s_lshr_b32 s7, s7, 16
	v_mad_u64_u32 v[1:2], null, s6, s7, v[1:2]
	s_mov_b32 s6, exec_lo
	v_cmpx_gt_u32_e64 s2, v1
	s_cbranch_execz .LBB280_7
; %bb.1:
	s_load_dwordx2 s[10:11], s[4:5], 0x10
	s_ashr_i32 s6, s1, 31
	v_lshrrev_b32_e32 v8, 4, v0
	s_lshr_b32 s6, s6, 24
	v_mov_b32_e32 v3, 0
	s_add_i32 s1, s1, s6
	s_ashr_i32 s12, s1, 8
	s_mov_b32 s1, exec_lo
	v_cmpx_gt_u32_e64 s12, v8
	s_cbranch_execz .LBB280_5
; %bb.2:
	s_load_dwordx2 s[6:7], s[4:5], 0x18
	s_mov_b32 s9, 0
	v_cvt_f32_u32_e32 v2, s0
	s_lshl_b64 s[14:15], s[8:9], 2
	v_and_b32_e32 v4, 15, v0
	v_lshrrev_b32_e32 v5, 1, v0
	v_mov_b32_e32 v3, 0
	v_rcp_iflag_f32_e32 v2, v2
	v_mul_lo_u32 v9, v1, s12
	v_lshlrev_b32_e32 v11, 2, v4
	v_and_b32_e32 v5, 4, v5
	v_lshlrev_b32_e32 v12, 3, v8
	v_mul_f32_e32 v2, 0x4f7ffffe, v2
	s_waitcnt lgkmcnt(0)
	s_add_u32 s6, s6, s14
	s_addc_u32 s7, s7, s15
	v_cvt_u32_f32_e32 v2, v2
	s_load_dword s13, s[6:7], 0x0
	s_load_dwordx4 s[4:7], s[4:5], 0x0
	s_mul_i32 s14, s12, s2
	s_waitcnt lgkmcnt(0)
	s_mul_i32 s13, s14, s13
	v_readfirstlane_b32 s14, v2
	s_mul_i32 s15, s13, 0x54
	s_mul_hi_i32 s13, s13, 0x54
	s_add_u32 s4, s4, s15
	s_addc_u32 s5, s5, s13
	s_sub_i32 s13, 0, s0
	v_sub_co_u32 v2, vcc_lo, v4, 8
	s_mul_i32 s13, s13, s14
	s_mul_hi_u32 s13, s14, s13
	v_cndmask_b32_e32 v2, v2, v4, vcc_lo
	s_add_i32 s14, s14, s13
	s_mul_hi_u32 s13, s8, s14
	s_mul_i32 s14, s13, s0
	s_add_i32 s15, s13, 1
	s_sub_i32 s14, s8, s14
	v_sub_nc_u32_e32 v6, v4, v2
	s_sub_i32 s16, s14, s0
	s_cmp_ge_u32 s14, s0
	v_cmp_lt_u32_e32 vcc_lo, 3, v2
	s_cselect_b32 s13, s15, s13
	s_cselect_b32 s14, s16, s14
	s_add_i32 s16, s13, 1
	s_cmp_ge_u32 s14, s0
	s_mov_b32 s15, s9
	s_cselect_b32 s0, s16, s13
	v_add_co_ci_u32_e64 v10, null, 0, v6, vcc_lo
	s_mul_i32 s14, s0, s3
	v_lshlrev_b64 v[6:7], 2, v[2:3]
	s_lshl_b64 s[14:15], s[14:15], 2
	v_ashrrev_i32_e32 v2, 31, v10
	s_add_u32 s6, s6, s14
	s_addc_u32 s7, s7, s15
	v_mad_u64_u32 v[4:5], null, v5, 36, s[6:7]
.LBB280_3:                              ; =>This Inner Loop Header: Depth=1
	v_add_nc_u32_e32 v15, v9, v8
	v_mad_i64_i32 v[13:14], null, v12, 36, v[4:5]
	v_mov_b32_e32 v29, 0
	v_mov_b32_e32 v30, 0
	v_mad_i64_i32 v[15:16], null, 0x54, v15, s[4:5]
	v_mov_b32_e32 v31, 0
	v_mov_b32_e32 v33, 0
	v_add_co_u32 v17, vcc_lo, v13, v6
	v_add_co_ci_u32_e64 v18, null, v14, v7, vcc_lo
	v_add_co_u32 v19, vcc_lo, v15, v11
	v_add_co_ci_u32_e64 v20, null, 0, v16, vcc_lo
	;; [unrolled: 2-line block ×3, first 2 shown]
	s_clause 0x3
	global_load_dword v23, v[13:14], off
	global_load_dword v24, v[17:18], off offset:4
	global_load_dword v25, v[17:18], off offset:40
	global_load_dword v26, v[17:18], off offset:76
	s_clause 0x4
	global_load_dword v19, v[19:20], off offset:16
	global_load_ubyte v20, v[21:22], off
	global_load_ubyte v27, v[21:22], off offset:2
	global_load_ubyte v28, v[21:22], off offset:4
	;; [unrolled: 1-line block ×3, first 2 shown]
	s_clause 0x3
	global_load_dword v17, v[17:18], off offset:112
	global_load_dword v18, v[13:14], off offset:36
	;; [unrolled: 1-line block ×5, first 2 shown]
	v_mov_b32_e32 v15, 0
	v_mov_b32_e32 v16, 0
	;; [unrolled: 1-line block ×4, first 2 shown]
	v_add_nc_u32_e32 v8, 2, v8
	v_add_nc_u32_e32 v12, 16, v12
	v_cmp_le_u32_e32 vcc_lo, s12, v8
	s_or_b32 s9, vcc_lo, s9
	s_waitcnt vmcnt(9)
	v_and_b32_e32 v35, 0x3030303, v19
	s_waitcnt vmcnt(8)
	v_and_b32_e32 v36, 15, v20
	v_lshrrev_b32_e32 v20, 4, v20
	v_lshrrev_b32_e32 v37, 2, v19
	s_waitcnt vmcnt(7)
	v_and_b32_e32 v38, 15, v27
	v_lshrrev_b32_e32 v27, 4, v27
	s_waitcnt vmcnt(5)
	v_and_b32_e32 v41, 15, v21
	v_mul_lo_u32 v20, 0x1010101, v20
	v_lshrrev_b32_e32 v21, 4, v21
	v_lshrrev_b32_e32 v39, 4, v19
	v_and_b32_e32 v40, 15, v28
	v_lshrrev_b32_e32 v28, 4, v28
	v_lshrrev_b32_e32 v19, 6, v19
	v_dot4c_i32_i8 v15, v35, v24
	v_and_b32_e32 v35, 0x3030303, v37
	v_mul_lo_u32 v27, 0x1010101, v27
	v_mul_lo_u32 v21, 0x1010101, v21
	v_dot4c_i32_i8 v16, v20, v24
	v_and_b32_e32 v37, 0x3030303, v39
	v_mul_lo_u32 v28, 0x1010101, v28
	v_and_b32_e32 v19, 0x3030303, v19
	v_mul_lo_u32 v15, v36, v15
	v_dot4c_i32_i8 v29, v35, v25
	v_dot4c_i32_i8 v30, v27, v25
	v_cvt_f32_i32_e32 v16, v16
	v_dot4c_i32_i8 v31, v37, v26
	s_waitcnt vmcnt(4)
	v_dot4c_i32_i8 v33, v19, v17
	v_dot4c_i32_i8 v34, v21, v17
	v_mul_lo_u32 v17, v38, v29
	v_dot4c_i32_i8 v32, v28, v26
	v_cvt_f32_i32_e32 v15, v15
	v_cvt_f32_i32_e32 v20, v30
	v_fma_mix_f32 v16, v23, v16, 0 op_sel_hi:[1,0,0]
	v_mul_lo_u32 v19, v40, v31
	v_cvt_f32_i32_e32 v21, v32
	v_fma_mix_f32 v15, v23, v15, 0 op_sel_hi:[1,0,0]
	v_cvt_f32_i32_e32 v17, v17
	s_waitcnt vmcnt(3)
	v_fma_mix_f32 v16, v18, v20, v16 op_sel_hi:[1,0,0]
	v_mul_lo_u32 v20, v41, v33
	v_cvt_f32_i32_e32 v23, v34
	v_cvt_f32_i32_e32 v19, v19
	v_fma_mix_f32 v15, v18, v17, v15 op_sel_hi:[1,0,0]
	s_waitcnt vmcnt(2)
	v_fma_mix_f32 v16, v22, v21, v16 op_sel_hi:[1,0,0]
	s_waitcnt vmcnt(0)
	v_cvt_f32_f16_sdwa v17, v14 dst_sel:DWORD dst_unused:UNUSED_PAD src0_sel:WORD_1
	v_cvt_f32_i32_e32 v18, v20
	v_fma_mix_f32 v15, v22, v19, v15 op_sel_hi:[1,0,0]
	v_fma_mix_f32 v16, v13, v23, v16 op_sel_hi:[1,0,0]
	;; [unrolled: 1-line block ×3, first 2 shown]
	v_mul_f32_e32 v15, v16, v17
	v_fma_mix_f32 v13, v13, v14, -v15 op_sel_hi:[0,1,0]
	v_add_f32_e32 v3, v3, v13
	s_andn2_b32 exec_lo, exec_lo, s9
	s_cbranch_execnz .LBB280_3
; %bb.4:
	s_or_b32 exec_lo, exec_lo, s9
.LBB280_5:
	s_or_b32 exec_lo, exec_lo, s1
	v_mbcnt_lo_u32_b32 v2, -1, 0
	v_xor_b32_e32 v4, 16, v2
	v_xor_b32_e32 v5, 8, v2
	v_cmp_gt_i32_e32 vcc_lo, 32, v4
	v_cndmask_b32_e32 v4, v2, v4, vcc_lo
	v_cmp_gt_i32_e32 vcc_lo, 32, v5
	v_lshlrev_b32_e32 v4, 2, v4
	v_cndmask_b32_e32 v5, v2, v5, vcc_lo
	ds_bpermute_b32 v4, v4, v3
	v_lshlrev_b32_e32 v5, 2, v5
	s_waitcnt lgkmcnt(0)
	v_add_f32_e32 v3, v3, v4
	ds_bpermute_b32 v4, v5, v3
	v_xor_b32_e32 v5, 4, v2
	v_cmp_gt_i32_e32 vcc_lo, 32, v5
	v_cndmask_b32_e32 v5, v2, v5, vcc_lo
	v_lshlrev_b32_e32 v5, 2, v5
	s_waitcnt lgkmcnt(0)
	v_add_f32_e32 v3, v3, v4
	ds_bpermute_b32 v4, v5, v3
	v_xor_b32_e32 v5, 2, v2
	v_cmp_gt_i32_e32 vcc_lo, 32, v5
	v_cndmask_b32_e32 v5, v2, v5, vcc_lo
	;; [unrolled: 7-line block ×3, first 2 shown]
	v_cmp_eq_u32_e32 vcc_lo, 0, v0
	s_waitcnt lgkmcnt(0)
	v_add_f32_e32 v2, v3, v4
	v_lshlrev_b32_e32 v3, 2, v5
	ds_bpermute_b32 v3, v3, v2
	s_and_b32 exec_lo, exec_lo, vcc_lo
	s_cbranch_execz .LBB280_7
; %bb.6:
	s_waitcnt lgkmcnt(0)
	v_add_f32_e32 v2, v2, v3
	v_mov_b32_e32 v4, 0x7fc0
	v_mad_u64_u32 v[0:1], null, s2, s8, v[1:2]
	v_mov_b32_e32 v1, 0
	v_bfe_u32 v3, v2, 16, 1
	v_cmp_o_f32_e32 vcc_lo, v2, v2
	v_add3_u32 v2, v2, v3, 0x7fff
	v_lshlrev_b64 v[0:1], 1, v[0:1]
	v_cndmask_b32_sdwa v2, v4, v2, vcc_lo dst_sel:DWORD dst_unused:UNUSED_PAD src0_sel:DWORD src1_sel:WORD_1
	v_add_co_u32 v0, vcc_lo, s10, v0
	v_add_co_ci_u32_e64 v1, null, s11, v1, vcc_lo
	global_store_short v[0:1], v2, off
.LBB280_7:
	s_endpgm
	.section	.rodata,"a",@progbits
	.p2align	6, 0x0
	.amdhsa_kernel _ZL9moe_vec_qIN3c108BFloat16ELi256ELi16E10block_q2_KLi1EXadL_ZL17vec_dot_q2_K_q8_1PKvPK10block_q8_1RKiEEEvS4_S4_PT_PS8_iiii
		.amdhsa_group_segment_fixed_size 0
		.amdhsa_private_segment_fixed_size 0
		.amdhsa_kernarg_size 304
		.amdhsa_user_sgpr_count 6
		.amdhsa_user_sgpr_private_segment_buffer 1
		.amdhsa_user_sgpr_dispatch_ptr 0
		.amdhsa_user_sgpr_queue_ptr 0
		.amdhsa_user_sgpr_kernarg_segment_ptr 1
		.amdhsa_user_sgpr_dispatch_id 0
		.amdhsa_user_sgpr_flat_scratch_init 0
		.amdhsa_user_sgpr_private_segment_size 0
		.amdhsa_wavefront_size32 1
		.amdhsa_uses_dynamic_stack 0
		.amdhsa_system_sgpr_private_segment_wavefront_offset 0
		.amdhsa_system_sgpr_workgroup_id_x 1
		.amdhsa_system_sgpr_workgroup_id_y 0
		.amdhsa_system_sgpr_workgroup_id_z 1
		.amdhsa_system_sgpr_workgroup_info 0
		.amdhsa_system_vgpr_workitem_id 1
		.amdhsa_next_free_vgpr 42
		.amdhsa_next_free_sgpr 17
		.amdhsa_reserve_vcc 1
		.amdhsa_reserve_flat_scratch 0
		.amdhsa_float_round_mode_32 0
		.amdhsa_float_round_mode_16_64 0
		.amdhsa_float_denorm_mode_32 3
		.amdhsa_float_denorm_mode_16_64 3
		.amdhsa_dx10_clamp 1
		.amdhsa_ieee_mode 1
		.amdhsa_fp16_overflow 0
		.amdhsa_workgroup_processor_mode 1
		.amdhsa_memory_ordered 1
		.amdhsa_forward_progress 1
		.amdhsa_shared_vgpr_count 0
		.amdhsa_exception_fp_ieee_invalid_op 0
		.amdhsa_exception_fp_denorm_src 0
		.amdhsa_exception_fp_ieee_div_zero 0
		.amdhsa_exception_fp_ieee_overflow 0
		.amdhsa_exception_fp_ieee_underflow 0
		.amdhsa_exception_fp_ieee_inexact 0
		.amdhsa_exception_int_div_zero 0
	.end_amdhsa_kernel
	.section	.text._ZL9moe_vec_qIN3c108BFloat16ELi256ELi16E10block_q2_KLi1EXadL_ZL17vec_dot_q2_K_q8_1PKvPK10block_q8_1RKiEEEvS4_S4_PT_PS8_iiii,"axG",@progbits,_ZL9moe_vec_qIN3c108BFloat16ELi256ELi16E10block_q2_KLi1EXadL_ZL17vec_dot_q2_K_q8_1PKvPK10block_q8_1RKiEEEvS4_S4_PT_PS8_iiii,comdat
.Lfunc_end280:
	.size	_ZL9moe_vec_qIN3c108BFloat16ELi256ELi16E10block_q2_KLi1EXadL_ZL17vec_dot_q2_K_q8_1PKvPK10block_q8_1RKiEEEvS4_S4_PT_PS8_iiii, .Lfunc_end280-_ZL9moe_vec_qIN3c108BFloat16ELi256ELi16E10block_q2_KLi1EXadL_ZL17vec_dot_q2_K_q8_1PKvPK10block_q8_1RKiEEEvS4_S4_PT_PS8_iiii
                                        ; -- End function
	.set _ZL9moe_vec_qIN3c108BFloat16ELi256ELi16E10block_q2_KLi1EXadL_ZL17vec_dot_q2_K_q8_1PKvPK10block_q8_1RKiEEEvS4_S4_PT_PS8_iiii.num_vgpr, 42
	.set _ZL9moe_vec_qIN3c108BFloat16ELi256ELi16E10block_q2_KLi1EXadL_ZL17vec_dot_q2_K_q8_1PKvPK10block_q8_1RKiEEEvS4_S4_PT_PS8_iiii.num_agpr, 0
	.set _ZL9moe_vec_qIN3c108BFloat16ELi256ELi16E10block_q2_KLi1EXadL_ZL17vec_dot_q2_K_q8_1PKvPK10block_q8_1RKiEEEvS4_S4_PT_PS8_iiii.numbered_sgpr, 17
	.set _ZL9moe_vec_qIN3c108BFloat16ELi256ELi16E10block_q2_KLi1EXadL_ZL17vec_dot_q2_K_q8_1PKvPK10block_q8_1RKiEEEvS4_S4_PT_PS8_iiii.num_named_barrier, 0
	.set _ZL9moe_vec_qIN3c108BFloat16ELi256ELi16E10block_q2_KLi1EXadL_ZL17vec_dot_q2_K_q8_1PKvPK10block_q8_1RKiEEEvS4_S4_PT_PS8_iiii.private_seg_size, 0
	.set _ZL9moe_vec_qIN3c108BFloat16ELi256ELi16E10block_q2_KLi1EXadL_ZL17vec_dot_q2_K_q8_1PKvPK10block_q8_1RKiEEEvS4_S4_PT_PS8_iiii.uses_vcc, 1
	.set _ZL9moe_vec_qIN3c108BFloat16ELi256ELi16E10block_q2_KLi1EXadL_ZL17vec_dot_q2_K_q8_1PKvPK10block_q8_1RKiEEEvS4_S4_PT_PS8_iiii.uses_flat_scratch, 0
	.set _ZL9moe_vec_qIN3c108BFloat16ELi256ELi16E10block_q2_KLi1EXadL_ZL17vec_dot_q2_K_q8_1PKvPK10block_q8_1RKiEEEvS4_S4_PT_PS8_iiii.has_dyn_sized_stack, 0
	.set _ZL9moe_vec_qIN3c108BFloat16ELi256ELi16E10block_q2_KLi1EXadL_ZL17vec_dot_q2_K_q8_1PKvPK10block_q8_1RKiEEEvS4_S4_PT_PS8_iiii.has_recursion, 0
	.set _ZL9moe_vec_qIN3c108BFloat16ELi256ELi16E10block_q2_KLi1EXadL_ZL17vec_dot_q2_K_q8_1PKvPK10block_q8_1RKiEEEvS4_S4_PT_PS8_iiii.has_indirect_call, 0
	.section	.AMDGPU.csdata,"",@progbits
; Kernel info:
; codeLenInByte = 1236
; TotalNumSgprs: 19
; NumVgprs: 42
; ScratchSize: 0
; MemoryBound: 0
; FloatMode: 240
; IeeeMode: 1
; LDSByteSize: 0 bytes/workgroup (compile time only)
; SGPRBlocks: 0
; VGPRBlocks: 5
; NumSGPRsForWavesPerEU: 19
; NumVGPRsForWavesPerEU: 42
; Occupancy: 16
; WaveLimiterHint : 1
; COMPUTE_PGM_RSRC2:SCRATCH_EN: 0
; COMPUTE_PGM_RSRC2:USER_SGPR: 6
; COMPUTE_PGM_RSRC2:TRAP_HANDLER: 0
; COMPUTE_PGM_RSRC2:TGID_X_EN: 1
; COMPUTE_PGM_RSRC2:TGID_Y_EN: 0
; COMPUTE_PGM_RSRC2:TGID_Z_EN: 1
; COMPUTE_PGM_RSRC2:TIDIG_COMP_CNT: 1
	.section	.text._ZL9moe_vec_qIN3c108BFloat16ELi256ELi16E10block_q3_KLi1EXadL_ZL17vec_dot_q3_K_q8_1PKvPK10block_q8_1RKiEEEvS4_S4_PT_PS8_iiii,"axG",@progbits,_ZL9moe_vec_qIN3c108BFloat16ELi256ELi16E10block_q3_KLi1EXadL_ZL17vec_dot_q3_K_q8_1PKvPK10block_q8_1RKiEEEvS4_S4_PT_PS8_iiii,comdat
	.globl	_ZL9moe_vec_qIN3c108BFloat16ELi256ELi16E10block_q3_KLi1EXadL_ZL17vec_dot_q3_K_q8_1PKvPK10block_q8_1RKiEEEvS4_S4_PT_PS8_iiii ; -- Begin function _ZL9moe_vec_qIN3c108BFloat16ELi256ELi16E10block_q3_KLi1EXadL_ZL17vec_dot_q3_K_q8_1PKvPK10block_q8_1RKiEEEvS4_S4_PT_PS8_iiii
	.p2align	8
	.type	_ZL9moe_vec_qIN3c108BFloat16ELi256ELi16E10block_q3_KLi1EXadL_ZL17vec_dot_q3_K_q8_1PKvPK10block_q8_1RKiEEEvS4_S4_PT_PS8_iiii,@function
_ZL9moe_vec_qIN3c108BFloat16ELi256ELi16E10block_q3_KLi1EXadL_ZL17vec_dot_q3_K_q8_1PKvPK10block_q8_1RKiEEEvS4_S4_PT_PS8_iiii: ; @_ZL9moe_vec_qIN3c108BFloat16ELi256ELi16E10block_q3_KLi1EXadL_ZL17vec_dot_q3_K_q8_1PKvPK10block_q8_1RKiEEEvS4_S4_PT_PS8_iiii
; %bb.0:
	s_mov_b32 s8, s7
	s_clause 0x1
	s_load_dword s7, s[4:5], 0x3c
	s_load_dwordx4 s[0:3], s[4:5], 0x20
	s_waitcnt lgkmcnt(0)
	s_lshr_b32 s7, s7, 16
	v_mad_u64_u32 v[1:2], null, s6, s7, v[1:2]
	s_mov_b32 s6, exec_lo
	v_cmpx_gt_u32_e64 s2, v1
	s_cbranch_execz .LBB281_7
; %bb.1:
	s_load_dwordx2 s[10:11], s[4:5], 0x10
	s_ashr_i32 s6, s1, 31
	v_lshrrev_b32_e32 v10, 4, v0
	s_lshr_b32 s6, s6, 24
	v_mov_b32_e32 v3, 0
	s_add_i32 s1, s1, s6
	s_mov_b32 s12, exec_lo
	s_ashr_i32 s13, s1, 8
	v_cmpx_gt_u32_e64 s13, v10
	s_cbranch_execz .LBB281_5
; %bb.2:
	v_and_b32_e32 v4, 15, v0
	v_cvt_f32_u32_e32 v5, s0
	s_load_dwordx2 s[14:15], s[4:5], 0x18
	v_lshrrev_b32_e32 v7, 1, v0
	v_mov_b32_e32 v3, 0
	v_sub_co_u32 v2, vcc_lo, v4, 8
	v_rcp_iflag_f32_e32 v5, v5
	v_and_b32_e32 v11, 4, v7
	v_lshlrev_b32_e32 v12, 2, v4
	v_cndmask_b32_e32 v2, v2, v4, vcc_lo
	s_mov_b32 s9, 0
	s_load_dwordx4 s[4:7], s[4:5], 0x0
	s_lshl_b64 s[16:17], s[8:9], 2
	v_mov_b32_e32 v32, 1
	v_sub_nc_u32_e32 v6, v4, v2
	v_cmp_lt_u32_e32 vcc_lo, 3, v2
	v_mul_f32_e32 v7, 0x4f7ffffe, v5
	v_lshlrev_b64 v[4:5], 2, v[2:3]
	v_mov_b32_e32 v9, 2
	s_mul_i32 s18, s13, s2
	v_add_co_ci_u32_e64 v8, null, 0, v6, vcc_lo
	v_cvt_u32_f32_e32 v2, v7
	s_waitcnt lgkmcnt(0)
	s_add_u32 s14, s14, s16
	s_addc_u32 s15, s15, s17
	v_bfe_i32 v6, v8, 0, 8
	v_add_nc_u16 v18, v8, 2
	v_add_nc_u16 v25, v8, 4
	s_load_dword s14, s[14:15], 0x0
	v_readfirstlane_b32 s15, v2
	v_lshrrev_b16 v6, 7, v6
	v_bfe_i32 v13, v18, 0, 8
	v_bfe_i32 v15, v25, 0, 8
	s_mov_b32 s1, s9
	v_lshlrev_b32_e32 v34, 3, v10
	v_and_b32_e32 v6, 0xff, v6
	v_lshrrev_b16 v7, 7, v13
	v_lshrrev_b16 v13, 5, v6
	;; [unrolled: 1-line block ×3, first 2 shown]
	v_and_b32_e32 v14, 0xff, v7
	v_add_nc_u16 v2, v8, v13
	v_add_nc_u16 v6, v8, v6
	v_lshrrev_b16 v7, 5, v14
	v_lshrrev_b16 v21, 6, v14
	s_waitcnt lgkmcnt(0)
	s_mul_i32 s14, s18, s14
	v_bfe_i32 v13, v2, 0, 8
	v_bfe_i32 v16, v6, 0, 8
	v_add_nc_u16 v17, v18, v7
	v_and_b32_e32 v2, 0xf8, v2
	v_and_b32_e32 v6, 0xfc, v6
	v_add_nc_u16 v21, v18, v21
	v_ashrrev_i16 v16, 2, v16
	v_bfe_i32 v20, v17, 0, 8
	v_sub_nc_u16 v2, v8, v2
	v_sub_nc_u16 v19, v8, v6
	v_add_nc_u16 v8, v8, 6
	v_lshlrev_b32_sdwa v14, v32, sext(v16) dst_sel:DWORD dst_unused:UNUSED_PAD src0_sel:DWORD src1_sel:WORD_0
	v_lshrrev_b16 v16, 7, v15
	v_lshrrev_b16 v20, 3, v20
	v_bfe_i32 v15, v19, 0, 8
	v_bfe_i32 v19, v21, 0, 8
	v_and_b32_e32 v21, 0xfc, v21
	v_and_b32_e32 v22, 0xff, v16
	v_lshlrev_b32_sdwa v16, v9, v20 dst_sel:DWORD dst_unused:UNUSED_PAD src0_sel:DWORD src1_sel:BYTE_0
	v_bfe_i32 v23, v8, 0, 8
	s_mul_i32 s16, s14, 0x6e
	s_mul_hi_i32 s14, s14, 0x6e
	v_lshrrev_b16 v20, 5, v22
	s_add_u32 s4, s4, s16
	s_addc_u32 s5, s5, s14
	s_sub_i32 s14, 0, s0
	v_lshrrev_b16 v22, 6, v22
	v_add_nc_u16 v24, v25, v20
	v_sub_nc_u16 v20, v18, v21
	v_lshrrev_b16 v21, 7, v23
	s_mul_i32 s14, s14, s15
	v_add_nc_u16 v27, v25, v22
	s_mul_hi_u32 s14, s15, s14
	v_and_b32_e32 v17, 0xf8, v17
	v_and_b32_e32 v26, 0xff, v21
	s_add_i32 s15, s15, s14
	v_bfe_i32 v29, v27, 0, 8
	s_mul_hi_u32 s14, s8, s15
	v_bfe_i32 v23, v24, 0, 8
	v_lshrrev_b16 v28, 5, v26
	v_lshrrev_b16 v26, 6, v26
	s_mul_i32 s15, s14, s0
	s_add_i32 s16, s14, 1
	s_sub_i32 s15, s8, s15
	v_add_nc_u16 v28, v8, v28
	s_sub_i32 s17, s15, s0
	v_add_nc_u16 v26, v8, v26
	s_cmp_ge_u32 s15, s0
	v_and_b32_e32 v24, 0xf8, v24
	s_cselect_b32 s14, s16, s14
	s_cselect_b32 s15, s17, s15
	s_add_i32 s16, s14, 1
	v_and_b32_e32 v27, 0xfc, v27
	v_lshrrev_b16 v29, 2, v29
	v_and_b32_e32 v30, 0xf8, v28
	v_and_b32_e32 v31, 0xfc, v26
	s_cmp_ge_u32 s15, s0
	v_sub_nc_u16 v17, v18, v17
	s_cselect_b32 s0, s16, s14
	v_lshrrev_b16 v23, 3, v23
	s_mul_i32 s0, s0, s3
	v_sub_nc_u16 v24, v25, v24
	v_sub_nc_u16 v27, v25, v27
	v_lshlrev_b32_sdwa v25, v32, v29 dst_sel:DWORD dst_unused:UNUSED_PAD src0_sel:DWORD src1_sel:BYTE_0
	v_bfe_i32 v28, v28, 0, 8
	v_sub_nc_u16 v29, v8, v30
	v_bfe_i32 v30, v26, 0, 8
	v_sub_nc_u16 v8, v8, v31
	v_lshrrev_b16 v7, 3, v13
	s_lshl_b64 s[0:1], s[0:1], 2
	v_bfe_i32 v17, v17, 0, 8
	s_add_u32 s0, s6, s0
	s_addc_u32 s1, s7, s1
	v_ashrrev_i16 v19, 2, v19
	v_bfe_i32 v20, v20, 0, 8
	v_lshlrev_b32_sdwa v22, v9, v23 dst_sel:DWORD dst_unused:UNUSED_PAD src0_sel:DWORD src1_sel:BYTE_0
	v_bfe_i32 v23, v24, 0, 8
	v_bfe_i32 v26, v27, 0, 8
	v_lshrrev_b16 v31, 3, v28
	v_bfe_i32 v27, v29, 0, 8
	v_lshrrev_b16 v33, 2, v30
	v_bfe_i32 v28, v8, 0, 8
	v_lshlrev_b32_sdwa v13, v9, v7 dst_sel:DWORD dst_unused:UNUSED_PAD src0_sel:DWORD src1_sel:BYTE_0
	v_mad_u64_u32 v[6:7], null, v11, 36, s[0:1]
	v_bfe_i32 v2, v2, 0, 8
	v_ashrrev_i32_e32 v18, 31, v17
	v_lshlrev_b32_sdwa v19, v32, sext(v19) dst_sel:DWORD dst_unused:UNUSED_PAD src0_sel:DWORD src1_sel:WORD_0
	v_ashrrev_i32_e32 v21, 31, v20
	v_ashrrev_i32_e32 v24, 31, v23
	;; [unrolled: 1-line block ×3, first 2 shown]
	v_lshlrev_b32_sdwa v30, v9, v31 dst_sel:DWORD dst_unused:UNUSED_PAD src0_sel:DWORD src1_sel:BYTE_0
	v_ashrrev_i32_e32 v31, 31, v27
	v_lshlrev_b32_sdwa v32, v32, v33 dst_sel:DWORD dst_unused:UNUSED_PAD src0_sel:DWORD src1_sel:BYTE_0
	v_ashrrev_i32_e32 v33, 31, v28
.LBB281_3:                              ; =>This Inner Loop Header: Depth=1
	v_mul_lo_u32 v35, v1, s13
	v_ashrrev_i32_e32 v42, 31, v2
	v_ashrrev_i32_e32 v44, 31, v15
	v_mad_i64_i32 v[8:9], null, v34, 36, v[6:7]
	v_add_nc_u32_e32 v34, 16, v34
	v_add_nc_u32_e32 v35, v35, v10
	;; [unrolled: 1-line block ×3, first 2 shown]
	v_mad_i64_i32 v[35:36], null, 0x6e, v35, s[4:5]
	v_add_co_u32 v37, vcc_lo, v35, v4
	v_add_co_ci_u32_e64 v38, null, v36, v5, vcc_lo
	v_add_co_u32 v39, vcc_lo, v35, v12
	v_add_co_ci_u32_e64 v40, null, 0, v36, vcc_lo
	;; [unrolled: 2-line block ×10, first 2 shown]
	s_clause 0x9
	global_load_dword v57, v[37:38], off
	global_load_dword v39, v[39:40], off offset:32
	global_load_ubyte v40, v[43:44], off offset:104
	global_load_ubyte v43, v[49:50], off offset:96
	;; [unrolled: 1-line block ×8, first 2 shown]
	v_add_co_u32 v37, vcc_lo, v8, v4
	v_add_co_ci_u32_e64 v38, null, v9, v5, vcc_lo
	s_clause 0x7
	global_load_dword v47, v[37:38], off offset:4
	global_load_dword v48, v[37:38], off offset:40
	global_load_dword v50, v[37:38], off offset:76
	global_load_dword v37, v[37:38], off offset:112
	global_load_dword v38, v[8:9], off
	global_load_dword v51, v[8:9], off offset:36
	global_load_dword v52, v[8:9], off offset:72
	global_load_dword v8, v[8:9], off offset:108
	global_load_ushort v9, v[35:36], off offset:108
	v_cmp_le_u32_e32 vcc_lo, s13, v10
	s_or_b32 s9, vcc_lo, s9
	s_waitcnt vmcnt(18)
	v_ashrrev_i32_e32 v35, v11, v57
	s_waitcnt vmcnt(17)
	v_lshrrev_b32_e32 v55, 4, v39
	s_waitcnt vmcnt(16)
	v_lshrrev_b32_e32 v40, v14, v40
	s_waitcnt vmcnt(15)
	v_bfe_u32 v43, v43, v22, 4
	s_waitcnt vmcnt(14)
	v_lshrrev_b32_e32 v44, v25, v44
	v_not_b32_e32 v35, v35
	s_waitcnt vmcnt(12)
	v_bfe_u32 v45, v45, v16, 4
	s_waitcnt vmcnt(11)
	v_bfe_u32 v41, v41, v13, 4
	s_waitcnt vmcnt(10)
	v_lshrrev_b32_e32 v42, v19, v42
	s_waitcnt vmcnt(9)
	v_lshrrev_b32_e32 v46, v32, v46
	v_lshlrev_b32_e32 v40, 4, v40
	v_bfe_u32 v49, v49, v30, 4
	v_lshlrev_b32_e32 v44, 4, v44
	v_lshlrev_b32_e32 v42, 4, v42
	;; [unrolled: 1-line block ×3, first 2 shown]
	v_and_b32_e32 v57, 0x3030303, v55
	v_and_or_b32 v40, v40, 48, v41
	v_and_or_b32 v43, v44, 48, v43
	v_and_or_b32 v41, v42, 48, v45
	v_and_b32_e32 v42, 0x4040404, v35
	v_and_or_b32 v44, v46, 48, v49
	v_lshrrev_b16 v46, 8, v57
	v_bfe_u32 v55, v55, 24, 2
	v_lshlrev_b32_e32 v45, 2, v35
	v_lshrrev_b16 v49, 8, v42
	v_and_b32_e32 v36, 0x3030303, v39
	v_bfe_u32 v53, v39, 24, 2
	v_lshrrev_b32_e32 v54, 2, v39
	v_and_b32_e32 v45, 0x4040404, v45
	v_sub_nc_u16 v46, v46, v49
	v_lshrrev_b32_e32 v49, 24, v42
	v_lshrrev_b16 v56, 8, v36
	v_lshrrev_b32_e32 v58, 16, v36
	v_sub_nc_u16 v36, v36, v45
	v_lshlrev_b16 v46, 8, v46
	v_sub_nc_u16 v49, v55, v49
	v_lshrrev_b32_e32 v55, 16, v57
	v_sub_nc_u16 v57, v57, v42
	v_lshrrev_b32_e32 v42, 16, v42
	v_subrev_nc_u32_e32 v40, 32, v40
	v_lshlrev_b16 v49, 8, v49
	v_subrev_nc_u32_e32 v41, 32, v41
	v_or_b32_sdwa v46, v57, v46 dst_sel:DWORD dst_unused:UNUSED_PAD src0_sel:BYTE_0 src1_sel:DWORD
	v_sub_nc_u16 v42, v55, v42
	v_lshrrev_b16 v55, 8, v45
	v_or_b32_sdwa v42, v42, v49 dst_sel:WORD_1 dst_unused:UNUSED_PAD src0_sel:BYTE_0 src1_sel:DWORD
	v_sub_nc_u16 v55, v56, v55
	v_lshrrev_b32_e32 v56, 24, v45
	v_lshrrev_b32_e32 v45, 16, v45
	v_lshlrev_b16 v49, 8, v55
	v_sub_nc_u16 v53, v53, v56
	v_sub_nc_u16 v45, v58, v45
	v_lshlrev_b32_e32 v58, 1, v35
	v_and_b32_e32 v56, 0x3030303, v54
	v_bfe_u32 v54, v54, 24, 2
	v_lshrrev_b32_e32 v35, 1, v35
	v_or_b32_sdwa v36, v36, v49 dst_sel:DWORD dst_unused:UNUSED_PAD src0_sel:BYTE_0 src1_sel:DWORD
	v_and_b32_e32 v58, 0x4040404, v58
	v_lshrrev_b16 v59, 8, v56
	v_lshlrev_b16 v49, 8, v53
	v_and_b32_e32 v35, 0x4040404, v35
	v_mov_b32_e32 v55, 0
	v_lshrrev_b16 v60, 8, v58
	v_or_b32_sdwa v45, v45, v49 dst_sel:WORD_1 dst_unused:UNUSED_PAD src0_sel:BYTE_0 src1_sel:DWORD
	v_lshrrev_b16 v62, 8, v35
	v_mov_b32_e32 v49, 0
	v_sub_nc_u16 v59, v59, v60
	v_lshrrev_b32_e32 v60, 24, v58
	v_or_b32_sdwa v36, v36, v45 dst_sel:DWORD dst_unused:UNUSED_PAD src0_sel:WORD_0 src1_sel:DWORD
	v_mov_b32_e32 v45, 0
	v_lshlrev_b16 v53, 8, v59
	v_sub_nc_u16 v54, v54, v60
	v_lshrrev_b32_e32 v60, 16, v56
	v_sub_nc_u16 v56, v56, v58
	v_lshrrev_b32_e32 v58, 16, v58
	s_waitcnt vmcnt(8)
	v_dot4c_i32_i8 v49, v36, v47
	v_lshlrev_b16 v54, 8, v54
	v_or_b32_sdwa v36, v46, v42 dst_sel:DWORD dst_unused:UNUSED_PAD src0_sel:WORD_0 src1_sel:DWORD
	v_or_b32_sdwa v53, v56, v53 dst_sel:DWORD dst_unused:UNUSED_PAD src0_sel:BYTE_0 src1_sel:DWORD
	v_sub_nc_u16 v58, v60, v58
	v_lshrrev_b32_e32 v60, 6, v39
	v_lshrrev_b32_e32 v39, 30, v39
	v_mov_b32_e32 v56, 0
	v_or_b32_sdwa v54, v58, v54 dst_sel:WORD_1 dst_unused:UNUSED_PAD src0_sel:BYTE_0 src1_sel:DWORD
	v_and_b32_e32 v60, 0x3030303, v60
	s_waitcnt vmcnt(6)
	v_dot4c_i32_i8 v56, v36, v50
	v_or_b32_sdwa v53, v53, v54 dst_sel:DWORD dst_unused:UNUSED_PAD src0_sel:WORD_0 src1_sel:DWORD
	v_lshrrev_b16 v61, 8, v60
	v_dot4c_i32_i8 v55, v53, v48
	v_sub_nc_u16 v61, v61, v62
	v_lshrrev_b32_e32 v62, 24, v35
	v_mul_lo_u32 v36, v41, v55
	v_lshlrev_b16 v57, 8, v61
	v_sub_nc_u16 v39, v39, v62
	v_lshrrev_b32_e32 v62, 16, v60
	v_sub_nc_u16 v60, v60, v35
	v_lshrrev_b32_e32 v35, 16, v35
	v_subrev_nc_u32_e32 v41, 32, v44
	v_lshlrev_b16 v39, 8, v39
	v_or_b32_sdwa v42, v60, v57 dst_sel:DWORD dst_unused:UNUSED_PAD src0_sel:BYTE_0 src1_sel:DWORD
	v_sub_nc_u16 v35, v62, v35
	v_or_b32_sdwa v35, v35, v39 dst_sel:WORD_1 dst_unused:UNUSED_PAD src0_sel:BYTE_0 src1_sel:DWORD
	v_mul_lo_u32 v39, v40, v49
	v_subrev_nc_u32_e32 v40, 32, v43
	v_or_b32_sdwa v35, v42, v35 dst_sel:DWORD dst_unused:UNUSED_PAD src0_sel:WORD_0 src1_sel:DWORD
	v_mul_lo_u32 v40, v40, v56
	v_cvt_f32_i32_e32 v39, v39
	s_waitcnt vmcnt(5)
	v_dot4c_i32_i8 v45, v35, v37
	v_cvt_f32_i32_e32 v35, v36
	s_waitcnt vmcnt(4)
	v_fma_mix_f32 v36, v38, v39, 0 op_sel_hi:[1,0,0]
	v_mul_lo_u32 v37, v41, v45
	v_cvt_f32_i32_e32 v38, v40
	s_waitcnt vmcnt(3)
	v_fma_mix_f32 v35, v51, v35, v36 op_sel_hi:[1,0,0]
	v_cvt_f32_i32_e32 v36, v37
	s_waitcnt vmcnt(2)
	v_fma_mix_f32 v35, v52, v38, v35 op_sel_hi:[1,0,0]
	s_waitcnt vmcnt(1)
	v_fma_mix_f32 v8, v8, v36, v35 op_sel_hi:[1,0,0]
	;; [unrolled: 2-line block ×3, first 2 shown]
	s_andn2_b32 exec_lo, exec_lo, s9
	s_cbranch_execnz .LBB281_3
; %bb.4:
	s_or_b32 exec_lo, exec_lo, s9
.LBB281_5:
	s_or_b32 exec_lo, exec_lo, s12
	v_mbcnt_lo_u32_b32 v2, -1, 0
	v_xor_b32_e32 v4, 16, v2
	v_xor_b32_e32 v5, 8, v2
	v_cmp_gt_i32_e32 vcc_lo, 32, v4
	v_cndmask_b32_e32 v4, v2, v4, vcc_lo
	v_cmp_gt_i32_e32 vcc_lo, 32, v5
	v_lshlrev_b32_e32 v4, 2, v4
	v_cndmask_b32_e32 v5, v2, v5, vcc_lo
	ds_bpermute_b32 v4, v4, v3
	v_lshlrev_b32_e32 v5, 2, v5
	s_waitcnt lgkmcnt(0)
	v_add_f32_e32 v3, v3, v4
	ds_bpermute_b32 v4, v5, v3
	v_xor_b32_e32 v5, 4, v2
	v_cmp_gt_i32_e32 vcc_lo, 32, v5
	v_cndmask_b32_e32 v5, v2, v5, vcc_lo
	v_lshlrev_b32_e32 v5, 2, v5
	s_waitcnt lgkmcnt(0)
	v_add_f32_e32 v3, v3, v4
	ds_bpermute_b32 v4, v5, v3
	v_xor_b32_e32 v5, 2, v2
	v_cmp_gt_i32_e32 vcc_lo, 32, v5
	v_cndmask_b32_e32 v5, v2, v5, vcc_lo
	;; [unrolled: 7-line block ×3, first 2 shown]
	v_cmp_eq_u32_e32 vcc_lo, 0, v0
	s_waitcnt lgkmcnt(0)
	v_add_f32_e32 v2, v3, v4
	v_lshlrev_b32_e32 v3, 2, v5
	ds_bpermute_b32 v3, v3, v2
	s_and_b32 exec_lo, exec_lo, vcc_lo
	s_cbranch_execz .LBB281_7
; %bb.6:
	s_waitcnt lgkmcnt(0)
	v_add_f32_e32 v2, v2, v3
	v_mov_b32_e32 v4, 0x7fc0
	v_mad_u64_u32 v[0:1], null, s2, s8, v[1:2]
	v_mov_b32_e32 v1, 0
	v_bfe_u32 v3, v2, 16, 1
	v_cmp_o_f32_e32 vcc_lo, v2, v2
	v_add3_u32 v2, v2, v3, 0x7fff
	v_lshlrev_b64 v[0:1], 1, v[0:1]
	v_cndmask_b32_sdwa v2, v4, v2, vcc_lo dst_sel:DWORD dst_unused:UNUSED_PAD src0_sel:DWORD src1_sel:WORD_1
	v_add_co_u32 v0, vcc_lo, s10, v0
	v_add_co_ci_u32_e64 v1, null, s11, v1, vcc_lo
	global_store_short v[0:1], v2, off
.LBB281_7:
	s_endpgm
	.section	.rodata,"a",@progbits
	.p2align	6, 0x0
	.amdhsa_kernel _ZL9moe_vec_qIN3c108BFloat16ELi256ELi16E10block_q3_KLi1EXadL_ZL17vec_dot_q3_K_q8_1PKvPK10block_q8_1RKiEEEvS4_S4_PT_PS8_iiii
		.amdhsa_group_segment_fixed_size 0
		.amdhsa_private_segment_fixed_size 0
		.amdhsa_kernarg_size 304
		.amdhsa_user_sgpr_count 6
		.amdhsa_user_sgpr_private_segment_buffer 1
		.amdhsa_user_sgpr_dispatch_ptr 0
		.amdhsa_user_sgpr_queue_ptr 0
		.amdhsa_user_sgpr_kernarg_segment_ptr 1
		.amdhsa_user_sgpr_dispatch_id 0
		.amdhsa_user_sgpr_flat_scratch_init 0
		.amdhsa_user_sgpr_private_segment_size 0
		.amdhsa_wavefront_size32 1
		.amdhsa_uses_dynamic_stack 0
		.amdhsa_system_sgpr_private_segment_wavefront_offset 0
		.amdhsa_system_sgpr_workgroup_id_x 1
		.amdhsa_system_sgpr_workgroup_id_y 0
		.amdhsa_system_sgpr_workgroup_id_z 1
		.amdhsa_system_sgpr_workgroup_info 0
		.amdhsa_system_vgpr_workitem_id 1
		.amdhsa_next_free_vgpr 63
		.amdhsa_next_free_sgpr 19
		.amdhsa_reserve_vcc 1
		.amdhsa_reserve_flat_scratch 0
		.amdhsa_float_round_mode_32 0
		.amdhsa_float_round_mode_16_64 0
		.amdhsa_float_denorm_mode_32 3
		.amdhsa_float_denorm_mode_16_64 3
		.amdhsa_dx10_clamp 1
		.amdhsa_ieee_mode 1
		.amdhsa_fp16_overflow 0
		.amdhsa_workgroup_processor_mode 1
		.amdhsa_memory_ordered 1
		.amdhsa_forward_progress 1
		.amdhsa_shared_vgpr_count 0
		.amdhsa_exception_fp_ieee_invalid_op 0
		.amdhsa_exception_fp_denorm_src 0
		.amdhsa_exception_fp_ieee_div_zero 0
		.amdhsa_exception_fp_ieee_overflow 0
		.amdhsa_exception_fp_ieee_underflow 0
		.amdhsa_exception_fp_ieee_inexact 0
		.amdhsa_exception_int_div_zero 0
	.end_amdhsa_kernel
	.section	.text._ZL9moe_vec_qIN3c108BFloat16ELi256ELi16E10block_q3_KLi1EXadL_ZL17vec_dot_q3_K_q8_1PKvPK10block_q8_1RKiEEEvS4_S4_PT_PS8_iiii,"axG",@progbits,_ZL9moe_vec_qIN3c108BFloat16ELi256ELi16E10block_q3_KLi1EXadL_ZL17vec_dot_q3_K_q8_1PKvPK10block_q8_1RKiEEEvS4_S4_PT_PS8_iiii,comdat
.Lfunc_end281:
	.size	_ZL9moe_vec_qIN3c108BFloat16ELi256ELi16E10block_q3_KLi1EXadL_ZL17vec_dot_q3_K_q8_1PKvPK10block_q8_1RKiEEEvS4_S4_PT_PS8_iiii, .Lfunc_end281-_ZL9moe_vec_qIN3c108BFloat16ELi256ELi16E10block_q3_KLi1EXadL_ZL17vec_dot_q3_K_q8_1PKvPK10block_q8_1RKiEEEvS4_S4_PT_PS8_iiii
                                        ; -- End function
	.set _ZL9moe_vec_qIN3c108BFloat16ELi256ELi16E10block_q3_KLi1EXadL_ZL17vec_dot_q3_K_q8_1PKvPK10block_q8_1RKiEEEvS4_S4_PT_PS8_iiii.num_vgpr, 63
	.set _ZL9moe_vec_qIN3c108BFloat16ELi256ELi16E10block_q3_KLi1EXadL_ZL17vec_dot_q3_K_q8_1PKvPK10block_q8_1RKiEEEvS4_S4_PT_PS8_iiii.num_agpr, 0
	.set _ZL9moe_vec_qIN3c108BFloat16ELi256ELi16E10block_q3_KLi1EXadL_ZL17vec_dot_q3_K_q8_1PKvPK10block_q8_1RKiEEEvS4_S4_PT_PS8_iiii.numbered_sgpr, 19
	.set _ZL9moe_vec_qIN3c108BFloat16ELi256ELi16E10block_q3_KLi1EXadL_ZL17vec_dot_q3_K_q8_1PKvPK10block_q8_1RKiEEEvS4_S4_PT_PS8_iiii.num_named_barrier, 0
	.set _ZL9moe_vec_qIN3c108BFloat16ELi256ELi16E10block_q3_KLi1EXadL_ZL17vec_dot_q3_K_q8_1PKvPK10block_q8_1RKiEEEvS4_S4_PT_PS8_iiii.private_seg_size, 0
	.set _ZL9moe_vec_qIN3c108BFloat16ELi256ELi16E10block_q3_KLi1EXadL_ZL17vec_dot_q3_K_q8_1PKvPK10block_q8_1RKiEEEvS4_S4_PT_PS8_iiii.uses_vcc, 1
	.set _ZL9moe_vec_qIN3c108BFloat16ELi256ELi16E10block_q3_KLi1EXadL_ZL17vec_dot_q3_K_q8_1PKvPK10block_q8_1RKiEEEvS4_S4_PT_PS8_iiii.uses_flat_scratch, 0
	.set _ZL9moe_vec_qIN3c108BFloat16ELi256ELi16E10block_q3_KLi1EXadL_ZL17vec_dot_q3_K_q8_1PKvPK10block_q8_1RKiEEEvS4_S4_PT_PS8_iiii.has_dyn_sized_stack, 0
	.set _ZL9moe_vec_qIN3c108BFloat16ELi256ELi16E10block_q3_KLi1EXadL_ZL17vec_dot_q3_K_q8_1PKvPK10block_q8_1RKiEEEvS4_S4_PT_PS8_iiii.has_recursion, 0
	.set _ZL9moe_vec_qIN3c108BFloat16ELi256ELi16E10block_q3_KLi1EXadL_ZL17vec_dot_q3_K_q8_1PKvPK10block_q8_1RKiEEEvS4_S4_PT_PS8_iiii.has_indirect_call, 0
	.section	.AMDGPU.csdata,"",@progbits
; Kernel info:
; codeLenInByte = 2520
; TotalNumSgprs: 21
; NumVgprs: 63
; ScratchSize: 0
; MemoryBound: 0
; FloatMode: 240
; IeeeMode: 1
; LDSByteSize: 0 bytes/workgroup (compile time only)
; SGPRBlocks: 0
; VGPRBlocks: 7
; NumSGPRsForWavesPerEU: 21
; NumVGPRsForWavesPerEU: 63
; Occupancy: 16
; WaveLimiterHint : 1
; COMPUTE_PGM_RSRC2:SCRATCH_EN: 0
; COMPUTE_PGM_RSRC2:USER_SGPR: 6
; COMPUTE_PGM_RSRC2:TRAP_HANDLER: 0
; COMPUTE_PGM_RSRC2:TGID_X_EN: 1
; COMPUTE_PGM_RSRC2:TGID_Y_EN: 0
; COMPUTE_PGM_RSRC2:TGID_Z_EN: 1
; COMPUTE_PGM_RSRC2:TIDIG_COMP_CNT: 1
	.section	.text._ZL9moe_vec_qIN3c108BFloat16ELi256ELi32E10block_q4_KLi2EXadL_ZL17vec_dot_q4_K_q8_1PKvPK10block_q8_1RKiEEEvS4_S4_PT_PS8_iiii,"axG",@progbits,_ZL9moe_vec_qIN3c108BFloat16ELi256ELi32E10block_q4_KLi2EXadL_ZL17vec_dot_q4_K_q8_1PKvPK10block_q8_1RKiEEEvS4_S4_PT_PS8_iiii,comdat
	.globl	_ZL9moe_vec_qIN3c108BFloat16ELi256ELi32E10block_q4_KLi2EXadL_ZL17vec_dot_q4_K_q8_1PKvPK10block_q8_1RKiEEEvS4_S4_PT_PS8_iiii ; -- Begin function _ZL9moe_vec_qIN3c108BFloat16ELi256ELi32E10block_q4_KLi2EXadL_ZL17vec_dot_q4_K_q8_1PKvPK10block_q8_1RKiEEEvS4_S4_PT_PS8_iiii
	.p2align	8
	.type	_ZL9moe_vec_qIN3c108BFloat16ELi256ELi32E10block_q4_KLi2EXadL_ZL17vec_dot_q4_K_q8_1PKvPK10block_q8_1RKiEEEvS4_S4_PT_PS8_iiii,@function
_ZL9moe_vec_qIN3c108BFloat16ELi256ELi32E10block_q4_KLi2EXadL_ZL17vec_dot_q4_K_q8_1PKvPK10block_q8_1RKiEEEvS4_S4_PT_PS8_iiii: ; @_ZL9moe_vec_qIN3c108BFloat16ELi256ELi32E10block_q4_KLi2EXadL_ZL17vec_dot_q4_K_q8_1PKvPK10block_q8_1RKiEEEvS4_S4_PT_PS8_iiii
; %bb.0:
	s_mov_b32 s8, s7
	s_clause 0x1
	s_load_dword s7, s[4:5], 0x3c
	s_load_dwordx4 s[0:3], s[4:5], 0x20
	s_waitcnt lgkmcnt(0)
	s_lshr_b32 s7, s7, 16
	v_mad_u64_u32 v[1:2], null, s6, s7, v[1:2]
	s_mov_b32 s6, exec_lo
	v_cmpx_gt_u32_e64 s2, v1
	s_cbranch_execz .LBB282_11
; %bb.1:
	s_load_dwordx2 s[10:11], s[4:5], 0x10
	s_ashr_i32 s6, s1, 31
	v_lshrrev_b32_e32 v8, 4, v0
	s_lshr_b32 s6, s6, 24
	v_mov_b32_e32 v9, 0
	s_add_i32 s1, s1, s6
	s_ashr_i32 s12, s1, 8
	s_mov_b32 s1, exec_lo
	v_cmpx_gt_u32_e64 s12, v8
	s_cbranch_execz .LBB282_9
; %bb.2:
	s_load_dwordx2 s[6:7], s[4:5], 0x18
	s_mov_b32 s9, 0
	v_cvt_f32_u32_e32 v2, s0
	s_lshl_b64 s[14:15], s[8:9], 2
	v_and_b32_e32 v4, 3, v0
	v_mul_lo_u32 v10, v1, s12
	v_mov_b32_e32 v9, 0
	v_rcp_iflag_f32_e32 v2, v2
	v_lshlrev_b32_e32 v13, 3, v8
	v_lshlrev_b32_e32 v11, 2, v4
	;; [unrolled: 1-line block ×3, first 2 shown]
	v_mov_b32_e32 v16, 0xffff
	v_mul_f32_e32 v2, 0x4f7ffffe, v2
	s_waitcnt lgkmcnt(0)
	s_add_u32 s6, s6, s14
	s_addc_u32 s7, s7, s15
	v_cvt_u32_f32_e32 v2, v2
	s_load_dword s13, s[6:7], 0x0
	s_load_dwordx4 s[4:7], s[4:5], 0x0
	s_mul_i32 s14, s12, s2
	s_waitcnt lgkmcnt(0)
	s_mul_i32 s13, s14, s13
	v_readfirstlane_b32 s14, v2
	s_mul_i32 s15, s13, 0x90
	s_mul_hi_i32 s13, s13, 0x90
	s_add_u32 s4, s4, s15
	s_addc_u32 s5, s5, s13
	s_sub_i32 s13, 0, s0
	v_lshlrev_b32_e32 v2, 1, v0
	s_mul_i32 s13, s13, s14
	s_mov_b32 s15, s9
	s_mul_hi_u32 s13, s14, s13
	s_add_i32 s14, s14, s13
	v_bfe_u32 v5, v2, 3, 2
	s_mul_hi_u32 s13, s8, s14
	v_and_b32_e32 v3, 30, v2
	s_mul_i32 s14, s13, s0
	s_add_i32 s16, s13, 1
	s_sub_i32 s14, s8, s14
	v_lshlrev_b32_e32 v2, 1, v5
	s_sub_i32 s17, s14, s0
	s_cmp_ge_u32 s14, s0
	v_cmp_lt_u32_e32 vcc_lo, 15, v3
	s_cselect_b32 s13, s16, s13
	s_cselect_b32 s14, s17, s14
	s_add_i32 s16, s13, 1
	s_cmp_ge_u32 s14, s0
	v_lshlrev_b32_e32 v12, 5, v5
	s_cselect_b32 s0, s16, s13
	v_lshlrev_b32_e32 v14, 1, v5
	s_mul_i32 s14, s0, s3
	s_lshl_b64 s[14:15], s[14:15], 2
	s_add_u32 s6, s6, s14
	s_addc_u32 s7, s7, s15
	v_mad_u64_u32 v[2:3], null, v2, 36, s[6:7]
	s_branch .LBB282_4
.LBB282_3:                              ;   in Loop: Header=BB282_4 Depth=1
	s_or_b32 exec_lo, exec_lo, s0
	v_mad_i64_i32 v[6:7], null, v13, 36, v[2:3]
	v_mov_b32_e32 v27, 0
	v_mov_b32_e32 v26, 0
	;; [unrolled: 1-line block ×3, first 2 shown]
	s_waitcnt vmcnt(0)
	v_and_b32_e32 v25, 0xf0f0f0f, v17
	v_and_b32_e32 v28, 0xff, v18
	v_lshrrev_b32_e32 v17, 4, v17
	v_add_co_u32 v20, s0, v6, v15
	v_add_co_ci_u32_e64 v21, null, 0, v7, s0
	v_mov_b32_e32 v29, 0
	v_bfe_u32 v31, v18, 16, 8
	v_add_nc_u32_e32 v8, 2, v8
	s_clause 0x4
	global_load_dword v22, v[20:21], off offset:4
	global_load_dword v23, v[20:21], off offset:40
	;; [unrolled: 1-line block ×4, first 2 shown]
	global_load_dword v21, v[6:7], off
	global_load_dword v4, v[4:5], off
	global_load_dword v5, v[6:7], off offset:36
	v_and_b32_e32 v7, 0xf0f0f0f, v19
	v_lshrrev_b32_e32 v19, 4, v19
	v_and_b32_sdwa v6, v16, v18 dst_sel:DWORD dst_unused:UNUSED_PAD src0_sel:DWORD src1_sel:BYTE_1
	v_lshrrev_b32_e32 v18, 24, v18
	v_cmp_le_u32_e64 s0, s12, v8
	v_add_nc_u32_e32 v13, 16, v13
	v_and_b32_e32 v19, 0xf0f0f0f, v19
	s_or_b32 s9, s0, s9
	s_waitcnt vmcnt(6)
	v_dot4c_i32_i8 v27, 0x1010101, v22
	v_dot4c_i32_i8 v26, v7, v22
	s_waitcnt vmcnt(5)
	v_dot4c_i32_i8 v30, 0x1010101, v23
	v_and_b32_e32 v7, 0xf0f0f0f, v17
	v_dot4c_i32_i8 v29, v19, v23
	s_waitcnt vmcnt(4)
	v_dot4c_i32_i8 v27, 0x1010101, v24
	v_dot4c_i32_i8 v26, v25, v24
	s_waitcnt vmcnt(3)
	v_dot4c_i32_i8 v30, 0x1010101, v20
	s_waitcnt vmcnt(1)
	v_cvt_f32_f16_sdwa v19, v4 dst_sel:DWORD dst_unused:UNUSED_PAD src0_sel:WORD_1
	v_dot4c_i32_i8 v29, v7, v20
	v_mul_lo_u32 v17, v27, v28
	v_mul_lo_u32 v7, v26, v31
	;; [unrolled: 1-line block ×4, first 2 shown]
	v_cvt_f32_i32_e32 v17, v17
	v_cvt_f32_i32_e32 v7, v7
	;; [unrolled: 1-line block ×4, first 2 shown]
	v_fma_mix_f32 v17, v21, v17, 0 op_sel_hi:[1,0,0]
	v_fma_mix_f32 v7, v21, v7, 0 op_sel_hi:[1,0,0]
	s_waitcnt vmcnt(0)
	v_fma_mix_f32 v6, v5, v6, v17 op_sel_hi:[1,0,0]
	v_fma_mix_f32 v5, v5, v18, v7 op_sel_hi:[1,0,0]
	v_mul_f32_e32 v6, v6, v19
	v_fma_mix_f32 v4, v5, v4, -v6 op_sel_hi:[0,1,0]
	v_add_f32_e32 v9, v9, v4
	s_andn2_b32 exec_lo, exec_lo, s9
	s_cbranch_execz .LBB282_8
.LBB282_4:                              ; =>This Inner Loop Header: Depth=1
	v_add_nc_u32_e32 v4, v10, v8
                                        ; implicit-def: $vgpr18
	v_mad_i64_i32 v[4:5], null, 0x90, v4, s[4:5]
	v_add_co_u32 v6, s0, v4, v12
	v_add_co_ci_u32_e64 v7, null, 0, v5, s0
	v_add_co_u32 v6, s0, v6, v11
	v_add_co_ci_u32_e64 v7, null, 0, v7, s0
	s_clause 0x1
	global_load_dword v19, v[6:7], off offset:16
	global_load_dword v17, v[6:7], off offset:32
	v_add_co_u32 v6, s0, v4, v14
	v_add_co_ci_u32_e64 v7, null, 0, v5, s0
	s_and_saveexec_b32 s0, vcc_lo
	s_xor_b32 s0, exec_lo, s0
	s_cbranch_execz .LBB282_6
; %bb.5:                                ;   in Loop: Header=BB282_4 Depth=1
	s_clause 0x1
	global_load_ushort v18, v[6:7], off offset:8
	global_load_ushort v20, v[6:7], off offset:4
	s_waitcnt vmcnt(1)
	v_mov_b32_e32 v21, v18
	global_load_short_d16_hi v21, v[6:7], off
	s_waitcnt vmcnt(1)
	v_perm_b32 v6, v18, v20, 0x5040100
	v_pk_lshrrev_b16 v6, 2, v6
	v_and_b32_e32 v6, 0xf0f3030, v6
	s_waitcnt vmcnt(0)
	v_pk_lshrrev_b16 v7, 0x20004, v21
	v_and_or_b32 v18, 0x30300f0f, v7, v6
                                        ; implicit-def: $vgpr6_vgpr7
.LBB282_6:                              ;   in Loop: Header=BB282_4 Depth=1
	s_andn2_saveexec_b32 s0, s0
	s_cbranch_execz .LBB282_3
; %bb.7:                                ;   in Loop: Header=BB282_4 Depth=1
	s_clause 0x1
	global_load_ushort v18, v[6:7], off offset:8
	global_load_short_d16_hi v18, v[6:7], off offset:4
	s_waitcnt vmcnt(0)
	v_and_b32_e32 v18, 0x3f3f3f3f, v18
	s_branch .LBB282_3
.LBB282_8:
	s_or_b32 exec_lo, exec_lo, s9
.LBB282_9:
	s_or_b32 exec_lo, exec_lo, s1
	v_mbcnt_lo_u32_b32 v2, -1, 0
	v_xor_b32_e32 v3, 16, v2
	v_xor_b32_e32 v4, 8, v2
	;; [unrolled: 1-line block ×3, first 2 shown]
	v_cmp_gt_i32_e32 vcc_lo, 32, v3
	v_cndmask_b32_e32 v3, v2, v3, vcc_lo
	v_cmp_gt_i32_e32 vcc_lo, 32, v4
	v_lshlrev_b32_e32 v3, 2, v3
	v_cndmask_b32_e32 v4, v2, v4, vcc_lo
	v_cmp_gt_i32_e32 vcc_lo, 32, v5
	ds_bpermute_b32 v3, v3, v9
	v_lshlrev_b32_e32 v4, 2, v4
	v_cndmask_b32_e32 v5, v2, v5, vcc_lo
	v_lshlrev_b32_e32 v5, 2, v5
	s_waitcnt lgkmcnt(0)
	v_add_f32_e32 v3, v9, v3
	ds_bpermute_b32 v4, v4, v3
	s_waitcnt lgkmcnt(0)
	v_add_f32_e32 v3, v3, v4
	ds_bpermute_b32 v4, v5, v3
	v_xor_b32_e32 v5, 2, v2
	v_cmp_gt_i32_e32 vcc_lo, 32, v5
	v_cndmask_b32_e32 v5, v2, v5, vcc_lo
	v_lshlrev_b32_e32 v5, 2, v5
	s_waitcnt lgkmcnt(0)
	v_add_f32_e32 v3, v3, v4
	ds_bpermute_b32 v4, v5, v3
	v_xor_b32_e32 v5, 1, v2
	v_cmp_gt_i32_e32 vcc_lo, 32, v5
	v_cndmask_b32_e32 v5, v2, v5, vcc_lo
	v_cmp_eq_u32_e32 vcc_lo, 0, v0
	s_waitcnt lgkmcnt(0)
	v_add_f32_e32 v2, v3, v4
	v_lshlrev_b32_e32 v3, 2, v5
	ds_bpermute_b32 v3, v3, v2
	s_and_b32 exec_lo, exec_lo, vcc_lo
	s_cbranch_execz .LBB282_11
; %bb.10:
	s_waitcnt lgkmcnt(0)
	v_add_f32_e32 v2, v2, v3
	v_mov_b32_e32 v4, 0x7fc0
	v_mad_u64_u32 v[0:1], null, s2, s8, v[1:2]
	v_mov_b32_e32 v1, 0
	v_bfe_u32 v3, v2, 16, 1
	v_cmp_o_f32_e32 vcc_lo, v2, v2
	v_add3_u32 v2, v2, v3, 0x7fff
	v_lshlrev_b64 v[0:1], 1, v[0:1]
	v_cndmask_b32_sdwa v2, v4, v2, vcc_lo dst_sel:DWORD dst_unused:UNUSED_PAD src0_sel:DWORD src1_sel:WORD_1
	v_add_co_u32 v0, vcc_lo, s10, v0
	v_add_co_ci_u32_e64 v1, null, s11, v1, vcc_lo
	global_store_short v[0:1], v2, off
.LBB282_11:
	s_endpgm
	.section	.rodata,"a",@progbits
	.p2align	6, 0x0
	.amdhsa_kernel _ZL9moe_vec_qIN3c108BFloat16ELi256ELi32E10block_q4_KLi2EXadL_ZL17vec_dot_q4_K_q8_1PKvPK10block_q8_1RKiEEEvS4_S4_PT_PS8_iiii
		.amdhsa_group_segment_fixed_size 0
		.amdhsa_private_segment_fixed_size 0
		.amdhsa_kernarg_size 304
		.amdhsa_user_sgpr_count 6
		.amdhsa_user_sgpr_private_segment_buffer 1
		.amdhsa_user_sgpr_dispatch_ptr 0
		.amdhsa_user_sgpr_queue_ptr 0
		.amdhsa_user_sgpr_kernarg_segment_ptr 1
		.amdhsa_user_sgpr_dispatch_id 0
		.amdhsa_user_sgpr_flat_scratch_init 0
		.amdhsa_user_sgpr_private_segment_size 0
		.amdhsa_wavefront_size32 1
		.amdhsa_uses_dynamic_stack 0
		.amdhsa_system_sgpr_private_segment_wavefront_offset 0
		.amdhsa_system_sgpr_workgroup_id_x 1
		.amdhsa_system_sgpr_workgroup_id_y 0
		.amdhsa_system_sgpr_workgroup_id_z 1
		.amdhsa_system_sgpr_workgroup_info 0
		.amdhsa_system_vgpr_workitem_id 1
		.amdhsa_next_free_vgpr 32
		.amdhsa_next_free_sgpr 18
		.amdhsa_reserve_vcc 1
		.amdhsa_reserve_flat_scratch 0
		.amdhsa_float_round_mode_32 0
		.amdhsa_float_round_mode_16_64 0
		.amdhsa_float_denorm_mode_32 3
		.amdhsa_float_denorm_mode_16_64 3
		.amdhsa_dx10_clamp 1
		.amdhsa_ieee_mode 1
		.amdhsa_fp16_overflow 0
		.amdhsa_workgroup_processor_mode 1
		.amdhsa_memory_ordered 1
		.amdhsa_forward_progress 1
		.amdhsa_shared_vgpr_count 0
		.amdhsa_exception_fp_ieee_invalid_op 0
		.amdhsa_exception_fp_denorm_src 0
		.amdhsa_exception_fp_ieee_div_zero 0
		.amdhsa_exception_fp_ieee_overflow 0
		.amdhsa_exception_fp_ieee_underflow 0
		.amdhsa_exception_fp_ieee_inexact 0
		.amdhsa_exception_int_div_zero 0
	.end_amdhsa_kernel
	.section	.text._ZL9moe_vec_qIN3c108BFloat16ELi256ELi32E10block_q4_KLi2EXadL_ZL17vec_dot_q4_K_q8_1PKvPK10block_q8_1RKiEEEvS4_S4_PT_PS8_iiii,"axG",@progbits,_ZL9moe_vec_qIN3c108BFloat16ELi256ELi32E10block_q4_KLi2EXadL_ZL17vec_dot_q4_K_q8_1PKvPK10block_q8_1RKiEEEvS4_S4_PT_PS8_iiii,comdat
.Lfunc_end282:
	.size	_ZL9moe_vec_qIN3c108BFloat16ELi256ELi32E10block_q4_KLi2EXadL_ZL17vec_dot_q4_K_q8_1PKvPK10block_q8_1RKiEEEvS4_S4_PT_PS8_iiii, .Lfunc_end282-_ZL9moe_vec_qIN3c108BFloat16ELi256ELi32E10block_q4_KLi2EXadL_ZL17vec_dot_q4_K_q8_1PKvPK10block_q8_1RKiEEEvS4_S4_PT_PS8_iiii
                                        ; -- End function
	.set _ZL9moe_vec_qIN3c108BFloat16ELi256ELi32E10block_q4_KLi2EXadL_ZL17vec_dot_q4_K_q8_1PKvPK10block_q8_1RKiEEEvS4_S4_PT_PS8_iiii.num_vgpr, 32
	.set _ZL9moe_vec_qIN3c108BFloat16ELi256ELi32E10block_q4_KLi2EXadL_ZL17vec_dot_q4_K_q8_1PKvPK10block_q8_1RKiEEEvS4_S4_PT_PS8_iiii.num_agpr, 0
	.set _ZL9moe_vec_qIN3c108BFloat16ELi256ELi32E10block_q4_KLi2EXadL_ZL17vec_dot_q4_K_q8_1PKvPK10block_q8_1RKiEEEvS4_S4_PT_PS8_iiii.numbered_sgpr, 18
	.set _ZL9moe_vec_qIN3c108BFloat16ELi256ELi32E10block_q4_KLi2EXadL_ZL17vec_dot_q4_K_q8_1PKvPK10block_q8_1RKiEEEvS4_S4_PT_PS8_iiii.num_named_barrier, 0
	.set _ZL9moe_vec_qIN3c108BFloat16ELi256ELi32E10block_q4_KLi2EXadL_ZL17vec_dot_q4_K_q8_1PKvPK10block_q8_1RKiEEEvS4_S4_PT_PS8_iiii.private_seg_size, 0
	.set _ZL9moe_vec_qIN3c108BFloat16ELi256ELi32E10block_q4_KLi2EXadL_ZL17vec_dot_q4_K_q8_1PKvPK10block_q8_1RKiEEEvS4_S4_PT_PS8_iiii.uses_vcc, 1
	.set _ZL9moe_vec_qIN3c108BFloat16ELi256ELi32E10block_q4_KLi2EXadL_ZL17vec_dot_q4_K_q8_1PKvPK10block_q8_1RKiEEEvS4_S4_PT_PS8_iiii.uses_flat_scratch, 0
	.set _ZL9moe_vec_qIN3c108BFloat16ELi256ELi32E10block_q4_KLi2EXadL_ZL17vec_dot_q4_K_q8_1PKvPK10block_q8_1RKiEEEvS4_S4_PT_PS8_iiii.has_dyn_sized_stack, 0
	.set _ZL9moe_vec_qIN3c108BFloat16ELi256ELi32E10block_q4_KLi2EXadL_ZL17vec_dot_q4_K_q8_1PKvPK10block_q8_1RKiEEEvS4_S4_PT_PS8_iiii.has_recursion, 0
	.set _ZL9moe_vec_qIN3c108BFloat16ELi256ELi32E10block_q4_KLi2EXadL_ZL17vec_dot_q4_K_q8_1PKvPK10block_q8_1RKiEEEvS4_S4_PT_PS8_iiii.has_indirect_call, 0
	.section	.AMDGPU.csdata,"",@progbits
; Kernel info:
; codeLenInByte = 1260
; TotalNumSgprs: 20
; NumVgprs: 32
; ScratchSize: 0
; MemoryBound: 0
; FloatMode: 240
; IeeeMode: 1
; LDSByteSize: 0 bytes/workgroup (compile time only)
; SGPRBlocks: 0
; VGPRBlocks: 3
; NumSGPRsForWavesPerEU: 20
; NumVGPRsForWavesPerEU: 32
; Occupancy: 16
; WaveLimiterHint : 1
; COMPUTE_PGM_RSRC2:SCRATCH_EN: 0
; COMPUTE_PGM_RSRC2:USER_SGPR: 6
; COMPUTE_PGM_RSRC2:TRAP_HANDLER: 0
; COMPUTE_PGM_RSRC2:TGID_X_EN: 1
; COMPUTE_PGM_RSRC2:TGID_Y_EN: 0
; COMPUTE_PGM_RSRC2:TGID_Z_EN: 1
; COMPUTE_PGM_RSRC2:TIDIG_COMP_CNT: 1
	.section	.text._ZL9moe_vec_qIN3c108BFloat16ELi256ELi32E10block_q5_KLi2EXadL_ZL17vec_dot_q5_K_q8_1PKvPK10block_q8_1RKiEEEvS4_S4_PT_PS8_iiii,"axG",@progbits,_ZL9moe_vec_qIN3c108BFloat16ELi256ELi32E10block_q5_KLi2EXadL_ZL17vec_dot_q5_K_q8_1PKvPK10block_q8_1RKiEEEvS4_S4_PT_PS8_iiii,comdat
	.globl	_ZL9moe_vec_qIN3c108BFloat16ELi256ELi32E10block_q5_KLi2EXadL_ZL17vec_dot_q5_K_q8_1PKvPK10block_q8_1RKiEEEvS4_S4_PT_PS8_iiii ; -- Begin function _ZL9moe_vec_qIN3c108BFloat16ELi256ELi32E10block_q5_KLi2EXadL_ZL17vec_dot_q5_K_q8_1PKvPK10block_q8_1RKiEEEvS4_S4_PT_PS8_iiii
	.p2align	8
	.type	_ZL9moe_vec_qIN3c108BFloat16ELi256ELi32E10block_q5_KLi2EXadL_ZL17vec_dot_q5_K_q8_1PKvPK10block_q8_1RKiEEEvS4_S4_PT_PS8_iiii,@function
_ZL9moe_vec_qIN3c108BFloat16ELi256ELi32E10block_q5_KLi2EXadL_ZL17vec_dot_q5_K_q8_1PKvPK10block_q8_1RKiEEEvS4_S4_PT_PS8_iiii: ; @_ZL9moe_vec_qIN3c108BFloat16ELi256ELi32E10block_q5_KLi2EXadL_ZL17vec_dot_q5_K_q8_1PKvPK10block_q8_1RKiEEEvS4_S4_PT_PS8_iiii
; %bb.0:
	s_mov_b32 s8, s7
	s_clause 0x1
	s_load_dword s7, s[4:5], 0x3c
	s_load_dwordx4 s[0:3], s[4:5], 0x20
	s_waitcnt lgkmcnt(0)
	s_lshr_b32 s7, s7, 16
	v_mad_u64_u32 v[1:2], null, s6, s7, v[1:2]
	s_mov_b32 s6, exec_lo
	v_cmpx_gt_u32_e64 s2, v1
	s_cbranch_execz .LBB283_11
; %bb.1:
	s_load_dwordx2 s[10:11], s[4:5], 0x10
	s_ashr_i32 s6, s1, 31
	v_lshrrev_b32_e32 v8, 4, v0
	s_lshr_b32 s6, s6, 24
	v_mov_b32_e32 v9, 0
	s_add_i32 s1, s1, s6
	s_ashr_i32 s12, s1, 8
	s_mov_b32 s1, exec_lo
	v_cmpx_gt_u32_e64 s12, v8
	s_cbranch_execz .LBB283_9
; %bb.2:
	s_load_dwordx2 s[6:7], s[4:5], 0x18
	s_mov_b32 s9, 0
	v_cvt_f32_u32_e32 v2, s0
	s_lshl_b64 s[14:15], s[8:9], 2
	v_and_b32_e32 v4, 3, v0
	v_mul_lo_u32 v10, v1, s12
	v_mov_b32_e32 v9, 0
	v_rcp_iflag_f32_e32 v2, v2
	v_lshlrev_b32_e32 v14, 3, v8
	v_lshlrev_b32_e32 v11, 2, v4
	;; [unrolled: 1-line block ×3, first 2 shown]
	v_mov_b32_e32 v17, 0xffff
	v_mul_f32_e32 v2, 0x4f7ffffe, v2
	s_waitcnt lgkmcnt(0)
	s_add_u32 s6, s6, s14
	s_addc_u32 s7, s7, s15
	v_cvt_u32_f32_e32 v2, v2
	s_load_dword s13, s[6:7], 0x0
	s_load_dwordx4 s[4:7], s[4:5], 0x0
	s_mul_i32 s14, s12, s2
	s_waitcnt lgkmcnt(0)
	s_mul_i32 s13, s14, s13
	v_readfirstlane_b32 s14, v2
	s_mul_i32 s15, s13, 0xb0
	s_mul_hi_i32 s13, s13, 0xb0
	s_add_u32 s4, s4, s15
	s_addc_u32 s5, s5, s13
	s_sub_i32 s13, 0, s0
	v_lshlrev_b32_e32 v2, 1, v0
	s_mul_i32 s13, s13, s14
	s_mov_b32 s15, s9
	s_mul_hi_u32 s13, s14, s13
	s_add_i32 s14, s14, s13
	v_bfe_u32 v5, v2, 3, 2
	s_mul_hi_u32 s13, s8, s14
	v_and_b32_e32 v3, 30, v2
	s_mul_i32 s14, s13, s0
	s_add_i32 s16, s13, 1
	s_sub_i32 s14, s8, s14
	v_lshlrev_b32_e32 v13, 1, v5
	s_sub_i32 s17, s14, s0
	s_cmp_ge_u32 s14, s0
	v_cmp_lt_u32_e32 vcc_lo, 15, v3
	s_cselect_b32 s13, s16, s13
	s_cselect_b32 s14, s17, s14
	s_add_i32 s16, s13, 1
	s_cmp_ge_u32 s14, s0
	v_lshlrev_b32_e32 v12, 5, v5
	s_cselect_b32 s0, s16, s13
	v_lshlrev_b32_e32 v15, 1, v5
	s_mul_i32 s14, s0, s3
	s_lshl_b64 s[14:15], s[14:15], 2
	s_add_u32 s6, s6, s14
	s_addc_u32 s7, s7, s15
	v_mad_u64_u32 v[2:3], null, v13, 36, s[6:7]
	s_branch .LBB283_4
.LBB283_3:                              ;   in Loop: Header=BB283_4 Depth=1
	s_or_b32 exec_lo, exec_lo, s0
	v_mad_i64_i32 v[6:7], null, v14, 36, v[2:3]
	s_waitcnt vmcnt(1)
	v_ashrrev_i32_e32 v21, v13, v21
	v_and_b32_e32 v28, 0xf0f0f0f, v19
	v_mov_b32_e32 v30, 0
	v_lshrrev_b32_e32 v19, 4, v19
	v_mov_b32_e32 v29, 0
	v_mov_b32_e32 v33, 0
	v_add_co_u32 v23, s0, v6, v16
	v_add_co_ci_u32_e64 v24, null, 0, v7, s0
	v_lshlrev_b32_e32 v36, 4, v21
	v_and_b32_e32 v19, 0xf0f0f0f, v19
	v_and_b32_e32 v31, 0xff, v18
	s_clause 0x4
	global_load_dword v25, v[23:24], off offset:20
	global_load_dword v26, v[23:24], off offset:56
	;; [unrolled: 1-line block ×4, first 2 shown]
	global_load_dword v24, v[6:7], off
	global_load_dword v4, v[4:5], off
	global_load_dword v5, v[6:7], off offset:36
	s_waitcnt vmcnt(7)
	v_ashrrev_i32_e32 v7, v13, v22
	v_and_b32_e32 v22, 0xf0f0f0f, v20
	v_lshrrev_b32_e32 v20, 4, v20
	v_mov_b32_e32 v32, 0
	v_lshlrev_b32_e32 v21, 3, v21
	v_lshlrev_b32_e32 v35, 4, v7
	;; [unrolled: 1-line block ×3, first 2 shown]
	v_and_b32_e32 v20, 0xf0f0f0f, v20
	v_and_or_b32 v22, 0x10101010, v36, v22
	v_and_b32_sdwa v6, v17, v18 dst_sel:DWORD dst_unused:UNUSED_PAD src0_sel:DWORD src1_sel:BYTE_1
	v_and_or_b32 v28, 0x10101010, v35, v28
	v_and_or_b32 v7, 0x10101010, v7, v19
	v_bfe_u32 v34, v18, 16, 8
	v_and_or_b32 v19, 0x10101010, v21, v20
	v_lshrrev_b32_e32 v18, 24, v18
	v_add_nc_u32_e32 v8, 2, v8
	v_add_nc_u32_e32 v14, 16, v14
	v_cmp_le_u32_e64 s0, s12, v8
	s_or_b32 s9, s0, s9
	s_waitcnt vmcnt(6)
	v_dot4c_i32_i8 v30, 0x1010101, v25
	v_dot4c_i32_i8 v29, v28, v25
	s_waitcnt vmcnt(5)
	v_dot4c_i32_i8 v33, 0x1010101, v26
	v_dot4c_i32_i8 v32, v7, v26
	;; [unrolled: 3-line block ×4, first 2 shown]
	s_waitcnt vmcnt(1)
	v_cvt_f32_f16_sdwa v20, v4 dst_sel:DWORD dst_unused:UNUSED_PAD src0_sel:WORD_1
	v_mul_lo_u32 v7, v30, v31
	v_mul_lo_u32 v19, v29, v34
	;; [unrolled: 1-line block ×4, first 2 shown]
	v_cvt_f32_i32_e32 v7, v7
	v_cvt_f32_i32_e32 v19, v19
	v_cvt_f32_i32_e32 v6, v6
	v_cvt_f32_i32_e32 v18, v18
	v_fma_mix_f32 v7, v24, v7, 0 op_sel_hi:[1,0,0]
	v_fma_mix_f32 v19, v24, v19, 0 op_sel_hi:[1,0,0]
	s_waitcnt vmcnt(0)
	v_fma_mix_f32 v6, v5, v6, v7 op_sel_hi:[1,0,0]
	v_fma_mix_f32 v5, v5, v18, v19 op_sel_hi:[1,0,0]
	v_mul_f32_e32 v6, v6, v20
	v_fma_mix_f32 v4, v5, v4, -v6 op_sel_hi:[0,1,0]
	v_add_f32_e32 v9, v9, v4
	s_andn2_b32 exec_lo, exec_lo, s9
	s_cbranch_execz .LBB283_8
.LBB283_4:                              ; =>This Inner Loop Header: Depth=1
	v_add_nc_u32_e32 v4, v10, v8
                                        ; implicit-def: $vgpr18
	v_mad_i64_i32 v[4:5], null, 0xb0, v4, s[4:5]
	v_add_co_u32 v6, s0, v4, v12
	v_add_co_ci_u32_e64 v7, null, 0, v5, s0
	v_add_co_u32 v6, s0, v6, v11
	v_add_co_ci_u32_e64 v7, null, 0, v7, s0
	;; [unrolled: 2-line block ×3, first 2 shown]
	s_clause 0x3
	global_load_dword v20, v[6:7], off offset:48
	global_load_dword v19, v[6:7], off offset:64
	;; [unrolled: 1-line block ×4, first 2 shown]
	v_add_co_u32 v6, s0, v4, v15
	v_add_co_ci_u32_e64 v7, null, 0, v5, s0
	s_and_saveexec_b32 s0, vcc_lo
	s_xor_b32 s0, exec_lo, s0
	s_cbranch_execz .LBB283_6
; %bb.5:                                ;   in Loop: Header=BB283_4 Depth=1
	s_clause 0x1
	global_load_ushort v18, v[6:7], off offset:8
	global_load_ushort v23, v[6:7], off offset:4
	s_waitcnt vmcnt(1)
	v_mov_b32_e32 v24, v18
	global_load_short_d16_hi v24, v[6:7], off
	s_waitcnt vmcnt(1)
	v_perm_b32 v6, v18, v23, 0x5040100
	v_pk_lshrrev_b16 v6, 2, v6
	v_and_b32_e32 v6, 0xf0f3030, v6
	s_waitcnt vmcnt(0)
	v_pk_lshrrev_b16 v7, 0x20004, v24
	v_and_or_b32 v18, 0x30300f0f, v7, v6
                                        ; implicit-def: $vgpr6_vgpr7
.LBB283_6:                              ;   in Loop: Header=BB283_4 Depth=1
	s_andn2_saveexec_b32 s0, s0
	s_cbranch_execz .LBB283_3
; %bb.7:                                ;   in Loop: Header=BB283_4 Depth=1
	s_clause 0x1
	global_load_ushort v18, v[6:7], off offset:8
	global_load_short_d16_hi v18, v[6:7], off offset:4
	s_waitcnt vmcnt(0)
	v_and_b32_e32 v18, 0x3f3f3f3f, v18
	s_branch .LBB283_3
.LBB283_8:
	s_or_b32 exec_lo, exec_lo, s9
.LBB283_9:
	s_or_b32 exec_lo, exec_lo, s1
	v_mbcnt_lo_u32_b32 v2, -1, 0
	v_xor_b32_e32 v3, 16, v2
	v_xor_b32_e32 v4, 8, v2
	;; [unrolled: 1-line block ×3, first 2 shown]
	v_cmp_gt_i32_e32 vcc_lo, 32, v3
	v_cndmask_b32_e32 v3, v2, v3, vcc_lo
	v_cmp_gt_i32_e32 vcc_lo, 32, v4
	v_lshlrev_b32_e32 v3, 2, v3
	v_cndmask_b32_e32 v4, v2, v4, vcc_lo
	v_cmp_gt_i32_e32 vcc_lo, 32, v5
	ds_bpermute_b32 v3, v3, v9
	v_lshlrev_b32_e32 v4, 2, v4
	v_cndmask_b32_e32 v5, v2, v5, vcc_lo
	v_lshlrev_b32_e32 v5, 2, v5
	s_waitcnt lgkmcnt(0)
	v_add_f32_e32 v3, v9, v3
	ds_bpermute_b32 v4, v4, v3
	s_waitcnt lgkmcnt(0)
	v_add_f32_e32 v3, v3, v4
	ds_bpermute_b32 v4, v5, v3
	v_xor_b32_e32 v5, 2, v2
	v_cmp_gt_i32_e32 vcc_lo, 32, v5
	v_cndmask_b32_e32 v5, v2, v5, vcc_lo
	v_lshlrev_b32_e32 v5, 2, v5
	s_waitcnt lgkmcnt(0)
	v_add_f32_e32 v3, v3, v4
	ds_bpermute_b32 v4, v5, v3
	v_xor_b32_e32 v5, 1, v2
	v_cmp_gt_i32_e32 vcc_lo, 32, v5
	v_cndmask_b32_e32 v5, v2, v5, vcc_lo
	v_cmp_eq_u32_e32 vcc_lo, 0, v0
	s_waitcnt lgkmcnt(0)
	v_add_f32_e32 v2, v3, v4
	v_lshlrev_b32_e32 v3, 2, v5
	ds_bpermute_b32 v3, v3, v2
	s_and_b32 exec_lo, exec_lo, vcc_lo
	s_cbranch_execz .LBB283_11
; %bb.10:
	s_waitcnt lgkmcnt(0)
	v_add_f32_e32 v2, v2, v3
	v_mov_b32_e32 v4, 0x7fc0
	v_mad_u64_u32 v[0:1], null, s2, s8, v[1:2]
	v_mov_b32_e32 v1, 0
	v_bfe_u32 v3, v2, 16, 1
	v_cmp_o_f32_e32 vcc_lo, v2, v2
	v_add3_u32 v2, v2, v3, 0x7fff
	v_lshlrev_b64 v[0:1], 1, v[0:1]
	v_cndmask_b32_sdwa v2, v4, v2, vcc_lo dst_sel:DWORD dst_unused:UNUSED_PAD src0_sel:DWORD src1_sel:WORD_1
	v_add_co_u32 v0, vcc_lo, s10, v0
	v_add_co_ci_u32_e64 v1, null, s11, v1, vcc_lo
	global_store_short v[0:1], v2, off
.LBB283_11:
	s_endpgm
	.section	.rodata,"a",@progbits
	.p2align	6, 0x0
	.amdhsa_kernel _ZL9moe_vec_qIN3c108BFloat16ELi256ELi32E10block_q5_KLi2EXadL_ZL17vec_dot_q5_K_q8_1PKvPK10block_q8_1RKiEEEvS4_S4_PT_PS8_iiii
		.amdhsa_group_segment_fixed_size 0
		.amdhsa_private_segment_fixed_size 0
		.amdhsa_kernarg_size 304
		.amdhsa_user_sgpr_count 6
		.amdhsa_user_sgpr_private_segment_buffer 1
		.amdhsa_user_sgpr_dispatch_ptr 0
		.amdhsa_user_sgpr_queue_ptr 0
		.amdhsa_user_sgpr_kernarg_segment_ptr 1
		.amdhsa_user_sgpr_dispatch_id 0
		.amdhsa_user_sgpr_flat_scratch_init 0
		.amdhsa_user_sgpr_private_segment_size 0
		.amdhsa_wavefront_size32 1
		.amdhsa_uses_dynamic_stack 0
		.amdhsa_system_sgpr_private_segment_wavefront_offset 0
		.amdhsa_system_sgpr_workgroup_id_x 1
		.amdhsa_system_sgpr_workgroup_id_y 0
		.amdhsa_system_sgpr_workgroup_id_z 1
		.amdhsa_system_sgpr_workgroup_info 0
		.amdhsa_system_vgpr_workitem_id 1
		.amdhsa_next_free_vgpr 37
		.amdhsa_next_free_sgpr 18
		.amdhsa_reserve_vcc 1
		.amdhsa_reserve_flat_scratch 0
		.amdhsa_float_round_mode_32 0
		.amdhsa_float_round_mode_16_64 0
		.amdhsa_float_denorm_mode_32 3
		.amdhsa_float_denorm_mode_16_64 3
		.amdhsa_dx10_clamp 1
		.amdhsa_ieee_mode 1
		.amdhsa_fp16_overflow 0
		.amdhsa_workgroup_processor_mode 1
		.amdhsa_memory_ordered 1
		.amdhsa_forward_progress 1
		.amdhsa_shared_vgpr_count 0
		.amdhsa_exception_fp_ieee_invalid_op 0
		.amdhsa_exception_fp_denorm_src 0
		.amdhsa_exception_fp_ieee_div_zero 0
		.amdhsa_exception_fp_ieee_overflow 0
		.amdhsa_exception_fp_ieee_underflow 0
		.amdhsa_exception_fp_ieee_inexact 0
		.amdhsa_exception_int_div_zero 0
	.end_amdhsa_kernel
	.section	.text._ZL9moe_vec_qIN3c108BFloat16ELi256ELi32E10block_q5_KLi2EXadL_ZL17vec_dot_q5_K_q8_1PKvPK10block_q8_1RKiEEEvS4_S4_PT_PS8_iiii,"axG",@progbits,_ZL9moe_vec_qIN3c108BFloat16ELi256ELi32E10block_q5_KLi2EXadL_ZL17vec_dot_q5_K_q8_1PKvPK10block_q8_1RKiEEEvS4_S4_PT_PS8_iiii,comdat
.Lfunc_end283:
	.size	_ZL9moe_vec_qIN3c108BFloat16ELi256ELi32E10block_q5_KLi2EXadL_ZL17vec_dot_q5_K_q8_1PKvPK10block_q8_1RKiEEEvS4_S4_PT_PS8_iiii, .Lfunc_end283-_ZL9moe_vec_qIN3c108BFloat16ELi256ELi32E10block_q5_KLi2EXadL_ZL17vec_dot_q5_K_q8_1PKvPK10block_q8_1RKiEEEvS4_S4_PT_PS8_iiii
                                        ; -- End function
	.set _ZL9moe_vec_qIN3c108BFloat16ELi256ELi32E10block_q5_KLi2EXadL_ZL17vec_dot_q5_K_q8_1PKvPK10block_q8_1RKiEEEvS4_S4_PT_PS8_iiii.num_vgpr, 37
	.set _ZL9moe_vec_qIN3c108BFloat16ELi256ELi32E10block_q5_KLi2EXadL_ZL17vec_dot_q5_K_q8_1PKvPK10block_q8_1RKiEEEvS4_S4_PT_PS8_iiii.num_agpr, 0
	.set _ZL9moe_vec_qIN3c108BFloat16ELi256ELi32E10block_q5_KLi2EXadL_ZL17vec_dot_q5_K_q8_1PKvPK10block_q8_1RKiEEEvS4_S4_PT_PS8_iiii.numbered_sgpr, 18
	.set _ZL9moe_vec_qIN3c108BFloat16ELi256ELi32E10block_q5_KLi2EXadL_ZL17vec_dot_q5_K_q8_1PKvPK10block_q8_1RKiEEEvS4_S4_PT_PS8_iiii.num_named_barrier, 0
	.set _ZL9moe_vec_qIN3c108BFloat16ELi256ELi32E10block_q5_KLi2EXadL_ZL17vec_dot_q5_K_q8_1PKvPK10block_q8_1RKiEEEvS4_S4_PT_PS8_iiii.private_seg_size, 0
	.set _ZL9moe_vec_qIN3c108BFloat16ELi256ELi32E10block_q5_KLi2EXadL_ZL17vec_dot_q5_K_q8_1PKvPK10block_q8_1RKiEEEvS4_S4_PT_PS8_iiii.uses_vcc, 1
	.set _ZL9moe_vec_qIN3c108BFloat16ELi256ELi32E10block_q5_KLi2EXadL_ZL17vec_dot_q5_K_q8_1PKvPK10block_q8_1RKiEEEvS4_S4_PT_PS8_iiii.uses_flat_scratch, 0
	.set _ZL9moe_vec_qIN3c108BFloat16ELi256ELi32E10block_q5_KLi2EXadL_ZL17vec_dot_q5_K_q8_1PKvPK10block_q8_1RKiEEEvS4_S4_PT_PS8_iiii.has_dyn_sized_stack, 0
	.set _ZL9moe_vec_qIN3c108BFloat16ELi256ELi32E10block_q5_KLi2EXadL_ZL17vec_dot_q5_K_q8_1PKvPK10block_q8_1RKiEEEvS4_S4_PT_PS8_iiii.has_recursion, 0
	.set _ZL9moe_vec_qIN3c108BFloat16ELi256ELi32E10block_q5_KLi2EXadL_ZL17vec_dot_q5_K_q8_1PKvPK10block_q8_1RKiEEEvS4_S4_PT_PS8_iiii.has_indirect_call, 0
	.section	.AMDGPU.csdata,"",@progbits
; Kernel info:
; codeLenInByte = 1368
; TotalNumSgprs: 20
; NumVgprs: 37
; ScratchSize: 0
; MemoryBound: 0
; FloatMode: 240
; IeeeMode: 1
; LDSByteSize: 0 bytes/workgroup (compile time only)
; SGPRBlocks: 0
; VGPRBlocks: 4
; NumSGPRsForWavesPerEU: 20
; NumVGPRsForWavesPerEU: 37
; Occupancy: 16
; WaveLimiterHint : 1
; COMPUTE_PGM_RSRC2:SCRATCH_EN: 0
; COMPUTE_PGM_RSRC2:USER_SGPR: 6
; COMPUTE_PGM_RSRC2:TRAP_HANDLER: 0
; COMPUTE_PGM_RSRC2:TGID_X_EN: 1
; COMPUTE_PGM_RSRC2:TGID_Y_EN: 0
; COMPUTE_PGM_RSRC2:TGID_Z_EN: 1
; COMPUTE_PGM_RSRC2:TIDIG_COMP_CNT: 1
	.section	.text._ZL9moe_vec_qIN3c108BFloat16ELi256ELi32E10block_q6_KLi1EXadL_ZL17vec_dot_q6_K_q8_1PKvPK10block_q8_1RKiEEEvS4_S4_PT_PS8_iiii,"axG",@progbits,_ZL9moe_vec_qIN3c108BFloat16ELi256ELi32E10block_q6_KLi1EXadL_ZL17vec_dot_q6_K_q8_1PKvPK10block_q8_1RKiEEEvS4_S4_PT_PS8_iiii,comdat
	.globl	_ZL9moe_vec_qIN3c108BFloat16ELi256ELi32E10block_q6_KLi1EXadL_ZL17vec_dot_q6_K_q8_1PKvPK10block_q8_1RKiEEEvS4_S4_PT_PS8_iiii ; -- Begin function _ZL9moe_vec_qIN3c108BFloat16ELi256ELi32E10block_q6_KLi1EXadL_ZL17vec_dot_q6_K_q8_1PKvPK10block_q8_1RKiEEEvS4_S4_PT_PS8_iiii
	.p2align	8
	.type	_ZL9moe_vec_qIN3c108BFloat16ELi256ELi32E10block_q6_KLi1EXadL_ZL17vec_dot_q6_K_q8_1PKvPK10block_q8_1RKiEEEvS4_S4_PT_PS8_iiii,@function
_ZL9moe_vec_qIN3c108BFloat16ELi256ELi32E10block_q6_KLi1EXadL_ZL17vec_dot_q6_K_q8_1PKvPK10block_q8_1RKiEEEvS4_S4_PT_PS8_iiii: ; @_ZL9moe_vec_qIN3c108BFloat16ELi256ELi32E10block_q6_KLi1EXadL_ZL17vec_dot_q6_K_q8_1PKvPK10block_q8_1RKiEEEvS4_S4_PT_PS8_iiii
; %bb.0:
	s_mov_b32 s8, s7
	s_clause 0x1
	s_load_dword s7, s[4:5], 0x3c
	s_load_dwordx4 s[0:3], s[4:5], 0x20
	s_waitcnt lgkmcnt(0)
	s_lshr_b32 s7, s7, 16
	v_mad_u64_u32 v[1:2], null, s6, s7, v[1:2]
	s_mov_b32 s6, exec_lo
	v_cmpx_gt_u32_e64 s2, v1
	s_cbranch_execz .LBB284_7
; %bb.1:
	s_load_dwordx2 s[10:11], s[4:5], 0x10
	s_ashr_i32 s6, s1, 31
	v_lshrrev_b32_e32 v4, 5, v0
	s_lshr_b32 s6, s6, 24
	v_mov_b32_e32 v6, 0
	s_add_i32 s1, s1, s6
	s_ashr_i32 s12, s1, 8
	s_mov_b32 s1, exec_lo
	v_cmpx_gt_u32_e64 s12, v4
	s_cbranch_execz .LBB284_5
; %bb.2:
	s_load_dwordx2 s[6:7], s[4:5], 0x18
	s_mov_b32 s9, 0
	v_cvt_f32_u32_e32 v2, s0
	s_lshl_b64 s[14:15], s[8:9], 2
	v_and_b32_e32 v9, 7, v0
	v_mul_lo_u32 v5, v1, s12
	v_mov_b32_e32 v6, 0
	v_rcp_iflag_f32_e32 v2, v2
	v_mul_f32_e32 v2, 0x4f7ffffe, v2
	s_waitcnt lgkmcnt(0)
	s_add_u32 s6, s6, s14
	s_addc_u32 s7, s7, s15
	v_cvt_u32_f32_e32 v2, v2
	s_load_dword s13, s[6:7], 0x0
	s_load_dwordx4 s[4:7], s[4:5], 0x0
	s_mul_i32 s14, s12, s2
	s_waitcnt lgkmcnt(0)
	s_mul_i32 s13, s14, s13
	v_readfirstlane_b32 s14, v2
	s_mul_i32 s15, s13, 0xd2
	s_mul_hi_i32 s13, s13, 0xd2
	s_add_u32 s4, s4, s15
	s_addc_u32 s5, s5, s13
	s_sub_i32 s13, 0, s0
	v_and_b32_e32 v2, 31, v0
	s_mul_i32 s13, s13, s14
	s_mov_b32 s15, s9
	s_mul_hi_u32 s13, s14, s13
	s_add_i32 s14, s14, s13
	v_add_nc_u32_e32 v3, 0xf0, v2
	s_mul_hi_u32 s13, s8, s14
	v_cmp_lt_u32_e32 vcc_lo, 15, v2
	s_mul_i32 s14, s13, s0
	s_add_i32 s16, s13, 1
	s_sub_i32 s14, s8, s14
	v_lshlrev_b32_e32 v7, 2, v2
	s_sub_i32 s17, s14, s0
	s_cmp_ge_u32 s14, s0
	v_cndmask_b32_e64 v11, 0, 8, vcc_lo
	s_cselect_b32 s13, s16, s13
	s_cselect_b32 s14, s17, s14
	s_add_i32 s16, s13, 1
	s_cmp_ge_u32 s14, s0
	v_cmp_gt_u32_e64 s0, 16, v2
	v_or_b32_e32 v12, v11, v9
	v_lshlrev_b32_e32 v9, 2, v9
	v_cndmask_b32_e64 v10, v3, v2, s0
	s_cselect_b32 s0, s16, s13
	v_cndmask_b32_e64 v2, 0, 4, vcc_lo
	s_mul_i32 s14, s0, s3
	v_and_b32_e32 v8, 0xf8, v10
	s_lshl_b64 s[14:15], s[14:15], 2
	s_add_u32 s6, s6, s14
	s_addc_u32 s7, s7, s15
	v_cmp_ne_u32_e32 vcc_lo, 0, v8
	v_mad_u64_u32 v[2:3], null, v2, 36, s[6:7]
	v_lshlrev_b32_e32 v8, 2, v12
	v_bfe_u32 v12, v10, 2, 6
	v_cndmask_b32_e64 v13, 0, 1, vcc_lo
	v_cndmask_b32_e64 v10, 0, 2, vcc_lo
	v_add_nc_u32_e32 v11, v12, v11
	v_mad_u64_u32 v[2:3], null, v13, 36, v[2:3]
	v_lshlrev_b32_e32 v12, 3, v4
.LBB284_3:                              ; =>This Inner Loop Header: Depth=1
	v_add_nc_u32_e32 v13, v5, v4
	v_add_nc_u32_e32 v4, 1, v4
	v_mad_i64_i32 v[13:14], null, 0xd2, v13, s[4:5]
	v_add_co_u32 v15, vcc_lo, v13, v8
	v_add_co_ci_u32_e64 v16, null, 0, v14, vcc_lo
	v_add_co_u32 v17, vcc_lo, v13, v7
	v_add_co_ci_u32_e64 v18, null, 0, v14, vcc_lo
	s_clause 0x1
	global_load_dword v21, v[15:16], off offset:128
	global_load_dword v22, v[17:18], off
	v_mad_i64_i32 v[15:16], null, v12, 36, v[2:3]
	v_add_nc_u32_e32 v12, 8, v12
	v_add_co_u32 v17, vcc_lo, v15, v9
	v_add_co_ci_u32_e64 v18, null, 0, v16, vcc_lo
	v_add_co_u32 v19, vcc_lo, v13, v11
	v_add_co_ci_u32_e64 v20, null, 0, v14, vcc_lo
	s_clause 0x1
	global_load_dword v23, v[17:18], off offset:4
	global_load_dword v17, v[17:18], off offset:76
	s_clause 0x1
	global_load_sbyte v18, v[19:20], off offset:192
	global_load_sbyte v19, v[19:20], off offset:196
	s_clause 0x1
	global_load_dword v20, v[15:16], off
	global_load_dword v15, v[15:16], off offset:72
	global_load_ushort v13, v[13:14], off offset:208
	v_cmp_le_u32_e32 vcc_lo, s12, v4
	s_or_b32 s9, vcc_lo, s9
	s_waitcnt vmcnt(8)
	v_ashrrev_i32_e32 v14, v10, v21
	s_waitcnt vmcnt(7)
	v_and_b32_e32 v16, 0xf0f0f0f, v22
	v_lshrrev_b32_e32 v21, 4, v22
	v_lshlrev_b32_e32 v22, 4, v14
	v_and_b32_e32 v21, 0xf0f0f0f, v21
	v_and_or_b32 v16, 0x30303030, v22, v16
	v_and_or_b32 v14, 0x30303030, v14, v21
	v_lshrrev_b32_e32 v21, 16, v16
	v_and_b32_e32 v25, 0x3f00, v16
	v_lshrrev_b32_e32 v22, 16, v14
	v_lshlrev_b16 v16, 8, v16
	v_lshlrev_b16 v27, 8, v14
	v_lshlrev_b16 v24, 8, v21
	v_and_b32_e32 v21, 0x3f00, v21
	v_lshlrev_b16 v26, 8, v22
	v_add_nc_u16 v16, 0xe000, v16
	v_and_b32_e32 v22, 0x3f00, v22
	v_add_nc_u16 v24, 0xe000, v24
	v_and_b32_e32 v14, 0x3f00, v14
	v_add_nc_u16 v26, 0xe000, v26
	v_or_b32_sdwa v16, v25, v16 dst_sel:DWORD dst_unused:UNUSED_PAD src0_sel:DWORD src1_sel:BYTE_1
	v_or_b32_sdwa v21, v21, v24 dst_sel:DWORD dst_unused:UNUSED_PAD src0_sel:DWORD src1_sel:BYTE_1
	v_add_nc_u16 v24, 0xe000, v27
	v_or_b32_sdwa v22, v22, v26 dst_sel:DWORD dst_unused:UNUSED_PAD src0_sel:DWORD src1_sel:BYTE_1
	v_add_nc_u16 v16, 0xe000, v16
	v_add_nc_u16 v21, 0xe000, v21
	v_or_b32_sdwa v14, v14, v24 dst_sel:DWORD dst_unused:UNUSED_PAD src0_sel:DWORD src1_sel:BYTE_1
	v_add_nc_u16 v22, 0xe000, v22
	v_mov_b32_e32 v24, 0
	v_lshlrev_b32_e32 v21, 16, v21
	v_add_nc_u16 v14, 0xe000, v14
	v_lshlrev_b32_e32 v22, 16, v22
	v_or_b32_sdwa v16, v16, v21 dst_sel:DWORD dst_unused:UNUSED_PAD src0_sel:WORD_0 src1_sel:DWORD
	v_mov_b32_e32 v21, 0
	v_or_b32_sdwa v14, v14, v22 dst_sel:DWORD dst_unused:UNUSED_PAD src0_sel:WORD_0 src1_sel:DWORD
	s_waitcnt vmcnt(6)
	v_dot4c_i32_i8 v24, v16, v23
	s_waitcnt vmcnt(5)
	v_dot4c_i32_i8 v21, v14, v17
	s_waitcnt vmcnt(4)
	v_mul_lo_u32 v14, v24, v18
	s_waitcnt vmcnt(3)
	v_mul_lo_u32 v16, v21, v19
	v_cvt_f32_i32_e32 v14, v14
	v_cvt_f32_i32_e32 v16, v16
	s_waitcnt vmcnt(2)
	v_fma_mix_f32 v14, v20, v14, 0 op_sel_hi:[1,0,0]
	s_waitcnt vmcnt(1)
	v_fma_mix_f32 v14, v15, v16, v14 op_sel_hi:[1,0,0]
	;; [unrolled: 2-line block ×3, first 2 shown]
	s_andn2_b32 exec_lo, exec_lo, s9
	s_cbranch_execnz .LBB284_3
; %bb.4:
	s_or_b32 exec_lo, exec_lo, s9
.LBB284_5:
	s_or_b32 exec_lo, exec_lo, s1
	v_mbcnt_lo_u32_b32 v2, -1, 0
	v_xor_b32_e32 v3, 16, v2
	v_xor_b32_e32 v4, 8, v2
	;; [unrolled: 1-line block ×3, first 2 shown]
	v_cmp_gt_i32_e32 vcc_lo, 32, v3
	v_cndmask_b32_e32 v3, v2, v3, vcc_lo
	v_cmp_gt_i32_e32 vcc_lo, 32, v4
	v_lshlrev_b32_e32 v3, 2, v3
	v_cndmask_b32_e32 v4, v2, v4, vcc_lo
	v_cmp_gt_i32_e32 vcc_lo, 32, v5
	ds_bpermute_b32 v3, v3, v6
	v_lshlrev_b32_e32 v4, 2, v4
	v_cndmask_b32_e32 v5, v2, v5, vcc_lo
	v_lshlrev_b32_e32 v5, 2, v5
	s_waitcnt lgkmcnt(0)
	v_add_f32_e32 v3, v6, v3
	ds_bpermute_b32 v4, v4, v3
	s_waitcnt lgkmcnt(0)
	v_add_f32_e32 v3, v3, v4
	ds_bpermute_b32 v4, v5, v3
	v_xor_b32_e32 v5, 2, v2
	v_cmp_gt_i32_e32 vcc_lo, 32, v5
	v_cndmask_b32_e32 v5, v2, v5, vcc_lo
	v_lshlrev_b32_e32 v5, 2, v5
	s_waitcnt lgkmcnt(0)
	v_add_f32_e32 v3, v3, v4
	ds_bpermute_b32 v4, v5, v3
	v_xor_b32_e32 v5, 1, v2
	v_cmp_gt_i32_e32 vcc_lo, 32, v5
	v_cndmask_b32_e32 v5, v2, v5, vcc_lo
	v_cmp_eq_u32_e32 vcc_lo, 0, v0
	s_waitcnt lgkmcnt(0)
	v_add_f32_e32 v2, v3, v4
	v_lshlrev_b32_e32 v3, 2, v5
	ds_bpermute_b32 v3, v3, v2
	s_and_b32 exec_lo, exec_lo, vcc_lo
	s_cbranch_execz .LBB284_7
; %bb.6:
	s_waitcnt lgkmcnt(0)
	v_add_f32_e32 v2, v2, v3
	v_mov_b32_e32 v4, 0x7fc0
	v_mad_u64_u32 v[0:1], null, s2, s8, v[1:2]
	v_mov_b32_e32 v1, 0
	v_bfe_u32 v3, v2, 16, 1
	v_cmp_o_f32_e32 vcc_lo, v2, v2
	v_add3_u32 v2, v2, v3, 0x7fff
	v_lshlrev_b64 v[0:1], 1, v[0:1]
	v_cndmask_b32_sdwa v2, v4, v2, vcc_lo dst_sel:DWORD dst_unused:UNUSED_PAD src0_sel:DWORD src1_sel:WORD_1
	v_add_co_u32 v0, vcc_lo, s10, v0
	v_add_co_ci_u32_e64 v1, null, s11, v1, vcc_lo
	global_store_short v[0:1], v2, off
.LBB284_7:
	s_endpgm
	.section	.rodata,"a",@progbits
	.p2align	6, 0x0
	.amdhsa_kernel _ZL9moe_vec_qIN3c108BFloat16ELi256ELi32E10block_q6_KLi1EXadL_ZL17vec_dot_q6_K_q8_1PKvPK10block_q8_1RKiEEEvS4_S4_PT_PS8_iiii
		.amdhsa_group_segment_fixed_size 0
		.amdhsa_private_segment_fixed_size 0
		.amdhsa_kernarg_size 304
		.amdhsa_user_sgpr_count 6
		.amdhsa_user_sgpr_private_segment_buffer 1
		.amdhsa_user_sgpr_dispatch_ptr 0
		.amdhsa_user_sgpr_queue_ptr 0
		.amdhsa_user_sgpr_kernarg_segment_ptr 1
		.amdhsa_user_sgpr_dispatch_id 0
		.amdhsa_user_sgpr_flat_scratch_init 0
		.amdhsa_user_sgpr_private_segment_size 0
		.amdhsa_wavefront_size32 1
		.amdhsa_uses_dynamic_stack 0
		.amdhsa_system_sgpr_private_segment_wavefront_offset 0
		.amdhsa_system_sgpr_workgroup_id_x 1
		.amdhsa_system_sgpr_workgroup_id_y 0
		.amdhsa_system_sgpr_workgroup_id_z 1
		.amdhsa_system_sgpr_workgroup_info 0
		.amdhsa_system_vgpr_workitem_id 1
		.amdhsa_next_free_vgpr 28
		.amdhsa_next_free_sgpr 18
		.amdhsa_reserve_vcc 1
		.amdhsa_reserve_flat_scratch 0
		.amdhsa_float_round_mode_32 0
		.amdhsa_float_round_mode_16_64 0
		.amdhsa_float_denorm_mode_32 3
		.amdhsa_float_denorm_mode_16_64 3
		.amdhsa_dx10_clamp 1
		.amdhsa_ieee_mode 1
		.amdhsa_fp16_overflow 0
		.amdhsa_workgroup_processor_mode 1
		.amdhsa_memory_ordered 1
		.amdhsa_forward_progress 1
		.amdhsa_shared_vgpr_count 0
		.amdhsa_exception_fp_ieee_invalid_op 0
		.amdhsa_exception_fp_denorm_src 0
		.amdhsa_exception_fp_ieee_div_zero 0
		.amdhsa_exception_fp_ieee_overflow 0
		.amdhsa_exception_fp_ieee_underflow 0
		.amdhsa_exception_fp_ieee_inexact 0
		.amdhsa_exception_int_div_zero 0
	.end_amdhsa_kernel
	.section	.text._ZL9moe_vec_qIN3c108BFloat16ELi256ELi32E10block_q6_KLi1EXadL_ZL17vec_dot_q6_K_q8_1PKvPK10block_q8_1RKiEEEvS4_S4_PT_PS8_iiii,"axG",@progbits,_ZL9moe_vec_qIN3c108BFloat16ELi256ELi32E10block_q6_KLi1EXadL_ZL17vec_dot_q6_K_q8_1PKvPK10block_q8_1RKiEEEvS4_S4_PT_PS8_iiii,comdat
.Lfunc_end284:
	.size	_ZL9moe_vec_qIN3c108BFloat16ELi256ELi32E10block_q6_KLi1EXadL_ZL17vec_dot_q6_K_q8_1PKvPK10block_q8_1RKiEEEvS4_S4_PT_PS8_iiii, .Lfunc_end284-_ZL9moe_vec_qIN3c108BFloat16ELi256ELi32E10block_q6_KLi1EXadL_ZL17vec_dot_q6_K_q8_1PKvPK10block_q8_1RKiEEEvS4_S4_PT_PS8_iiii
                                        ; -- End function
	.set _ZL9moe_vec_qIN3c108BFloat16ELi256ELi32E10block_q6_KLi1EXadL_ZL17vec_dot_q6_K_q8_1PKvPK10block_q8_1RKiEEEvS4_S4_PT_PS8_iiii.num_vgpr, 28
	.set _ZL9moe_vec_qIN3c108BFloat16ELi256ELi32E10block_q6_KLi1EXadL_ZL17vec_dot_q6_K_q8_1PKvPK10block_q8_1RKiEEEvS4_S4_PT_PS8_iiii.num_agpr, 0
	.set _ZL9moe_vec_qIN3c108BFloat16ELi256ELi32E10block_q6_KLi1EXadL_ZL17vec_dot_q6_K_q8_1PKvPK10block_q8_1RKiEEEvS4_S4_PT_PS8_iiii.numbered_sgpr, 18
	.set _ZL9moe_vec_qIN3c108BFloat16ELi256ELi32E10block_q6_KLi1EXadL_ZL17vec_dot_q6_K_q8_1PKvPK10block_q8_1RKiEEEvS4_S4_PT_PS8_iiii.num_named_barrier, 0
	.set _ZL9moe_vec_qIN3c108BFloat16ELi256ELi32E10block_q6_KLi1EXadL_ZL17vec_dot_q6_K_q8_1PKvPK10block_q8_1RKiEEEvS4_S4_PT_PS8_iiii.private_seg_size, 0
	.set _ZL9moe_vec_qIN3c108BFloat16ELi256ELi32E10block_q6_KLi1EXadL_ZL17vec_dot_q6_K_q8_1PKvPK10block_q8_1RKiEEEvS4_S4_PT_PS8_iiii.uses_vcc, 1
	.set _ZL9moe_vec_qIN3c108BFloat16ELi256ELi32E10block_q6_KLi1EXadL_ZL17vec_dot_q6_K_q8_1PKvPK10block_q8_1RKiEEEvS4_S4_PT_PS8_iiii.uses_flat_scratch, 0
	.set _ZL9moe_vec_qIN3c108BFloat16ELi256ELi32E10block_q6_KLi1EXadL_ZL17vec_dot_q6_K_q8_1PKvPK10block_q8_1RKiEEEvS4_S4_PT_PS8_iiii.has_dyn_sized_stack, 0
	.set _ZL9moe_vec_qIN3c108BFloat16ELi256ELi32E10block_q6_KLi1EXadL_ZL17vec_dot_q6_K_q8_1PKvPK10block_q8_1RKiEEEvS4_S4_PT_PS8_iiii.has_recursion, 0
	.set _ZL9moe_vec_qIN3c108BFloat16ELi256ELi32E10block_q6_KLi1EXadL_ZL17vec_dot_q6_K_q8_1PKvPK10block_q8_1RKiEEEvS4_S4_PT_PS8_iiii.has_indirect_call, 0
	.section	.AMDGPU.csdata,"",@progbits
; Kernel info:
; codeLenInByte = 1280
; TotalNumSgprs: 20
; NumVgprs: 28
; ScratchSize: 0
; MemoryBound: 0
; FloatMode: 240
; IeeeMode: 1
; LDSByteSize: 0 bytes/workgroup (compile time only)
; SGPRBlocks: 0
; VGPRBlocks: 3
; NumSGPRsForWavesPerEU: 20
; NumVGPRsForWavesPerEU: 28
; Occupancy: 16
; WaveLimiterHint : 1
; COMPUTE_PGM_RSRC2:SCRATCH_EN: 0
; COMPUTE_PGM_RSRC2:USER_SGPR: 6
; COMPUTE_PGM_RSRC2:TRAP_HANDLER: 0
; COMPUTE_PGM_RSRC2:TGID_X_EN: 1
; COMPUTE_PGM_RSRC2:TGID_Y_EN: 0
; COMPUTE_PGM_RSRC2:TGID_Z_EN: 1
; COMPUTE_PGM_RSRC2:TIDIG_COMP_CNT: 1
	.section	.text._ZL9moe_vec_qIN3c108BFloat16ELi256ELi8E13block_iq2_xxsLi1EXadL_ZL20vec_dot_iq2_xxs_q8_1PKvPK10block_q8_1RKiEEEvS4_S4_PT_PS8_iiii,"axG",@progbits,_ZL9moe_vec_qIN3c108BFloat16ELi256ELi8E13block_iq2_xxsLi1EXadL_ZL20vec_dot_iq2_xxs_q8_1PKvPK10block_q8_1RKiEEEvS4_S4_PT_PS8_iiii,comdat
	.globl	_ZL9moe_vec_qIN3c108BFloat16ELi256ELi8E13block_iq2_xxsLi1EXadL_ZL20vec_dot_iq2_xxs_q8_1PKvPK10block_q8_1RKiEEEvS4_S4_PT_PS8_iiii ; -- Begin function _ZL9moe_vec_qIN3c108BFloat16ELi256ELi8E13block_iq2_xxsLi1EXadL_ZL20vec_dot_iq2_xxs_q8_1PKvPK10block_q8_1RKiEEEvS4_S4_PT_PS8_iiii
	.p2align	8
	.type	_ZL9moe_vec_qIN3c108BFloat16ELi256ELi8E13block_iq2_xxsLi1EXadL_ZL20vec_dot_iq2_xxs_q8_1PKvPK10block_q8_1RKiEEEvS4_S4_PT_PS8_iiii,@function
_ZL9moe_vec_qIN3c108BFloat16ELi256ELi8E13block_iq2_xxsLi1EXadL_ZL20vec_dot_iq2_xxs_q8_1PKvPK10block_q8_1RKiEEEvS4_S4_PT_PS8_iiii: ; @_ZL9moe_vec_qIN3c108BFloat16ELi256ELi8E13block_iq2_xxsLi1EXadL_ZL20vec_dot_iq2_xxs_q8_1PKvPK10block_q8_1RKiEEEvS4_S4_PT_PS8_iiii
; %bb.0:
	s_clause 0x1
	s_load_dword s0, s[4:5], 0x3c
	s_load_dwordx4 s[8:11], s[4:5], 0x20
	s_waitcnt lgkmcnt(0)
	s_lshr_b32 s0, s0, 16
	v_mad_u64_u32 v[1:2], null, s6, s0, v[1:2]
	s_mov_b32 s0, exec_lo
	v_cmpx_gt_u32_e64 s10, v1
	s_cbranch_execz .LBB285_7
; %bb.1:
	s_load_dwordx2 s[14:15], s[4:5], 0x10
	s_ashr_i32 s0, s9, 31
	v_lshrrev_b32_e32 v4, 3, v0
	s_lshr_b32 s0, s0, 24
	v_mov_b32_e32 v5, 0
	s_add_i32 s0, s9, s0
	s_mov_b32 s12, s7
	s_ashr_i32 s18, s0, 8
	s_mov_b32 s9, exec_lo
	v_cmpx_gt_u32_e64 s18, v4
	s_cbranch_execz .LBB285_5
; %bb.2:
	s_load_dwordx2 s[0:1], s[4:5], 0x18
	s_mov_b32 s13, 0
	v_cvt_f32_u32_e32 v2, s8
	s_lshl_b64 s[2:3], s[12:13], 2
	v_mul_lo_u32 v6, v1, s18
	v_mov_b32_e32 v5, 0
	v_lshlrev_b32_e32 v7, 3, v4
	v_rcp_iflag_f32_e32 v2, v2
	v_mov_b32_e32 v9, 3
	v_mul_f32_e32 v2, 0x4f7ffffe, v2
	s_waitcnt lgkmcnt(0)
	s_add_u32 s0, s0, s2
	s_addc_u32 s1, s1, s3
	v_cvt_u32_f32_e32 v2, v2
	s_load_dword s6, s[0:1], 0x0
	s_load_dwordx4 s[0:3], s[4:5], 0x0
	s_mul_i32 s4, s18, s10
	v_readfirstlane_b32 s5, v2
	v_and_b32_e32 v2, 7, v0
	v_lshlrev_b32_e32 v8, 2, v2
	v_lshlrev_b32_e32 v8, 1, v8
	s_waitcnt lgkmcnt(0)
	s_mul_i32 s4, s4, s6
	s_mul_i32 s6, s4, 0x42
	s_mul_hi_i32 s4, s4, 0x42
	s_add_u32 s16, s0, s6
	s_addc_u32 s17, s1, s4
	s_sub_i32 s0, 0, s8
	s_mul_i32 s0, s0, s5
	s_mul_hi_u32 s0, s5, s0
	s_add_i32 s5, s5, s0
	s_mul_hi_u32 s0, s12, s5
	s_mul_i32 s1, s0, s8
	s_add_i32 s4, s0, 1
	s_sub_i32 s1, s12, s1
	s_sub_i32 s5, s1, s8
	s_cmp_ge_u32 s1, s8
	s_cselect_b32 s0, s4, s0
	s_cselect_b32 s1, s5, s1
	s_add_i32 s4, s0, 1
	s_cmp_ge_u32 s1, s8
	s_mov_b32 s1, s13
	s_cselect_b32 s0, s4, s0
	s_mul_i32 s0, s0, s11
	s_lshl_b64 s[0:1], s[0:1], 2
	s_add_u32 s0, s2, s0
	s_addc_u32 s1, s3, s1
	v_mad_u64_u32 v[2:3], null, v2, 36, s[0:1]
.LBB285_3:                              ; =>This Inner Loop Header: Depth=1
	v_add_nc_u32_e32 v10, v6, v4
	v_mad_i64_i32 v[20:21], null, v7, 36, v[2:3]
	s_getpc_b64 s[0:1]
	s_add_u32 s0, s0, _ZL11iq2xxs_grid@rel32@lo+4
	s_addc_u32 s1, s1, _ZL11iq2xxs_grid@rel32@hi+12
	s_getpc_b64 s[2:3]
	s_add_u32 s2, s2, _ZL12ksigns_iq2xs@rel32@lo+4
	s_addc_u32 s3, s3, _ZL12ksigns_iq2xs@rel32@hi+12
	v_mad_i64_i32 v[18:19], null, 0x42, v10, s[16:17]
	v_add_nc_u32_e32 v4, 4, v4
	v_add_nc_u32_e32 v7, 32, v7
	v_add_co_u32 v10, vcc_lo, v18, v8
	v_add_co_ci_u32_e64 v11, null, 0, v19, vcc_lo
	s_clause 0x1
	global_load_dword v22, v[10:11], off offset:2
	global_load_dword v28, v[10:11], off offset:6
	s_clause 0x1
	global_load_dwordx4 v[10:13], v[20:21], off offset:4
	global_load_dwordx4 v[14:17], v[20:21], off offset:20
	global_load_ushort v29, v[18:19], off
	s_waitcnt vmcnt(4)
	v_lshlrev_b32_sdwa v18, v9, v22 dst_sel:DWORD dst_unused:UNUSED_PAD src0_sel:DWORD src1_sel:BYTE_0
	s_waitcnt vmcnt(3)
	v_and_b32_e32 v30, 0x7f, v28
	v_bfe_u32 v31, v28, 7, 7
	v_lshlrev_b32_sdwa v23, v9, v22 dst_sel:DWORD dst_unused:UNUSED_PAD src0_sel:DWORD src1_sel:BYTE_1
	v_lshlrev_b32_sdwa v24, v9, v22 dst_sel:DWORD dst_unused:UNUSED_PAD src0_sel:DWORD src1_sel:BYTE_2
	v_bfe_u32 v32, v28, 14, 7
	v_lshlrev_b32_sdwa v26, v9, v22 dst_sel:DWORD dst_unused:UNUSED_PAD src0_sel:DWORD src1_sel:BYTE_3
	v_bfe_u32 v33, v28, 21, 7
	global_load_sbyte v34, v30, s[2:3]
	global_load_dwordx2 v[18:19], v18, s[0:1]
	global_load_sbyte v35, v31, s[2:3]
	global_load_dwordx2 v[22:23], v23, s[0:1]
	;; [unrolled: 2-line block ×4, first 2 shown]
	global_load_ushort v20, v[20:21], off
	v_lshrrev_b32_e32 v21, 28, v28
	s_waitcnt vmcnt(9)
	v_cvt_f32_f16_e32 v28, v29
	v_cvt_f32_ubyte0_e32 v21, v21
	v_add_f32_e32 v21, 0.5, v21
	v_mul_f32_e32 v21, v21, v28
	s_waitcnt vmcnt(8)
	v_and_b32_e32 v29, 1, v34
	s_waitcnt vmcnt(7)
	v_mul_i32_i24_sdwa v28, v18, sext(v10) dst_sel:DWORD dst_unused:UNUSED_PAD src0_sel:BYTE_0 src1_sel:BYTE_0
	v_mul_i32_i24_sdwa v38, v18, sext(v10) dst_sel:DWORD dst_unused:UNUSED_PAD src0_sel:BYTE_1 src1_sel:BYTE_1
	v_and_b32_e32 v39, 2, v34
	v_mul_i32_i24_sdwa v40, v18, sext(v10) dst_sel:DWORD dst_unused:UNUSED_PAD src0_sel:BYTE_2 src1_sel:BYTE_2
	v_and_b32_e32 v41, 4, v34
	v_mul_i32_i24_sdwa v10, v18, sext(v10) dst_sel:DWORD dst_unused:UNUSED_PAD src0_sel:BYTE_3 src1_sel:BYTE_3
	v_and_b32_e32 v18, 8, v34
	v_sub_nc_u32_e32 v61, 0, v28
	v_cmp_eq_u16_e32 vcc_lo, 0, v29
	v_sub_nc_u32_e32 v29, 0, v38
	v_cmp_eq_u16_e64 s0, 0, v39
	v_sub_nc_u32_e32 v39, 0, v40
	v_cmp_eq_u16_e64 s1, 0, v41
	;; [unrolled: 2-line block ×3, first 2 shown]
	v_cndmask_b32_e32 v28, v61, v28, vcc_lo
	v_cndmask_b32_e64 v29, v29, v38, s0
	v_mul_i32_i24_sdwa v42, v19, sext(v11) dst_sel:DWORD dst_unused:UNUSED_PAD src0_sel:BYTE_0 src1_sel:BYTE_0
	v_and_b32_e32 v43, 16, v34
	v_mul_i32_i24_sdwa v44, v19, sext(v11) dst_sel:DWORD dst_unused:UNUSED_PAD src0_sel:BYTE_1 src1_sel:BYTE_1
	v_mul_i32_i24_sdwa v45, v19, sext(v11) dst_sel:DWORD dst_unused:UNUSED_PAD src0_sel:BYTE_2 src1_sel:BYTE_2
	v_mul_i32_i24_sdwa v11, v19, sext(v11) dst_sel:DWORD dst_unused:UNUSED_PAD src0_sel:BYTE_3 src1_sel:BYTE_3
	s_waitcnt vmcnt(5)
	v_mul_i32_i24_sdwa v19, v22, sext(v12) dst_sel:DWORD dst_unused:UNUSED_PAD src0_sel:BYTE_0 src1_sel:BYTE_0
	v_mul_i32_i24_sdwa v46, v22, sext(v12) dst_sel:DWORD dst_unused:UNUSED_PAD src0_sel:BYTE_1 src1_sel:BYTE_1
	v_mul_i32_i24_sdwa v47, v22, sext(v12) dst_sel:DWORD dst_unused:UNUSED_PAD src0_sel:BYTE_2 src1_sel:BYTE_2
	v_mul_i32_i24_sdwa v12, v22, sext(v12) dst_sel:DWORD dst_unused:UNUSED_PAD src0_sel:BYTE_3 src1_sel:BYTE_3
	v_mul_i32_i24_sdwa v22, v23, sext(v13) dst_sel:DWORD dst_unused:UNUSED_PAD src0_sel:BYTE_0 src1_sel:BYTE_0
	v_mul_i32_i24_sdwa v48, v23, sext(v13) dst_sel:DWORD dst_unused:UNUSED_PAD src0_sel:BYTE_1 src1_sel:BYTE_1
	v_mul_i32_i24_sdwa v49, v23, sext(v13) dst_sel:DWORD dst_unused:UNUSED_PAD src0_sel:BYTE_2 src1_sel:BYTE_2
	v_mul_i32_i24_sdwa v13, v23, sext(v13) dst_sel:DWORD dst_unused:UNUSED_PAD src0_sel:BYTE_3 src1_sel:BYTE_3
	s_waitcnt vmcnt(3)
	v_mul_i32_i24_sdwa v23, v24, sext(v14) dst_sel:DWORD dst_unused:UNUSED_PAD src0_sel:BYTE_0 src1_sel:BYTE_0
	v_mul_i32_i24_sdwa v50, v24, sext(v14) dst_sel:DWORD dst_unused:UNUSED_PAD src0_sel:BYTE_1 src1_sel:BYTE_1
	v_mul_i32_i24_sdwa v51, v24, sext(v14) dst_sel:DWORD dst_unused:UNUSED_PAD src0_sel:BYTE_2 src1_sel:BYTE_2
	v_mul_i32_i24_sdwa v14, v24, sext(v14) dst_sel:DWORD dst_unused:UNUSED_PAD src0_sel:BYTE_3 src1_sel:BYTE_3
	v_mul_i32_i24_sdwa v24, v25, sext(v15) dst_sel:DWORD dst_unused:UNUSED_PAD src0_sel:BYTE_0 src1_sel:BYTE_0
	;; [unrolled: 9-line block ×3, first 2 shown]
	v_mul_i32_i24_sdwa v56, v27, sext(v17) dst_sel:DWORD dst_unused:UNUSED_PAD src0_sel:BYTE_1 src1_sel:BYTE_1
	v_mul_i32_i24_sdwa v57, v27, sext(v17) dst_sel:DWORD dst_unused:UNUSED_PAD src0_sel:BYTE_2 src1_sel:BYTE_2
	v_mul_i32_i24_sdwa v17, v27, sext(v17) dst_sel:DWORD dst_unused:UNUSED_PAD src0_sel:BYTE_3 src1_sel:BYTE_3
	v_and_b32_e32 v27, 32, v34
	v_cndmask_b32_e64 v39, v39, v40, s1
	v_cndmask_b32_e64 v10, v41, v10, s2
	v_add_nc_u32_e32 v28, v29, v28
	v_cmp_eq_u16_e32 vcc_lo, 0, v43
	v_sub_nc_u32_e32 v43, 0, v44
	v_cmp_eq_u16_e64 s0, 0, v27
	v_and_b32_e32 v58, 1, v35
	v_add3_u32 v10, v28, v39, v10
	v_sub_nc_u32_e32 v39, 0, v42
	v_and_b32_e32 v59, 2, v35
	v_cndmask_b32_e64 v43, v43, v44, s0
	v_cmp_gt_i16_e64 s0, 0, v34
	v_and_b32_e32 v60, 4, v35
	v_cndmask_b32_e32 v39, v39, v42, vcc_lo
	v_cmp_gt_u32_e32 vcc_lo, 64, v30
	v_sub_nc_u32_e32 v30, 0, v11
	v_and_b32_e32 v18, 8, v35
	v_and_b32_e32 v61, 16, v35
	v_add3_u32 v10, v10, v39, v43
	v_sub_nc_u32_e32 v43, 0, v45
	v_cndmask_b32_e64 v11, v11, v30, s0
	v_cmp_eq_u16_e64 s0, 0, v59
	v_and_b32_e32 v38, 32, v35
	v_and_b32_e32 v41, 2, v36
	v_cndmask_b32_e32 v43, v43, v45, vcc_lo
	v_cmp_eq_u16_e32 vcc_lo, 0, v58
	v_sub_nc_u32_e32 v58, 0, v46
	v_sub_nc_u32_e32 v59, 0, v47
	v_cmp_eq_u16_e64 s1, 0, v60
	v_add3_u32 v10, v10, v43, v11
	v_sub_nc_u32_e32 v43, 0, v19
	v_sub_nc_u32_e32 v60, 0, v12
	v_cmp_eq_u16_e64 s2, 0, v18
	v_cndmask_b32_e64 v46, v58, v46, s0
	v_sub_nc_u32_e32 v18, 0, v48
	v_cndmask_b32_e32 v19, v43, v19, vcc_lo
	v_cmp_eq_u16_e64 s3, 0, v38
	v_cmp_eq_u16_e64 s5, 0, v41
	v_sub_nc_u32_e32 v41, 0, v22
	v_cndmask_b32_e64 v47, v59, v47, s1
	v_add3_u32 v10, v10, v19, v46
	v_cndmask_b32_e64 v12, v60, v12, s2
	v_cmp_eq_u16_e64 s1, 0, v61
	v_and_b32_e32 v40, 1, v36
	v_sub_nc_u32_e32 v38, 0, v13
	v_cmp_gt_i16_e64 s4, 0, v35
	v_sub_nc_u32_e32 v43, 0, v49
	v_cndmask_b32_e64 v22, v41, v22, s1
	v_cndmask_b32_e64 v18, v18, v48, s3
	v_add3_u32 v10, v10, v47, v12
	v_cmp_gt_u32_e64 s1, 64, v31
	v_and_b32_e32 v29, 4, v36
	v_and_b32_e32 v28, 8, v36
	v_sub_nc_u32_e32 v35, 0, v50
	v_sub_nc_u32_e32 v58, 0, v23
	v_cndmask_b32_e64 v31, v43, v49, s1
	v_cndmask_b32_e64 v13, v13, v38, s4
	v_add3_u32 v10, v10, v22, v18
	v_cmp_eq_u16_e64 s1, 0, v40
	v_and_b32_e32 v27, 16, v36
	v_and_b32_e32 v42, 32, v36
	;; [unrolled: 1-line block ×3, first 2 shown]
	v_sub_nc_u32_e32 v19, 0, v51
	v_sub_nc_u32_e32 v46, 0, v14
	v_cmp_eq_u16_e32 vcc_lo, 0, v28
	v_cndmask_b32_e64 v22, v58, v23, s1
	v_cndmask_b32_e64 v23, v35, v50, s5
	v_add3_u32 v10, v10, v31, v13
	v_cmp_eq_u16_e64 s2, 0, v29
	v_sub_nc_u32_e32 v28, 0, v52
	v_cmp_eq_u16_e64 s0, 0, v42
	v_cmp_eq_u16_e64 s7, 0, v39
	v_sub_nc_u32_e32 v39, 0, v24
	v_cndmask_b32_e64 v13, v19, v51, s2
	v_cndmask_b32_e32 v14, v46, v14, vcc_lo
	v_add3_u32 v10, v10, v22, v23
	v_cmp_eq_u16_e32 vcc_lo, 0, v27
	v_and_b32_e32 v44, 1, v37
	v_sub_nc_u32_e32 v42, 0, v15
	v_cmp_gt_i16_e64 s6, 0, v36
	v_sub_nc_u32_e32 v59, 0, v53
	v_cndmask_b32_e32 v22, v39, v24, vcc_lo
	v_cndmask_b32_e64 v23, v28, v52, s0
	v_add3_u32 v10, v10, v13, v14
	v_cmp_gt_u32_e32 vcc_lo, 64, v32
	v_and_b32_e32 v34, 4, v37
	v_and_b32_e32 v45, 8, v37
	;; [unrolled: 1-line block ×3, first 2 shown]
	v_sub_nc_u32_e32 v36, 0, v54
	v_sub_nc_u32_e32 v60, 0, v25
	v_cndmask_b32_e32 v14, v59, v53, vcc_lo
	v_cndmask_b32_e64 v15, v15, v42, s6
	v_add3_u32 v10, v10, v22, v23
	v_cmp_eq_u16_e64 s0, 0, v44
	v_and_b32_e32 v30, 16, v37
	v_sub_nc_u32_e32 v12, 0, v55
	v_sub_nc_u32_e32 v18, 0, v16
	v_cmp_eq_u16_e64 s1, 0, v45
	v_cmp_eq_u16_e32 vcc_lo, 0, v11
	v_cndmask_b32_e64 v11, v60, v25, s0
	v_cndmask_b32_e64 v22, v36, v54, s7
	v_add3_u32 v10, v10, v14, v15
	v_cmp_eq_u16_e64 s0, 0, v34
	v_sub_nc_u32_e32 v19, 0, v26
	v_sub_nc_u32_e32 v13, 0, v56
	v_cndmask_b32_e64 v15, v18, v16, s1
	v_add3_u32 v10, v10, v11, v22
	v_cndmask_b32_e64 v12, v12, v55, s0
	v_cmp_eq_u16_e64 s0, 0, v30
	v_sub_nc_u32_e32 v14, 0, v57
	v_sub_nc_u32_e32 v11, 0, v17
	v_cndmask_b32_e32 v13, v13, v56, vcc_lo
	v_add3_u32 v10, v10, v12, v15
	v_cndmask_b32_e64 v16, v19, v26, s0
	v_cmp_gt_i16_e32 vcc_lo, 0, v37
	v_cmp_gt_u32_e64 s0, 64, v33
	s_waitcnt vmcnt(0)
	v_cvt_f32_f16_e32 v20, v20
	v_add3_u32 v10, v10, v16, v13
	v_cndmask_b32_e32 v11, v17, v11, vcc_lo
	v_cndmask_b32_e64 v12, v14, v57, s0
	v_mul_f32_e32 v13, v21, v20
	v_cmp_le_u32_e32 vcc_lo, s18, v4
	v_add3_u32 v10, v10, v12, v11
	v_mul_f32_e32 v11, 0x3e800000, v13
	s_or_b32 s13, vcc_lo, s13
	v_cvt_f32_i32_e32 v10, v10
	v_fmac_f32_e32 v5, v11, v10
	s_andn2_b32 exec_lo, exec_lo, s13
	s_cbranch_execnz .LBB285_3
; %bb.4:
	s_or_b32 exec_lo, exec_lo, s13
.LBB285_5:
	s_or_b32 exec_lo, exec_lo, s9
	v_mbcnt_lo_u32_b32 v2, -1, 0
	v_xor_b32_e32 v3, 16, v2
	v_xor_b32_e32 v4, 8, v2
	v_cmp_gt_i32_e32 vcc_lo, 32, v3
	v_cndmask_b32_e32 v3, v2, v3, vcc_lo
	v_cmp_gt_i32_e32 vcc_lo, 32, v4
	v_lshlrev_b32_e32 v3, 2, v3
	v_cndmask_b32_e32 v4, v2, v4, vcc_lo
	ds_bpermute_b32 v3, v3, v5
	v_lshlrev_b32_e32 v4, 2, v4
	s_waitcnt lgkmcnt(0)
	v_add_f32_e32 v3, v5, v3
	v_xor_b32_e32 v5, 4, v2
	ds_bpermute_b32 v4, v4, v3
	v_cmp_gt_i32_e32 vcc_lo, 32, v5
	v_cndmask_b32_e32 v5, v2, v5, vcc_lo
	v_lshlrev_b32_e32 v5, 2, v5
	s_waitcnt lgkmcnt(0)
	v_add_f32_e32 v3, v3, v4
	ds_bpermute_b32 v4, v5, v3
	v_xor_b32_e32 v5, 2, v2
	v_cmp_gt_i32_e32 vcc_lo, 32, v5
	v_cndmask_b32_e32 v5, v2, v5, vcc_lo
	v_lshlrev_b32_e32 v5, 2, v5
	s_waitcnt lgkmcnt(0)
	v_add_f32_e32 v3, v3, v4
	ds_bpermute_b32 v4, v5, v3
	v_xor_b32_e32 v5, 1, v2
	v_cmp_gt_i32_e32 vcc_lo, 32, v5
	v_cndmask_b32_e32 v5, v2, v5, vcc_lo
	v_cmp_eq_u32_e32 vcc_lo, 0, v0
	s_waitcnt lgkmcnt(0)
	v_add_f32_e32 v2, v3, v4
	v_lshlrev_b32_e32 v3, 2, v5
	ds_bpermute_b32 v3, v3, v2
	s_and_b32 exec_lo, exec_lo, vcc_lo
	s_cbranch_execz .LBB285_7
; %bb.6:
	s_waitcnt lgkmcnt(0)
	v_add_f32_e32 v2, v2, v3
	v_mov_b32_e32 v4, 0x7fc0
	v_mad_u64_u32 v[0:1], null, s10, s12, v[1:2]
	v_mov_b32_e32 v1, 0
	v_bfe_u32 v3, v2, 16, 1
	v_cmp_o_f32_e32 vcc_lo, v2, v2
	v_add3_u32 v2, v2, v3, 0x7fff
	v_lshlrev_b64 v[0:1], 1, v[0:1]
	v_cndmask_b32_sdwa v2, v4, v2, vcc_lo dst_sel:DWORD dst_unused:UNUSED_PAD src0_sel:DWORD src1_sel:WORD_1
	v_add_co_u32 v0, vcc_lo, s14, v0
	v_add_co_ci_u32_e64 v1, null, s15, v1, vcc_lo
	global_store_short v[0:1], v2, off
.LBB285_7:
	s_endpgm
	.section	.rodata,"a",@progbits
	.p2align	6, 0x0
	.amdhsa_kernel _ZL9moe_vec_qIN3c108BFloat16ELi256ELi8E13block_iq2_xxsLi1EXadL_ZL20vec_dot_iq2_xxs_q8_1PKvPK10block_q8_1RKiEEEvS4_S4_PT_PS8_iiii
		.amdhsa_group_segment_fixed_size 0
		.amdhsa_private_segment_fixed_size 0
		.amdhsa_kernarg_size 304
		.amdhsa_user_sgpr_count 6
		.amdhsa_user_sgpr_private_segment_buffer 1
		.amdhsa_user_sgpr_dispatch_ptr 0
		.amdhsa_user_sgpr_queue_ptr 0
		.amdhsa_user_sgpr_kernarg_segment_ptr 1
		.amdhsa_user_sgpr_dispatch_id 0
		.amdhsa_user_sgpr_flat_scratch_init 0
		.amdhsa_user_sgpr_private_segment_size 0
		.amdhsa_wavefront_size32 1
		.amdhsa_uses_dynamic_stack 0
		.amdhsa_system_sgpr_private_segment_wavefront_offset 0
		.amdhsa_system_sgpr_workgroup_id_x 1
		.amdhsa_system_sgpr_workgroup_id_y 0
		.amdhsa_system_sgpr_workgroup_id_z 1
		.amdhsa_system_sgpr_workgroup_info 0
		.amdhsa_system_vgpr_workitem_id 1
		.amdhsa_next_free_vgpr 62
		.amdhsa_next_free_sgpr 19
		.amdhsa_reserve_vcc 1
		.amdhsa_reserve_flat_scratch 0
		.amdhsa_float_round_mode_32 0
		.amdhsa_float_round_mode_16_64 0
		.amdhsa_float_denorm_mode_32 3
		.amdhsa_float_denorm_mode_16_64 3
		.amdhsa_dx10_clamp 1
		.amdhsa_ieee_mode 1
		.amdhsa_fp16_overflow 0
		.amdhsa_workgroup_processor_mode 1
		.amdhsa_memory_ordered 1
		.amdhsa_forward_progress 1
		.amdhsa_shared_vgpr_count 0
		.amdhsa_exception_fp_ieee_invalid_op 0
		.amdhsa_exception_fp_denorm_src 0
		.amdhsa_exception_fp_ieee_div_zero 0
		.amdhsa_exception_fp_ieee_overflow 0
		.amdhsa_exception_fp_ieee_underflow 0
		.amdhsa_exception_fp_ieee_inexact 0
		.amdhsa_exception_int_div_zero 0
	.end_amdhsa_kernel
	.section	.text._ZL9moe_vec_qIN3c108BFloat16ELi256ELi8E13block_iq2_xxsLi1EXadL_ZL20vec_dot_iq2_xxs_q8_1PKvPK10block_q8_1RKiEEEvS4_S4_PT_PS8_iiii,"axG",@progbits,_ZL9moe_vec_qIN3c108BFloat16ELi256ELi8E13block_iq2_xxsLi1EXadL_ZL20vec_dot_iq2_xxs_q8_1PKvPK10block_q8_1RKiEEEvS4_S4_PT_PS8_iiii,comdat
.Lfunc_end285:
	.size	_ZL9moe_vec_qIN3c108BFloat16ELi256ELi8E13block_iq2_xxsLi1EXadL_ZL20vec_dot_iq2_xxs_q8_1PKvPK10block_q8_1RKiEEEvS4_S4_PT_PS8_iiii, .Lfunc_end285-_ZL9moe_vec_qIN3c108BFloat16ELi256ELi8E13block_iq2_xxsLi1EXadL_ZL20vec_dot_iq2_xxs_q8_1PKvPK10block_q8_1RKiEEEvS4_S4_PT_PS8_iiii
                                        ; -- End function
	.set _ZL9moe_vec_qIN3c108BFloat16ELi256ELi8E13block_iq2_xxsLi1EXadL_ZL20vec_dot_iq2_xxs_q8_1PKvPK10block_q8_1RKiEEEvS4_S4_PT_PS8_iiii.num_vgpr, 62
	.set _ZL9moe_vec_qIN3c108BFloat16ELi256ELi8E13block_iq2_xxsLi1EXadL_ZL20vec_dot_iq2_xxs_q8_1PKvPK10block_q8_1RKiEEEvS4_S4_PT_PS8_iiii.num_agpr, 0
	.set _ZL9moe_vec_qIN3c108BFloat16ELi256ELi8E13block_iq2_xxsLi1EXadL_ZL20vec_dot_iq2_xxs_q8_1PKvPK10block_q8_1RKiEEEvS4_S4_PT_PS8_iiii.numbered_sgpr, 19
	.set _ZL9moe_vec_qIN3c108BFloat16ELi256ELi8E13block_iq2_xxsLi1EXadL_ZL20vec_dot_iq2_xxs_q8_1PKvPK10block_q8_1RKiEEEvS4_S4_PT_PS8_iiii.num_named_barrier, 0
	.set _ZL9moe_vec_qIN3c108BFloat16ELi256ELi8E13block_iq2_xxsLi1EXadL_ZL20vec_dot_iq2_xxs_q8_1PKvPK10block_q8_1RKiEEEvS4_S4_PT_PS8_iiii.private_seg_size, 0
	.set _ZL9moe_vec_qIN3c108BFloat16ELi256ELi8E13block_iq2_xxsLi1EXadL_ZL20vec_dot_iq2_xxs_q8_1PKvPK10block_q8_1RKiEEEvS4_S4_PT_PS8_iiii.uses_vcc, 1
	.set _ZL9moe_vec_qIN3c108BFloat16ELi256ELi8E13block_iq2_xxsLi1EXadL_ZL20vec_dot_iq2_xxs_q8_1PKvPK10block_q8_1RKiEEEvS4_S4_PT_PS8_iiii.uses_flat_scratch, 0
	.set _ZL9moe_vec_qIN3c108BFloat16ELi256ELi8E13block_iq2_xxsLi1EXadL_ZL20vec_dot_iq2_xxs_q8_1PKvPK10block_q8_1RKiEEEvS4_S4_PT_PS8_iiii.has_dyn_sized_stack, 0
	.set _ZL9moe_vec_qIN3c108BFloat16ELi256ELi8E13block_iq2_xxsLi1EXadL_ZL20vec_dot_iq2_xxs_q8_1PKvPK10block_q8_1RKiEEEvS4_S4_PT_PS8_iiii.has_recursion, 0
	.set _ZL9moe_vec_qIN3c108BFloat16ELi256ELi8E13block_iq2_xxsLi1EXadL_ZL20vec_dot_iq2_xxs_q8_1PKvPK10block_q8_1RKiEEEvS4_S4_PT_PS8_iiii.has_indirect_call, 0
	.section	.AMDGPU.csdata,"",@progbits
; Kernel info:
; codeLenInByte = 2016
; TotalNumSgprs: 21
; NumVgprs: 62
; ScratchSize: 0
; MemoryBound: 0
; FloatMode: 240
; IeeeMode: 1
; LDSByteSize: 0 bytes/workgroup (compile time only)
; SGPRBlocks: 0
; VGPRBlocks: 7
; NumSGPRsForWavesPerEU: 21
; NumVGPRsForWavesPerEU: 62
; Occupancy: 16
; WaveLimiterHint : 1
; COMPUTE_PGM_RSRC2:SCRATCH_EN: 0
; COMPUTE_PGM_RSRC2:USER_SGPR: 6
; COMPUTE_PGM_RSRC2:TRAP_HANDLER: 0
; COMPUTE_PGM_RSRC2:TGID_X_EN: 1
; COMPUTE_PGM_RSRC2:TGID_Y_EN: 0
; COMPUTE_PGM_RSRC2:TGID_Z_EN: 1
; COMPUTE_PGM_RSRC2:TIDIG_COMP_CNT: 1
	.section	.text._ZL9moe_vec_qIN3c108BFloat16ELi256ELi8E12block_iq2_xsLi1EXadL_ZL19vec_dot_iq2_xs_q8_1PKvPK10block_q8_1RKiEEEvS4_S4_PT_PS8_iiii,"axG",@progbits,_ZL9moe_vec_qIN3c108BFloat16ELi256ELi8E12block_iq2_xsLi1EXadL_ZL19vec_dot_iq2_xs_q8_1PKvPK10block_q8_1RKiEEEvS4_S4_PT_PS8_iiii,comdat
	.globl	_ZL9moe_vec_qIN3c108BFloat16ELi256ELi8E12block_iq2_xsLi1EXadL_ZL19vec_dot_iq2_xs_q8_1PKvPK10block_q8_1RKiEEEvS4_S4_PT_PS8_iiii ; -- Begin function _ZL9moe_vec_qIN3c108BFloat16ELi256ELi8E12block_iq2_xsLi1EXadL_ZL19vec_dot_iq2_xs_q8_1PKvPK10block_q8_1RKiEEEvS4_S4_PT_PS8_iiii
	.p2align	8
	.type	_ZL9moe_vec_qIN3c108BFloat16ELi256ELi8E12block_iq2_xsLi1EXadL_ZL19vec_dot_iq2_xs_q8_1PKvPK10block_q8_1RKiEEEvS4_S4_PT_PS8_iiii,@function
_ZL9moe_vec_qIN3c108BFloat16ELi256ELi8E12block_iq2_xsLi1EXadL_ZL19vec_dot_iq2_xs_q8_1PKvPK10block_q8_1RKiEEEvS4_S4_PT_PS8_iiii: ; @_ZL9moe_vec_qIN3c108BFloat16ELi256ELi8E12block_iq2_xsLi1EXadL_ZL19vec_dot_iq2_xs_q8_1PKvPK10block_q8_1RKiEEEvS4_S4_PT_PS8_iiii
; %bb.0:
	s_clause 0x1
	s_load_dword s0, s[4:5], 0x3c
	s_load_dwordx4 s[24:27], s[4:5], 0x20
	s_waitcnt lgkmcnt(0)
	s_lshr_b32 s0, s0, 16
	v_mad_u64_u32 v[9:10], null, s6, s0, v[1:2]
	s_mov_b32 s0, exec_lo
	v_cmpx_gt_u32_e64 s26, v9
	s_cbranch_execz .LBB286_7
; %bb.1:
	s_load_dwordx2 s[30:31], s[4:5], 0x10
	s_ashr_i32 s0, s25, 31
	v_lshrrev_b32_e32 v16, 3, v0
	s_lshr_b32 s0, s0, 24
	v_mov_b32_e32 v17, 0
	s_add_i32 s0, s25, s0
	s_mov_b32 s28, s7
	s_ashr_i32 s25, s0, 8
	s_mov_b32 s23, exec_lo
	v_cmpx_gt_u32_e64 s25, v16
	s_cbranch_execz .LBB286_5
; %bb.2:
	s_load_dwordx2 s[0:1], s[4:5], 0x18
	s_mov_b32 s29, 0
	v_cvt_f32_u32_e32 v1, s24
	s_lshl_b64 s[2:3], s[28:29], 2
	v_and_b32_e32 v18, 7, v0
	v_mul_lo_u32 v19, v9, s25
	v_mov_b32_e32 v20, 0
	v_rcp_iflag_f32_e32 v1, v1
	v_lshlrev_b32_e32 v21, 3, v16
	v_mov_b32_e32 v17, 0
	v_mul_f32_e32 v1, 0x4f7ffffe, v1
	s_waitcnt lgkmcnt(0)
	s_add_u32 s0, s0, s2
	s_addc_u32 s1, s1, s3
	v_cvt_u32_f32_e32 v1, v1
	s_load_dword s6, s[0:1], 0x0
	s_load_dwordx4 s[0:3], s[4:5], 0x0
	s_mul_i32 s4, s25, s26
	v_readfirstlane_b32 s5, v1
	v_lshlrev_b32_e32 v1, 2, v18
	v_lshlrev_b32_e32 v22, 1, v1
	s_waitcnt lgkmcnt(0)
	s_mul_i32 s4, s4, s6
	s_mul_i32 s6, s4, 0x4a
	s_mul_hi_i32 s4, s4, 0x4a
	s_add_u32 s34, s0, s6
	s_addc_u32 s35, s1, s4
	s_sub_i32 s0, 0, s24
	s_mul_i32 s0, s0, s5
	s_mul_hi_u32 s0, s5, s0
	s_add_i32 s5, s5, s0
	s_mul_hi_u32 s0, s28, s5
	s_mul_i32 s1, s0, s24
	s_add_i32 s4, s0, 1
	s_sub_i32 s1, s28, s1
	s_sub_i32 s5, s1, s24
	s_cmp_ge_u32 s1, s24
	s_cselect_b32 s0, s4, s0
	s_cselect_b32 s1, s5, s1
	s_add_i32 s4, s0, 1
	s_cmp_ge_u32 s1, s24
	s_mov_b32 s1, s29
	s_cselect_b32 s0, s4, s0
	s_mul_i32 s0, s0, s27
	s_lshl_b64 s[0:1], s[0:1], 2
	s_add_u32 s0, s2, s0
	s_addc_u32 s1, s3, s1
	v_mad_u64_u32 v[10:11], null, v18, 36, s[0:1]
.LBB286_3:                              ; =>This Inner Loop Header: Depth=1
	v_add_nc_u32_e32 v1, v19, v16
	v_mad_i64_i32 v[12:13], null, v21, 36, v[10:11]
	s_getpc_b64 s[0:1]
	s_add_u32 s0, s0, _ZL10iq2xs_grid@rel32@lo+4
	s_addc_u32 s1, s1, _ZL10iq2xs_grid@rel32@hi+12
	s_getpc_b64 s[14:15]
	s_add_u32 s14, s14, _ZL12ksigns_iq2xs@rel32@lo+4
	s_addc_u32 s15, s15, _ZL12ksigns_iq2xs@rel32@hi+12
	v_mad_i64_i32 v[14:15], null, 0x4a, v1, s[34:35]
	v_add_nc_u32_e32 v16, 4, v16
	s_clause 0x2
	global_load_dwordx4 v[1:4], v[12:13], off offset:20
	global_load_dwordx4 v[5:8], v[12:13], off offset:4
	global_load_ushort v23, v[12:13], off
	v_add_nc_u32_e32 v21, 32, v21
	v_add_co_u32 v12, vcc_lo, v14, v22
	v_add_co_ci_u32_e64 v13, null, 0, v15, vcc_lo
	v_add_co_u32 v24, vcc_lo, v14, v18
	v_add_co_ci_u32_e64 v25, null, 0, v15, vcc_lo
	s_clause 0x2
	global_load_dwordx2 v[12:13], v[12:13], off offset:2
	global_load_ubyte v24, v[24:25], off offset:66
	global_load_ushort v14, v[14:15], off
	s_waitcnt vmcnt(3)
	v_cvt_f32_f16_e32 v23, v23
	s_waitcnt vmcnt(2)
	v_and_b32_e32 v15, 0x1ff, v12
	v_lshrrev_b32_e32 v25, 13, v12
	v_bfe_u32 v27, v13, 9, 7
	v_bfe_u32 v29, v12, 9, 7
	v_and_b32_e32 v26, 0x1ff, v13
	v_lshrrev_b32_e32 v28, 13, v13
	v_lshrrev_b32_e32 v30, 25, v12
	v_lshlrev_b32_e32 v31, 3, v15
	s_clause 0x1
	global_load_sbyte v33, v27, s[14:15]
	global_load_sbyte v15, v29, s[14:15]
	v_and_b32_e32 v27, 0xff8, v25
	v_lshlrev_b32_e32 v29, 3, v26
	v_and_b32_e32 v32, 0xff8, v28
	global_load_sbyte v34, v30, s[14:15]
	s_clause 0x3
	global_load_dwordx2 v[25:26], v31, s[0:1]
	global_load_dwordx2 v[27:28], v27, s[0:1]
	;; [unrolled: 1-line block ×4, first 2 shown]
	s_waitcnt vmcnt(6)
	v_and_b32_e32 v35, 1, v33
	v_and_b32_e32 v36, 2, v33
	s_waitcnt vmcnt(3)
	v_mul_i32_i24_sdwa v41, v25, sext(v5) dst_sel:DWORD dst_unused:UNUSED_PAD src0_sel:BYTE_0 src1_sel:BYTE_0
	v_mul_i32_i24_sdwa v42, v25, sext(v5) dst_sel:DWORD dst_unused:UNUSED_PAD src0_sel:BYTE_1 src1_sel:BYTE_1
	v_mul_i32_i24_sdwa v43, v25, sext(v5) dst_sel:DWORD dst_unused:UNUSED_PAD src0_sel:BYTE_2 src1_sel:BYTE_2
	v_mul_i32_i24_sdwa v5, v25, sext(v5) dst_sel:DWORD dst_unused:UNUSED_PAD src0_sel:BYTE_3 src1_sel:BYTE_3
	v_mul_i32_i24_sdwa v25, v26, sext(v6) dst_sel:DWORD dst_unused:UNUSED_PAD src0_sel:BYTE_0 src1_sel:BYTE_0
	v_mul_i32_i24_sdwa v44, v26, sext(v6) dst_sel:DWORD dst_unused:UNUSED_PAD src0_sel:BYTE_1 src1_sel:BYTE_1
	v_mul_i32_i24_sdwa v45, v26, sext(v6) dst_sel:DWORD dst_unused:UNUSED_PAD src0_sel:BYTE_2 src1_sel:BYTE_2
	v_mul_i32_i24_sdwa v6, v26, sext(v6) dst_sel:DWORD dst_unused:UNUSED_PAD src0_sel:BYTE_3 src1_sel:BYTE_3
	s_waitcnt vmcnt(2)
	v_mul_i32_i24_sdwa v26, v27, sext(v7) dst_sel:DWORD dst_unused:UNUSED_PAD src0_sel:BYTE_0 src1_sel:BYTE_0
	v_mul_i32_i24_sdwa v46, v27, sext(v7) dst_sel:DWORD dst_unused:UNUSED_PAD src0_sel:BYTE_1 src1_sel:BYTE_1
	v_mul_i32_i24_sdwa v47, v27, sext(v7) dst_sel:DWORD dst_unused:UNUSED_PAD src0_sel:BYTE_2 src1_sel:BYTE_2
	v_mul_i32_i24_sdwa v7, v27, sext(v7) dst_sel:DWORD dst_unused:UNUSED_PAD src0_sel:BYTE_3 src1_sel:BYTE_3
	v_mul_i32_i24_sdwa v27, v28, sext(v8) dst_sel:DWORD dst_unused:UNUSED_PAD src0_sel:BYTE_0 src1_sel:BYTE_0
	v_mul_i32_i24_sdwa v48, v28, sext(v8) dst_sel:DWORD dst_unused:UNUSED_PAD src0_sel:BYTE_1 src1_sel:BYTE_1
	v_mul_i32_i24_sdwa v49, v28, sext(v8) dst_sel:DWORD dst_unused:UNUSED_PAD src0_sel:BYTE_2 src1_sel:BYTE_2
	v_mul_i32_i24_sdwa v8, v28, sext(v8) dst_sel:DWORD dst_unused:UNUSED_PAD src0_sel:BYTE_3 src1_sel:BYTE_3
	s_waitcnt vmcnt(1)
	v_mul_i32_i24_sdwa v28, v29, sext(v1) dst_sel:DWORD dst_unused:UNUSED_PAD src0_sel:BYTE_0 src1_sel:BYTE_0
	v_mul_i32_i24_sdwa v50, v29, sext(v1) dst_sel:DWORD dst_unused:UNUSED_PAD src0_sel:BYTE_1 src1_sel:BYTE_1
	v_and_b32_e32 v38, 4, v33
	v_and_b32_e32 v39, 8, v33
	v_mul_i32_i24_sdwa v51, v29, sext(v1) dst_sel:DWORD dst_unused:UNUSED_PAD src0_sel:BYTE_2 src1_sel:BYTE_2
	v_mul_i32_i24_sdwa v1, v29, sext(v1) dst_sel:DWORD dst_unused:UNUSED_PAD src0_sel:BYTE_3 src1_sel:BYTE_3
	v_sub_nc_u32_e32 v61, 0, v28
	v_cmp_eq_u16_e32 vcc_lo, 0, v35
	v_sub_nc_u32_e32 v35, 0, v50
	v_cmp_eq_u16_e64 s0, 0, v36
	v_sub_nc_u32_e32 v36, 0, v51
	v_cmp_eq_u16_e64 s1, 0, v38
	v_sub_nc_u32_e32 v38, 0, v1
	v_cmp_eq_u16_e64 s2, 0, v39
	v_cndmask_b32_e32 v28, v61, v28, vcc_lo
	v_cndmask_b32_e64 v35, v35, v50, s0
	v_cndmask_b32_e64 v36, v36, v51, s1
	v_and_b32_e32 v37, 2, v15
	v_cndmask_b32_e64 v1, v38, v1, s2
	v_and_b32_e32 v40, 4, v15
	v_add_nc_u32_e32 v28, v35, v28
	v_mul_i32_i24_sdwa v29, v30, sext(v2) dst_sel:DWORD dst_unused:UNUSED_PAD src0_sel:BYTE_0 src1_sel:BYTE_0
	v_mul_i32_i24_sdwa v52, v30, sext(v2) dst_sel:DWORD dst_unused:UNUSED_PAD src0_sel:BYTE_1 src1_sel:BYTE_1
	v_mul_i32_i24_sdwa v53, v30, sext(v2) dst_sel:DWORD dst_unused:UNUSED_PAD src0_sel:BYTE_2 src1_sel:BYTE_2
	v_mul_i32_i24_sdwa v2, v30, sext(v2) dst_sel:DWORD dst_unused:UNUSED_PAD src0_sel:BYTE_3 src1_sel:BYTE_3
	v_add3_u32 v1, v28, v36, v1
	v_and_b32_e32 v28, 32, v33
	s_waitcnt vmcnt(0)
	v_mul_i32_i24_sdwa v30, v31, sext(v3) dst_sel:DWORD dst_unused:UNUSED_PAD src0_sel:BYTE_0 src1_sel:BYTE_0
	v_mul_i32_i24_sdwa v54, v31, sext(v3) dst_sel:DWORD dst_unused:UNUSED_PAD src0_sel:BYTE_1 src1_sel:BYTE_1
	v_mul_i32_i24_sdwa v55, v31, sext(v3) dst_sel:DWORD dst_unused:UNUSED_PAD src0_sel:BYTE_2 src1_sel:BYTE_2
	v_mul_i32_i24_sdwa v3, v31, sext(v3) dst_sel:DWORD dst_unused:UNUSED_PAD src0_sel:BYTE_3 src1_sel:BYTE_3
	v_cmp_eq_u16_e64 s13, 0, v28
	v_lshrrev_b32_e32 v28, 25, v13
	v_mul_i32_i24_sdwa v31, v32, sext(v4) dst_sel:DWORD dst_unused:UNUSED_PAD src0_sel:BYTE_0 src1_sel:BYTE_0
	v_mul_i32_i24_sdwa v56, v32, sext(v4) dst_sel:DWORD dst_unused:UNUSED_PAD src0_sel:BYTE_1 src1_sel:BYTE_1
	v_mul_i32_i24_sdwa v57, v32, sext(v4) dst_sel:DWORD dst_unused:UNUSED_PAD src0_sel:BYTE_2 src1_sel:BYTE_2
	v_mul_i32_i24_sdwa v4, v32, sext(v4) dst_sel:DWORD dst_unused:UNUSED_PAD src0_sel:BYTE_3 src1_sel:BYTE_3
	global_load_sbyte v28, v28, s[14:15]
	v_and_b32_e32 v32, 8, v15
	v_and_b32_e32 v58, 16, v15
	;; [unrolled: 1-line block ×3, first 2 shown]
	v_cmp_gt_i16_e64 s21, 0, v15
	v_and_b32_e32 v15, 1, v15
	v_and_b32_e32 v38, 32, v34
	;; [unrolled: 1-line block ×3, first 2 shown]
	v_sub_nc_u32_e32 v36, 0, v42
	v_cmp_eq_u16_e32 vcc_lo, 0, v37
	v_cmp_eq_u16_e64 s0, 0, v40
	v_sub_nc_u32_e32 v40, 0, v5
	v_cmp_eq_u16_e64 s1, 0, v32
	v_sub_nc_u32_e32 v69, 0, v41
	v_cmp_eq_u16_e64 s22, 0, v15
	v_and_b32_e32 v39, 2, v34
	v_sub_nc_u32_e32 v37, 0, v43
	v_cmp_eq_u16_e64 s11, 0, v38
	v_sub_nc_u32_e32 v38, 0, v29
	v_cmp_eq_u16_e64 s12, 0, v35
	v_sub_nc_u32_e32 v35, 0, v52
	v_cndmask_b32_e64 v15, v69, v41, s22
	v_cndmask_b32_e32 v36, v36, v42, vcc_lo
	v_cndmask_b32_e64 v5, v40, v5, s1
	v_sub_nc_u32_e32 v40, 0, v45
	v_cmp_gt_i16_e32 vcc_lo, 0, v12
	v_sub_nc_u32_e32 v32, 0, v25
	v_cmp_eq_u16_e64 s2, 0, v58
	v_sub_nc_u32_e32 v58, 0, v44
	v_cmp_eq_u16_e64 s3, 0, v59
	v_cmp_eq_u16_e64 s6, 0, v39
	v_sub_nc_u32_e32 v39, 0, v2
	v_cmp_gt_i16_e64 s7, 0, v33
	v_cndmask_b32_e64 v37, v37, v43, s0
	v_cndmask_b32_e32 v40, v45, v40, vcc_lo
	v_cndmask_b32_e64 v29, v38, v29, s12
	v_sub_nc_u32_e32 v38, 0, v53
	v_cmp_gt_i16_e32 vcc_lo, 0, v13
	v_cndmask_b32_e64 v35, v35, v52, s13
	v_cmp_lt_i16_sdwa s0, v13, v20 src0_sel:WORD_1 src1_sel:DWORD
	v_add_nc_u32_e32 v13, v36, v15
	v_and_b32_e32 v60, 1, v34
	v_and_b32_e32 v61, 4, v34
	;; [unrolled: 1-line block ×3, first 2 shown]
	v_sub_nc_u32_e32 v63, 0, v30
	v_sub_nc_u32_e32 v64, 0, v54
	v_cndmask_b32_e64 v25, v32, v25, s2
	v_cndmask_b32_e64 v32, v58, v44, s3
	v_cndmask_b32_e32 v36, v53, v38, vcc_lo
	v_cndmask_b32_e64 v2, v2, v39, s7
	v_add3_u32 v5, v13, v37, v5
	v_add3_u32 v1, v1, v29, v35
	v_and_b32_e32 v51, 16, v34
	v_sub_nc_u32_e32 v59, 0, v26
	v_cmp_eq_u16_e64 s4, 0, v60
	v_cmp_gt_i16_e64 s5, 0, v34
	v_sub_nc_u32_e32 v34, 0, v46
	v_cmp_eq_u16_e64 s8, 0, v61
	v_sub_nc_u32_e32 v61, 0, v7
	v_cmp_eq_u16_e64 s9, 0, v50
	v_sub_nc_u32_e32 v65, 0, v55
	v_sub_nc_u32_e32 v66, 0, v3
	v_add3_u32 v5, v5, v25, v32
	v_add3_u32 v1, v1, v36, v2
	v_sub_nc_u32_e32 v33, 0, v47
	v_sub_nc_u32_e32 v50, 0, v27
	v_cmp_eq_u16_e64 s10, 0, v51
	v_sub_nc_u32_e32 v67, 0, v31
	v_sub_nc_u32_e32 v68, 0, v56
	v_cndmask_b32_e64 v26, v59, v26, s4
	v_cndmask_b32_e64 v34, v34, v46, s6
	v_cndmask_b32_e64 v2, v61, v7, s9
	v_sub_nc_u32_e32 v51, 0, v48
	v_sub_nc_u32_e32 v41, 0, v57
	v_cndmask_b32_e64 v13, v33, v47, s8
	v_sub_nc_u32_e32 v60, 0, v8
	v_sub_nc_u32_e32 v15, 0, v49
	v_cmp_lt_i16_sdwa vcc_lo, v12, v20 src0_sel:WORD_1 src1_sel:DWORD
	v_cndmask_b32_e64 v8, v8, v60, s5
	s_waitcnt vmcnt(0)
	v_and_b32_e32 v62, 1, v28
	v_cmp_gt_i16_e64 s19, 0, v28
	v_cmp_eq_u16_e64 s14, 0, v62
	v_and_b32_e32 v62, 2, v28
	v_cndmask_b32_e64 v29, v63, v30, s14
	v_cmp_eq_u16_e64 s15, 0, v62
	v_and_b32_e32 v62, 4, v28
	v_cndmask_b32_e64 v30, v64, v54, s15
	v_cmp_eq_u16_e64 s16, 0, v62
	v_and_b32_e32 v62, 8, v28
	v_add3_u32 v1, v1, v29, v30
	v_cndmask_b32_e64 v7, v65, v55, s16
	v_cmp_eq_u16_e64 s17, 0, v62
	v_and_b32_e32 v62, 16, v28
	v_and_b32_e32 v28, 32, v28
	v_cndmask_b32_e64 v3, v66, v3, s17
	v_cmp_eq_u16_e64 s18, 0, v62
	v_cmp_eq_u16_e64 s20, 0, v28
	v_sub_nc_u32_e32 v28, 0, v6
	v_sub_nc_u32_e32 v62, 0, v4
	v_add3_u32 v1, v1, v7, v3
	v_cndmask_b32_e64 v25, v67, v31, s18
	v_cndmask_b32_e64 v3, v51, v48, s11
	;; [unrolled: 1-line block ×3, first 2 shown]
	v_lshrrev_b16 v28, 4, v24
	v_cndmask_b32_e64 v7, v57, v41, s0
	v_cndmask_b32_e64 v4, v4, v62, s19
	v_and_b32_e32 v24, 15, v24
	v_add3_u32 v5, v5, v40, v6
	v_cndmask_b32_e64 v6, v50, v27, s10
	v_cndmask_b32_e64 v27, v68, v56, s20
	v_cvt_f32_ubyte0_e32 v28, v28
	v_add3_u32 v5, v5, v26, v34
	v_add3_u32 v1, v1, v25, v27
	;; [unrolled: 1-line block ×3, first 2 shown]
	v_cndmask_b32_e32 v5, v49, v15, vcc_lo
	v_add3_u32 v1, v1, v7, v4
	v_cvt_f32_ubyte0_e32 v4, v24
	v_cmp_le_u32_e32 vcc_lo, s25, v16
	v_add3_u32 v2, v2, v6, v3
	v_cvt_f32_f16_e32 v3, v14
	v_add_f32_e32 v6, 0.5, v28
	v_cvt_f32_i32_e32 v1, v1
	v_add_f32_e32 v4, 0.5, v4
	v_add3_u32 v2, v2, v5, v8
	v_mul_f32_e32 v3, v3, v23
	s_or_b32 s29, vcc_lo, s29
	v_mul_f32_e32 v1, v6, v1
	v_cvt_f32_i32_e32 v2, v2
	v_mul_f32_e32 v3, 0x3e800000, v3
	v_fmac_f32_e32 v1, v4, v2
	v_fmac_f32_e32 v17, v3, v1
	s_andn2_b32 exec_lo, exec_lo, s29
	s_cbranch_execnz .LBB286_3
; %bb.4:
	s_or_b32 exec_lo, exec_lo, s29
.LBB286_5:
	s_or_b32 exec_lo, exec_lo, s23
	v_mbcnt_lo_u32_b32 v1, -1, 0
	v_xor_b32_e32 v2, 16, v1
	v_xor_b32_e32 v3, 8, v1
	;; [unrolled: 1-line block ×3, first 2 shown]
	v_cmp_gt_i32_e32 vcc_lo, 32, v2
	v_cndmask_b32_e32 v2, v1, v2, vcc_lo
	v_cmp_gt_i32_e32 vcc_lo, 32, v3
	v_lshlrev_b32_e32 v2, 2, v2
	v_cndmask_b32_e32 v3, v1, v3, vcc_lo
	v_cmp_gt_i32_e32 vcc_lo, 32, v4
	ds_bpermute_b32 v2, v2, v17
	v_lshlrev_b32_e32 v3, 2, v3
	v_cndmask_b32_e32 v4, v1, v4, vcc_lo
	v_lshlrev_b32_e32 v4, 2, v4
	s_waitcnt lgkmcnt(0)
	v_add_f32_e32 v2, v17, v2
	ds_bpermute_b32 v3, v3, v2
	s_waitcnt lgkmcnt(0)
	v_add_f32_e32 v2, v2, v3
	ds_bpermute_b32 v3, v4, v2
	v_xor_b32_e32 v4, 2, v1
	v_cmp_gt_i32_e32 vcc_lo, 32, v4
	v_cndmask_b32_e32 v4, v1, v4, vcc_lo
	v_lshlrev_b32_e32 v4, 2, v4
	s_waitcnt lgkmcnt(0)
	v_add_f32_e32 v2, v2, v3
	ds_bpermute_b32 v3, v4, v2
	v_xor_b32_e32 v4, 1, v1
	v_cmp_gt_i32_e32 vcc_lo, 32, v4
	v_cndmask_b32_e32 v4, v1, v4, vcc_lo
	v_cmp_eq_u32_e32 vcc_lo, 0, v0
	s_waitcnt lgkmcnt(0)
	v_add_f32_e32 v1, v2, v3
	v_lshlrev_b32_e32 v2, 2, v4
	ds_bpermute_b32 v2, v2, v1
	s_and_b32 exec_lo, exec_lo, vcc_lo
	s_cbranch_execz .LBB286_7
; %bb.6:
	s_waitcnt lgkmcnt(0)
	v_add_f32_e32 v2, v1, v2
	v_mad_u64_u32 v[0:1], null, s26, s28, v[9:10]
	v_mov_b32_e32 v1, 0
	v_mov_b32_e32 v4, 0x7fc0
	v_bfe_u32 v3, v2, 16, 1
	v_cmp_o_f32_e32 vcc_lo, v2, v2
	v_lshlrev_b64 v[0:1], 1, v[0:1]
	v_add3_u32 v2, v2, v3, 0x7fff
	v_cndmask_b32_sdwa v2, v4, v2, vcc_lo dst_sel:DWORD dst_unused:UNUSED_PAD src0_sel:DWORD src1_sel:WORD_1
	v_add_co_u32 v0, vcc_lo, s30, v0
	v_add_co_ci_u32_e64 v1, null, s31, v1, vcc_lo
	global_store_short v[0:1], v2, off
.LBB286_7:
	s_endpgm
	.section	.rodata,"a",@progbits
	.p2align	6, 0x0
	.amdhsa_kernel _ZL9moe_vec_qIN3c108BFloat16ELi256ELi8E12block_iq2_xsLi1EXadL_ZL19vec_dot_iq2_xs_q8_1PKvPK10block_q8_1RKiEEEvS4_S4_PT_PS8_iiii
		.amdhsa_group_segment_fixed_size 0
		.amdhsa_private_segment_fixed_size 0
		.amdhsa_kernarg_size 304
		.amdhsa_user_sgpr_count 6
		.amdhsa_user_sgpr_private_segment_buffer 1
		.amdhsa_user_sgpr_dispatch_ptr 0
		.amdhsa_user_sgpr_queue_ptr 0
		.amdhsa_user_sgpr_kernarg_segment_ptr 1
		.amdhsa_user_sgpr_dispatch_id 0
		.amdhsa_user_sgpr_flat_scratch_init 0
		.amdhsa_user_sgpr_private_segment_size 0
		.amdhsa_wavefront_size32 1
		.amdhsa_uses_dynamic_stack 0
		.amdhsa_system_sgpr_private_segment_wavefront_offset 0
		.amdhsa_system_sgpr_workgroup_id_x 1
		.amdhsa_system_sgpr_workgroup_id_y 0
		.amdhsa_system_sgpr_workgroup_id_z 1
		.amdhsa_system_sgpr_workgroup_info 0
		.amdhsa_system_vgpr_workitem_id 1
		.amdhsa_next_free_vgpr 70
		.amdhsa_next_free_sgpr 36
		.amdhsa_reserve_vcc 1
		.amdhsa_reserve_flat_scratch 0
		.amdhsa_float_round_mode_32 0
		.amdhsa_float_round_mode_16_64 0
		.amdhsa_float_denorm_mode_32 3
		.amdhsa_float_denorm_mode_16_64 3
		.amdhsa_dx10_clamp 1
		.amdhsa_ieee_mode 1
		.amdhsa_fp16_overflow 0
		.amdhsa_workgroup_processor_mode 1
		.amdhsa_memory_ordered 1
		.amdhsa_forward_progress 1
		.amdhsa_shared_vgpr_count 0
		.amdhsa_exception_fp_ieee_invalid_op 0
		.amdhsa_exception_fp_denorm_src 0
		.amdhsa_exception_fp_ieee_div_zero 0
		.amdhsa_exception_fp_ieee_overflow 0
		.amdhsa_exception_fp_ieee_underflow 0
		.amdhsa_exception_fp_ieee_inexact 0
		.amdhsa_exception_int_div_zero 0
	.end_amdhsa_kernel
	.section	.text._ZL9moe_vec_qIN3c108BFloat16ELi256ELi8E12block_iq2_xsLi1EXadL_ZL19vec_dot_iq2_xs_q8_1PKvPK10block_q8_1RKiEEEvS4_S4_PT_PS8_iiii,"axG",@progbits,_ZL9moe_vec_qIN3c108BFloat16ELi256ELi8E12block_iq2_xsLi1EXadL_ZL19vec_dot_iq2_xs_q8_1PKvPK10block_q8_1RKiEEEvS4_S4_PT_PS8_iiii,comdat
.Lfunc_end286:
	.size	_ZL9moe_vec_qIN3c108BFloat16ELi256ELi8E12block_iq2_xsLi1EXadL_ZL19vec_dot_iq2_xs_q8_1PKvPK10block_q8_1RKiEEEvS4_S4_PT_PS8_iiii, .Lfunc_end286-_ZL9moe_vec_qIN3c108BFloat16ELi256ELi8E12block_iq2_xsLi1EXadL_ZL19vec_dot_iq2_xs_q8_1PKvPK10block_q8_1RKiEEEvS4_S4_PT_PS8_iiii
                                        ; -- End function
	.set _ZL9moe_vec_qIN3c108BFloat16ELi256ELi8E12block_iq2_xsLi1EXadL_ZL19vec_dot_iq2_xs_q8_1PKvPK10block_q8_1RKiEEEvS4_S4_PT_PS8_iiii.num_vgpr, 70
	.set _ZL9moe_vec_qIN3c108BFloat16ELi256ELi8E12block_iq2_xsLi1EXadL_ZL19vec_dot_iq2_xs_q8_1PKvPK10block_q8_1RKiEEEvS4_S4_PT_PS8_iiii.num_agpr, 0
	.set _ZL9moe_vec_qIN3c108BFloat16ELi256ELi8E12block_iq2_xsLi1EXadL_ZL19vec_dot_iq2_xs_q8_1PKvPK10block_q8_1RKiEEEvS4_S4_PT_PS8_iiii.numbered_sgpr, 36
	.set _ZL9moe_vec_qIN3c108BFloat16ELi256ELi8E12block_iq2_xsLi1EXadL_ZL19vec_dot_iq2_xs_q8_1PKvPK10block_q8_1RKiEEEvS4_S4_PT_PS8_iiii.num_named_barrier, 0
	.set _ZL9moe_vec_qIN3c108BFloat16ELi256ELi8E12block_iq2_xsLi1EXadL_ZL19vec_dot_iq2_xs_q8_1PKvPK10block_q8_1RKiEEEvS4_S4_PT_PS8_iiii.private_seg_size, 0
	.set _ZL9moe_vec_qIN3c108BFloat16ELi256ELi8E12block_iq2_xsLi1EXadL_ZL19vec_dot_iq2_xs_q8_1PKvPK10block_q8_1RKiEEEvS4_S4_PT_PS8_iiii.uses_vcc, 1
	.set _ZL9moe_vec_qIN3c108BFloat16ELi256ELi8E12block_iq2_xsLi1EXadL_ZL19vec_dot_iq2_xs_q8_1PKvPK10block_q8_1RKiEEEvS4_S4_PT_PS8_iiii.uses_flat_scratch, 0
	.set _ZL9moe_vec_qIN3c108BFloat16ELi256ELi8E12block_iq2_xsLi1EXadL_ZL19vec_dot_iq2_xs_q8_1PKvPK10block_q8_1RKiEEEvS4_S4_PT_PS8_iiii.has_dyn_sized_stack, 0
	.set _ZL9moe_vec_qIN3c108BFloat16ELi256ELi8E12block_iq2_xsLi1EXadL_ZL19vec_dot_iq2_xs_q8_1PKvPK10block_q8_1RKiEEEvS4_S4_PT_PS8_iiii.has_recursion, 0
	.set _ZL9moe_vec_qIN3c108BFloat16ELi256ELi8E12block_iq2_xsLi1EXadL_ZL19vec_dot_iq2_xs_q8_1PKvPK10block_q8_1RKiEEEvS4_S4_PT_PS8_iiii.has_indirect_call, 0
	.section	.AMDGPU.csdata,"",@progbits
; Kernel info:
; codeLenInByte = 2100
; TotalNumSgprs: 38
; NumVgprs: 70
; ScratchSize: 0
; MemoryBound: 0
; FloatMode: 240
; IeeeMode: 1
; LDSByteSize: 0 bytes/workgroup (compile time only)
; SGPRBlocks: 0
; VGPRBlocks: 8
; NumSGPRsForWavesPerEU: 38
; NumVGPRsForWavesPerEU: 70
; Occupancy: 12
; WaveLimiterHint : 1
; COMPUTE_PGM_RSRC2:SCRATCH_EN: 0
; COMPUTE_PGM_RSRC2:USER_SGPR: 6
; COMPUTE_PGM_RSRC2:TRAP_HANDLER: 0
; COMPUTE_PGM_RSRC2:TGID_X_EN: 1
; COMPUTE_PGM_RSRC2:TGID_Y_EN: 0
; COMPUTE_PGM_RSRC2:TGID_Z_EN: 1
; COMPUTE_PGM_RSRC2:TIDIG_COMP_CNT: 1
	.section	.text._ZL9moe_vec_qIN3c108BFloat16ELi256ELi8E13block_iq3_xxsLi1EXadL_ZL20vec_dot_iq3_xxs_q8_1PKvPK10block_q8_1RKiEEEvS4_S4_PT_PS8_iiii,"axG",@progbits,_ZL9moe_vec_qIN3c108BFloat16ELi256ELi8E13block_iq3_xxsLi1EXadL_ZL20vec_dot_iq3_xxs_q8_1PKvPK10block_q8_1RKiEEEvS4_S4_PT_PS8_iiii,comdat
	.globl	_ZL9moe_vec_qIN3c108BFloat16ELi256ELi8E13block_iq3_xxsLi1EXadL_ZL20vec_dot_iq3_xxs_q8_1PKvPK10block_q8_1RKiEEEvS4_S4_PT_PS8_iiii ; -- Begin function _ZL9moe_vec_qIN3c108BFloat16ELi256ELi8E13block_iq3_xxsLi1EXadL_ZL20vec_dot_iq3_xxs_q8_1PKvPK10block_q8_1RKiEEEvS4_S4_PT_PS8_iiii
	.p2align	8
	.type	_ZL9moe_vec_qIN3c108BFloat16ELi256ELi8E13block_iq3_xxsLi1EXadL_ZL20vec_dot_iq3_xxs_q8_1PKvPK10block_q8_1RKiEEEvS4_S4_PT_PS8_iiii,@function
_ZL9moe_vec_qIN3c108BFloat16ELi256ELi8E13block_iq3_xxsLi1EXadL_ZL20vec_dot_iq3_xxs_q8_1PKvPK10block_q8_1RKiEEEvS4_S4_PT_PS8_iiii: ; @_ZL9moe_vec_qIN3c108BFloat16ELi256ELi8E13block_iq3_xxsLi1EXadL_ZL20vec_dot_iq3_xxs_q8_1PKvPK10block_q8_1RKiEEEvS4_S4_PT_PS8_iiii
; %bb.0:
	s_mov_b32 s8, s7
	s_clause 0x1
	s_load_dword s7, s[4:5], 0x3c
	s_load_dwordx4 s[0:3], s[4:5], 0x20
	s_waitcnt lgkmcnt(0)
	s_lshr_b32 s7, s7, 16
	v_mad_u64_u32 v[5:6], null, s6, s7, v[1:2]
	s_mov_b32 s6, exec_lo
	v_cmpx_gt_u32_e64 s2, v5
	s_cbranch_execz .LBB287_7
; %bb.1:
	s_load_dwordx2 s[10:11], s[4:5], 0x10
	s_ashr_i32 s6, s1, 31
	v_lshrrev_b32_e32 v8, 3, v0
	s_lshr_b32 s6, s6, 24
	v_mov_b32_e32 v9, 0
	s_add_i32 s1, s1, s6
	s_mov_b32 s12, exec_lo
	s_ashr_i32 s13, s1, 8
	v_cmpx_gt_u32_e64 s13, v8
	s_cbranch_execz .LBB287_5
; %bb.2:
	s_load_dwordx2 s[6:7], s[4:5], 0x18
	s_mov_b32 s9, 0
	v_cvt_f32_u32_e32 v1, s0
	s_lshl_b64 s[14:15], s[8:9], 2
	v_mul_lo_u32 v10, v5, s13
	v_mov_b32_e32 v9, 0
	v_lshlrev_b32_e32 v12, 3, v8
	v_rcp_iflag_f32_e32 v1, v1
	v_mov_b32_e32 v14, 2
	v_mul_f32_e32 v1, 0x4f7ffffe, v1
	s_waitcnt lgkmcnt(0)
	s_add_u32 s6, s6, s14
	s_addc_u32 s7, s7, s15
	v_cvt_u32_f32_e32 v1, v1
	s_load_dword s1, s[6:7], 0x0
	s_load_dwordx4 s[4:7], s[4:5], 0x0
	s_mul_i32 s14, s13, s2
	s_waitcnt lgkmcnt(0)
	s_mul_i32 s1, s14, s1
	v_readfirstlane_b32 s14, v1
	s_mul_i32 s15, s1, 0x62
	s_mul_hi_i32 s1, s1, 0x62
	s_add_u32 s4, s4, s15
	s_addc_u32 s5, s5, s1
	s_sub_i32 s1, 0, s0
	v_and_b32_e32 v1, 7, v0
	s_mul_i32 s1, s1, s14
	s_mul_hi_u32 s1, s14, s1
	s_add_i32 s14, s14, s1
	v_lshlrev_b32_e32 v2, 1, v1
	s_mul_hi_u32 s1, s8, s14
	v_lshlrev_b32_e32 v11, 3, v1
	s_mul_i32 s14, s1, s0
	s_add_i32 s15, s1, 1
	s_sub_i32 s14, s8, s14
	v_lshlrev_b32_e32 v13, 1, v2
	s_sub_i32 s16, s14, s0
	s_cmp_ge_u32 s14, s0
	s_cselect_b32 s1, s15, s1
	s_cselect_b32 s14, s16, s14
	s_add_i32 s15, s1, 1
	s_cmp_ge_u32 s14, s0
	s_cselect_b32 s0, s15, s1
	s_mov_b32 s1, s9
	s_mul_i32 s0, s0, s3
	s_lshl_b64 s[0:1], s[0:1], 2
	s_add_u32 s0, s6, s0
	s_addc_u32 s1, s7, s1
	v_mad_u64_u32 v[6:7], null, v1, 36, s[0:1]
.LBB287_3:                              ; =>This Inner Loop Header: Depth=1
	v_add_nc_u32_e32 v1, v10, v8
	v_mad_i64_i32 v[23:24], null, v12, 36, v[6:7]
	s_getpc_b64 s[0:1]
	s_add_u32 s0, s0, _ZL11iq3xxs_grid@rel32@lo+4
	s_addc_u32 s1, s1, _ZL11iq3xxs_grid@rel32@hi+12
	s_getpc_b64 s[6:7]
	s_add_u32 s6, s6, _ZL8ksigns64@rel32@lo+4
	s_addc_u32 s7, s7, _ZL8ksigns64@rel32@hi+12
	v_mad_i64_i32 v[19:20], null, 0x62, v1, s[4:5]
	v_add_nc_u32_e32 v8, 4, v8
	v_add_nc_u32_e32 v12, 32, v12
	v_add_co_u32 v1, vcc_lo, v19, v13
	v_add_co_ci_u32_e64 v2, null, 0, v20, vcc_lo
	v_add_co_u32 v3, vcc_lo, v19, v11
	v_add_co_ci_u32_e64 v4, null, 0, v20, vcc_lo
	s_clause 0x1
	global_load_dword v29, v[1:2], off offset:66
	global_load_dwordx2 v[21:22], v[3:4], off offset:2
	s_clause 0x1
	global_load_dwordx4 v[15:18], v[23:24], off
	global_load_dwordx4 v[1:4], v[23:24], off offset:16
	global_load_ushort v30, v[19:20], off
	v_cmp_le_u32_e32 vcc_lo, s13, v8
	s_or_b32 s9, vcc_lo, s9
	s_waitcnt vmcnt(4)
	v_and_b32_e32 v25, 0x7f, v29
	s_waitcnt vmcnt(3)
	v_lshlrev_b32_sdwa v19, v14, v21 dst_sel:DWORD dst_unused:UNUSED_PAD src0_sel:DWORD src1_sel:BYTE_0
	v_lshlrev_b32_sdwa v20, v14, v21 dst_sel:DWORD dst_unused:UNUSED_PAD src0_sel:DWORD src1_sel:BYTE_1
	v_lshrrev_b32_e32 v27, 4, v29
	v_lshlrev_b32_sdwa v26, v14, v21 dst_sel:DWORD dst_unused:UNUSED_PAD src0_sel:DWORD src1_sel:BYTE_2
	v_lshrrev_b32_e32 v32, 11, v29
	v_lshlrev_b32_sdwa v21, v14, v21 dst_sel:DWORD dst_unused:UNUSED_PAD src0_sel:DWORD src1_sel:BYTE_3
	v_lshlrev_b32_sdwa v28, v14, v22 dst_sel:DWORD dst_unused:UNUSED_PAD src0_sel:DWORD src1_sel:BYTE_0
	v_lshlrev_b32_sdwa v31, v14, v22 dst_sel:DWORD dst_unused:UNUSED_PAD src0_sel:DWORD src1_sel:BYTE_1
	v_lshlrev_b32_sdwa v33, v14, v22 dst_sel:DWORD dst_unused:UNUSED_PAD src0_sel:DWORD src1_sel:BYTE_2
	v_lshlrev_b32_sdwa v34, v14, v22 dst_sel:DWORD dst_unused:UNUSED_PAD src0_sel:DWORD src1_sel:BYTE_3
	v_lshrrev_b32_e32 v22, 18, v29
	v_lshlrev_b32_e32 v25, 3, v25
	s_clause 0x1
	global_load_dword v35, v19, s[0:1]
	global_load_dword v36, v20, s[0:1]
	v_and_b32_e32 v27, 0x3f8, v27
	s_clause 0x1
	global_load_dword v37, v26, s[0:1]
	global_load_dword v38, v21, s[0:1]
	v_and_b32_e32 v26, 0x3f8, v32
	;; [unrolled: 4-line block ×3, first 2 shown]
	global_load_dword v33, v33, s[0:1]
	s_clause 0x3
	global_load_dwordx2 v[19:20], v25, s[6:7]
	global_load_dwordx2 v[21:22], v27, s[6:7]
	;; [unrolled: 1-line block ×4, first 2 shown]
	global_load_dword v34, v34, s[0:1]
	global_load_dword v23, v[23:24], off offset:32
	v_mov_b32_e32 v24, 0
	v_lshrrev_b32_e32 v29, 28, v29
	s_waitcnt vmcnt(13)
	v_cvt_f32_f16_e32 v30, v30
	v_cvt_f32_ubyte0_e32 v29, v29
	v_add_f32_e32 v29, 0.5, v29
	s_waitcnt vmcnt(5)
	v_and_b32_e32 v39, 0xff000000, v19
	v_xor_b32_e32 v35, v19, v35
	v_and_b32_e32 v40, 0xff0000, v19
	v_and_b32_e32 v41, 0xff00, v19
	v_xor_b32_e32 v36, v20, v36
	v_and_b32_e32 v42, 0xff000000, v20
	v_and_b32_e32 v43, 0xff0000, v20
	;; [unrolled: 1-line block ×3, first 2 shown]
	v_sub_nc_u32_e32 v39, v35, v39
	v_sub_nc_u32_e32 v40, v35, v40
	;; [unrolled: 1-line block ×4, first 2 shown]
	s_waitcnt vmcnt(4)
	v_xor_b32_e32 v37, v21, v37
	v_and_b32_e32 v45, 0xff000000, v21
	v_and_b32_e32 v46, 0xff0000, v21
	;; [unrolled: 1-line block ×3, first 2 shown]
	v_xor_b32_e32 v38, v22, v38
	v_and_b32_e32 v48, 0xff000000, v22
	v_and_b32_e32 v49, 0xff0000, v22
	;; [unrolled: 1-line block ×3, first 2 shown]
	s_waitcnt vmcnt(3)
	v_xor_b32_e32 v32, v25, v32
	v_and_b32_e32 v51, 0xff000000, v25
	v_and_b32_e32 v52, 0xff0000, v25
	;; [unrolled: 1-line block ×3, first 2 shown]
	v_xor_b32_e32 v31, v26, v31
	v_and_b32_e32 v54, 0xff000000, v26
	v_and_b32_e32 v55, 0xff0000, v26
	;; [unrolled: 1-line block ×3, first 2 shown]
	s_waitcnt vmcnt(2)
	v_xor_b32_e32 v33, v27, v33
	v_and_b32_e32 v57, 0xff000000, v27
	v_and_b32_e32 v58, 0xff0000, v27
	;; [unrolled: 1-line block ×3, first 2 shown]
	s_waitcnt vmcnt(1)
	v_xor_b32_e32 v34, v28, v34
	v_and_b32_e32 v60, 0xff000000, v28
	v_and_b32_e32 v61, 0xff0000, v28
	v_sub_nc_u32_e32 v20, v36, v20
	v_and_b32_e32 v35, 0xff00, v28
	v_sub_nc_u32_e32 v42, v36, v42
	v_sub_nc_u32_e32 v43, v36, v43
	;; [unrolled: 1-line block ×3, first 2 shown]
	v_and_b32_e32 v39, 0xff000000, v39
	v_and_b32_e32 v41, 0xff00, v41
	v_perm_b32 v19, v40, v19, 0xc060c00
	v_sub_nc_u32_e32 v44, v37, v45
	v_sub_nc_u32_e32 v45, v37, v46
	;; [unrolled: 1-line block ×24, first 2 shown]
	v_and_b32_e32 v34, 0xff000000, v42
	v_and_b32_e32 v36, 0xff00, v36
	v_perm_b32 v20, v43, v20, 0xc060c00
	v_or3_b32 v19, v19, v39, v41
	v_and_b32_e32 v39, 0xff000000, v44
	v_and_b32_e32 v40, 0xff00, v46
	v_perm_b32 v21, v45, v21, 0xc060c00
	v_or3_b32 v20, v20, v34, v36
	v_dot4c_i32_i8 v24, v19, v16
	v_and_b32_e32 v16, 0xff000000, v37
	v_and_b32_e32 v19, 0xff00, v48
	v_perm_b32 v22, v47, v22, 0xc060c00
	v_or3_b32 v21, v21, v39, v40
	v_dot4c_i32_i8 v24, v20, v17
	;; [unrolled: 5-line block ×6, first 2 shown]
	v_cvt_f32_f16_e32 v3, v15
	v_mul_f32_e32 v15, v29, v30
	v_or3_b32 v2, v19, v2, v17
	v_dot4c_i32_i8 v24, v1, v4
	v_mul_f32_e32 v1, v15, v3
	s_waitcnt vmcnt(0)
	v_dot4c_i32_i8 v24, v2, v23
	v_mul_f32_e32 v1, 0.5, v1
	v_cvt_f32_i32_e32 v2, v24
	v_fmac_f32_e32 v9, v1, v2
	s_andn2_b32 exec_lo, exec_lo, s9
	s_cbranch_execnz .LBB287_3
; %bb.4:
	s_or_b32 exec_lo, exec_lo, s9
.LBB287_5:
	s_or_b32 exec_lo, exec_lo, s12
	v_mbcnt_lo_u32_b32 v1, -1, 0
	v_xor_b32_e32 v2, 16, v1
	v_xor_b32_e32 v3, 8, v1
	;; [unrolled: 1-line block ×3, first 2 shown]
	v_cmp_gt_i32_e32 vcc_lo, 32, v2
	v_cndmask_b32_e32 v2, v1, v2, vcc_lo
	v_cmp_gt_i32_e32 vcc_lo, 32, v3
	v_lshlrev_b32_e32 v2, 2, v2
	v_cndmask_b32_e32 v3, v1, v3, vcc_lo
	v_cmp_gt_i32_e32 vcc_lo, 32, v4
	ds_bpermute_b32 v2, v2, v9
	v_lshlrev_b32_e32 v3, 2, v3
	v_cndmask_b32_e32 v4, v1, v4, vcc_lo
	v_lshlrev_b32_e32 v4, 2, v4
	s_waitcnt lgkmcnt(0)
	v_add_f32_e32 v2, v9, v2
	ds_bpermute_b32 v3, v3, v2
	s_waitcnt lgkmcnt(0)
	v_add_f32_e32 v2, v2, v3
	ds_bpermute_b32 v3, v4, v2
	v_xor_b32_e32 v4, 2, v1
	v_cmp_gt_i32_e32 vcc_lo, 32, v4
	v_cndmask_b32_e32 v4, v1, v4, vcc_lo
	v_lshlrev_b32_e32 v4, 2, v4
	s_waitcnt lgkmcnt(0)
	v_add_f32_e32 v2, v2, v3
	ds_bpermute_b32 v3, v4, v2
	v_xor_b32_e32 v4, 1, v1
	v_cmp_gt_i32_e32 vcc_lo, 32, v4
	v_cndmask_b32_e32 v4, v1, v4, vcc_lo
	v_cmp_eq_u32_e32 vcc_lo, 0, v0
	s_waitcnt lgkmcnt(0)
	v_add_f32_e32 v1, v2, v3
	v_lshlrev_b32_e32 v2, 2, v4
	ds_bpermute_b32 v2, v2, v1
	s_and_b32 exec_lo, exec_lo, vcc_lo
	s_cbranch_execz .LBB287_7
; %bb.6:
	s_waitcnt lgkmcnt(0)
	v_add_f32_e32 v2, v1, v2
	v_mad_u64_u32 v[0:1], null, s2, s8, v[5:6]
	v_mov_b32_e32 v1, 0
	v_mov_b32_e32 v4, 0x7fc0
	v_bfe_u32 v3, v2, 16, 1
	v_cmp_o_f32_e32 vcc_lo, v2, v2
	v_lshlrev_b64 v[0:1], 1, v[0:1]
	v_add3_u32 v2, v2, v3, 0x7fff
	v_cndmask_b32_sdwa v2, v4, v2, vcc_lo dst_sel:DWORD dst_unused:UNUSED_PAD src0_sel:DWORD src1_sel:WORD_1
	v_add_co_u32 v0, vcc_lo, s10, v0
	v_add_co_ci_u32_e64 v1, null, s11, v1, vcc_lo
	global_store_short v[0:1], v2, off
.LBB287_7:
	s_endpgm
	.section	.rodata,"a",@progbits
	.p2align	6, 0x0
	.amdhsa_kernel _ZL9moe_vec_qIN3c108BFloat16ELi256ELi8E13block_iq3_xxsLi1EXadL_ZL20vec_dot_iq3_xxs_q8_1PKvPK10block_q8_1RKiEEEvS4_S4_PT_PS8_iiii
		.amdhsa_group_segment_fixed_size 0
		.amdhsa_private_segment_fixed_size 0
		.amdhsa_kernarg_size 304
		.amdhsa_user_sgpr_count 6
		.amdhsa_user_sgpr_private_segment_buffer 1
		.amdhsa_user_sgpr_dispatch_ptr 0
		.amdhsa_user_sgpr_queue_ptr 0
		.amdhsa_user_sgpr_kernarg_segment_ptr 1
		.amdhsa_user_sgpr_dispatch_id 0
		.amdhsa_user_sgpr_flat_scratch_init 0
		.amdhsa_user_sgpr_private_segment_size 0
		.amdhsa_wavefront_size32 1
		.amdhsa_uses_dynamic_stack 0
		.amdhsa_system_sgpr_private_segment_wavefront_offset 0
		.amdhsa_system_sgpr_workgroup_id_x 1
		.amdhsa_system_sgpr_workgroup_id_y 0
		.amdhsa_system_sgpr_workgroup_id_z 1
		.amdhsa_system_sgpr_workgroup_info 0
		.amdhsa_system_vgpr_workitem_id 1
		.amdhsa_next_free_vgpr 62
		.amdhsa_next_free_sgpr 17
		.amdhsa_reserve_vcc 1
		.amdhsa_reserve_flat_scratch 0
		.amdhsa_float_round_mode_32 0
		.amdhsa_float_round_mode_16_64 0
		.amdhsa_float_denorm_mode_32 3
		.amdhsa_float_denorm_mode_16_64 3
		.amdhsa_dx10_clamp 1
		.amdhsa_ieee_mode 1
		.amdhsa_fp16_overflow 0
		.amdhsa_workgroup_processor_mode 1
		.amdhsa_memory_ordered 1
		.amdhsa_forward_progress 1
		.amdhsa_shared_vgpr_count 0
		.amdhsa_exception_fp_ieee_invalid_op 0
		.amdhsa_exception_fp_denorm_src 0
		.amdhsa_exception_fp_ieee_div_zero 0
		.amdhsa_exception_fp_ieee_overflow 0
		.amdhsa_exception_fp_ieee_underflow 0
		.amdhsa_exception_fp_ieee_inexact 0
		.amdhsa_exception_int_div_zero 0
	.end_amdhsa_kernel
	.section	.text._ZL9moe_vec_qIN3c108BFloat16ELi256ELi8E13block_iq3_xxsLi1EXadL_ZL20vec_dot_iq3_xxs_q8_1PKvPK10block_q8_1RKiEEEvS4_S4_PT_PS8_iiii,"axG",@progbits,_ZL9moe_vec_qIN3c108BFloat16ELi256ELi8E13block_iq3_xxsLi1EXadL_ZL20vec_dot_iq3_xxs_q8_1PKvPK10block_q8_1RKiEEEvS4_S4_PT_PS8_iiii,comdat
.Lfunc_end287:
	.size	_ZL9moe_vec_qIN3c108BFloat16ELi256ELi8E13block_iq3_xxsLi1EXadL_ZL20vec_dot_iq3_xxs_q8_1PKvPK10block_q8_1RKiEEEvS4_S4_PT_PS8_iiii, .Lfunc_end287-_ZL9moe_vec_qIN3c108BFloat16ELi256ELi8E13block_iq3_xxsLi1EXadL_ZL20vec_dot_iq3_xxs_q8_1PKvPK10block_q8_1RKiEEEvS4_S4_PT_PS8_iiii
                                        ; -- End function
	.set _ZL9moe_vec_qIN3c108BFloat16ELi256ELi8E13block_iq3_xxsLi1EXadL_ZL20vec_dot_iq3_xxs_q8_1PKvPK10block_q8_1RKiEEEvS4_S4_PT_PS8_iiii.num_vgpr, 62
	.set _ZL9moe_vec_qIN3c108BFloat16ELi256ELi8E13block_iq3_xxsLi1EXadL_ZL20vec_dot_iq3_xxs_q8_1PKvPK10block_q8_1RKiEEEvS4_S4_PT_PS8_iiii.num_agpr, 0
	.set _ZL9moe_vec_qIN3c108BFloat16ELi256ELi8E13block_iq3_xxsLi1EXadL_ZL20vec_dot_iq3_xxs_q8_1PKvPK10block_q8_1RKiEEEvS4_S4_PT_PS8_iiii.numbered_sgpr, 17
	.set _ZL9moe_vec_qIN3c108BFloat16ELi256ELi8E13block_iq3_xxsLi1EXadL_ZL20vec_dot_iq3_xxs_q8_1PKvPK10block_q8_1RKiEEEvS4_S4_PT_PS8_iiii.num_named_barrier, 0
	.set _ZL9moe_vec_qIN3c108BFloat16ELi256ELi8E13block_iq3_xxsLi1EXadL_ZL20vec_dot_iq3_xxs_q8_1PKvPK10block_q8_1RKiEEEvS4_S4_PT_PS8_iiii.private_seg_size, 0
	.set _ZL9moe_vec_qIN3c108BFloat16ELi256ELi8E13block_iq3_xxsLi1EXadL_ZL20vec_dot_iq3_xxs_q8_1PKvPK10block_q8_1RKiEEEvS4_S4_PT_PS8_iiii.uses_vcc, 1
	.set _ZL9moe_vec_qIN3c108BFloat16ELi256ELi8E13block_iq3_xxsLi1EXadL_ZL20vec_dot_iq3_xxs_q8_1PKvPK10block_q8_1RKiEEEvS4_S4_PT_PS8_iiii.uses_flat_scratch, 0
	.set _ZL9moe_vec_qIN3c108BFloat16ELi256ELi8E13block_iq3_xxsLi1EXadL_ZL20vec_dot_iq3_xxs_q8_1PKvPK10block_q8_1RKiEEEvS4_S4_PT_PS8_iiii.has_dyn_sized_stack, 0
	.set _ZL9moe_vec_qIN3c108BFloat16ELi256ELi8E13block_iq3_xxsLi1EXadL_ZL20vec_dot_iq3_xxs_q8_1PKvPK10block_q8_1RKiEEEvS4_S4_PT_PS8_iiii.has_recursion, 0
	.set _ZL9moe_vec_qIN3c108BFloat16ELi256ELi8E13block_iq3_xxsLi1EXadL_ZL20vec_dot_iq3_xxs_q8_1PKvPK10block_q8_1RKiEEEvS4_S4_PT_PS8_iiii.has_indirect_call, 0
	.section	.AMDGPU.csdata,"",@progbits
; Kernel info:
; codeLenInByte = 1760
; TotalNumSgprs: 19
; NumVgprs: 62
; ScratchSize: 0
; MemoryBound: 0
; FloatMode: 240
; IeeeMode: 1
; LDSByteSize: 0 bytes/workgroup (compile time only)
; SGPRBlocks: 0
; VGPRBlocks: 7
; NumSGPRsForWavesPerEU: 19
; NumVGPRsForWavesPerEU: 62
; Occupancy: 16
; WaveLimiterHint : 1
; COMPUTE_PGM_RSRC2:SCRATCH_EN: 0
; COMPUTE_PGM_RSRC2:USER_SGPR: 6
; COMPUTE_PGM_RSRC2:TRAP_HANDLER: 0
; COMPUTE_PGM_RSRC2:TGID_X_EN: 1
; COMPUTE_PGM_RSRC2:TGID_Y_EN: 0
; COMPUTE_PGM_RSRC2:TGID_Z_EN: 1
; COMPUTE_PGM_RSRC2:TIDIG_COMP_CNT: 1
	.section	.text._ZL9moe_vec_qIN3c108BFloat16ELi256ELi8E11block_iq1_sLi1EXadL_ZL18vec_dot_iq1_s_q8_1PKvPK10block_q8_1RKiEEEvS4_S4_PT_PS8_iiii,"axG",@progbits,_ZL9moe_vec_qIN3c108BFloat16ELi256ELi8E11block_iq1_sLi1EXadL_ZL18vec_dot_iq1_s_q8_1PKvPK10block_q8_1RKiEEEvS4_S4_PT_PS8_iiii,comdat
	.globl	_ZL9moe_vec_qIN3c108BFloat16ELi256ELi8E11block_iq1_sLi1EXadL_ZL18vec_dot_iq1_s_q8_1PKvPK10block_q8_1RKiEEEvS4_S4_PT_PS8_iiii ; -- Begin function _ZL9moe_vec_qIN3c108BFloat16ELi256ELi8E11block_iq1_sLi1EXadL_ZL18vec_dot_iq1_s_q8_1PKvPK10block_q8_1RKiEEEvS4_S4_PT_PS8_iiii
	.p2align	8
	.type	_ZL9moe_vec_qIN3c108BFloat16ELi256ELi8E11block_iq1_sLi1EXadL_ZL18vec_dot_iq1_s_q8_1PKvPK10block_q8_1RKiEEEvS4_S4_PT_PS8_iiii,@function
_ZL9moe_vec_qIN3c108BFloat16ELi256ELi8E11block_iq1_sLi1EXadL_ZL18vec_dot_iq1_s_q8_1PKvPK10block_q8_1RKiEEEvS4_S4_PT_PS8_iiii: ; @_ZL9moe_vec_qIN3c108BFloat16ELi256ELi8E11block_iq1_sLi1EXadL_ZL18vec_dot_iq1_s_q8_1PKvPK10block_q8_1RKiEEEvS4_S4_PT_PS8_iiii
; %bb.0:
	s_mov_b32 s8, s7
	s_clause 0x1
	s_load_dword s7, s[4:5], 0x3c
	s_load_dwordx4 s[0:3], s[4:5], 0x20
	s_waitcnt lgkmcnt(0)
	s_lshr_b32 s7, s7, 16
	v_mad_u64_u32 v[1:2], null, s6, s7, v[1:2]
	s_mov_b32 s6, exec_lo
	v_cmpx_gt_u32_e64 s2, v1
	s_cbranch_execz .LBB288_7
; %bb.1:
	s_load_dwordx2 s[6:7], s[4:5], 0x10
	s_ashr_i32 s9, s1, 31
	v_lshrrev_b32_e32 v4, 3, v0
	s_lshr_b32 s9, s9, 24
	v_mov_b32_e32 v5, 0
	s_add_i32 s1, s1, s9
	s_ashr_i32 s10, s1, 8
	s_mov_b32 s1, exec_lo
	v_cmpx_gt_u32_e64 s10, v4
	s_cbranch_execz .LBB288_5
; %bb.2:
	s_load_dwordx2 s[12:13], s[4:5], 0x18
	s_mov_b32 s9, 0
	v_cvt_f32_u32_e32 v2, s0
	s_lshl_b64 s[14:15], s[8:9], 2
	v_and_b32_e32 v9, 7, v0
	v_mul_lo_u32 v6, v1, s10
	v_mov_b32_e32 v5, 0
	v_rcp_iflag_f32_e32 v2, v2
	v_lshlrev_b32_e32 v7, 3, v4
	v_lshlrev_b32_e32 v8, 1, v9
	;; [unrolled: 1-line block ×3, first 2 shown]
	v_mul_f32_e32 v2, 0x4f7ffffe, v2
	s_waitcnt lgkmcnt(0)
	s_add_u32 s12, s12, s14
	s_addc_u32 s13, s13, s15
	v_cvt_u32_f32_e32 v2, v2
	s_load_dword s11, s[12:13], 0x0
	s_load_dwordx4 s[12:15], s[4:5], 0x0
	s_mul_i32 s4, s10, s2
	s_waitcnt lgkmcnt(0)
	s_mul_i32 s4, s4, s11
	v_readfirstlane_b32 s11, v2
	s_mul_i32 s5, s4, 50
	s_mul_hi_i32 s16, s4, 50
	s_add_u32 s4, s12, s5
	s_addc_u32 s5, s13, s16
	s_sub_i32 s12, 0, s0
	s_mul_i32 s12, s12, s11
	s_mul_hi_u32 s12, s11, s12
	s_add_i32 s11, s11, s12
	s_mul_hi_u32 s11, s8, s11
	s_mul_i32 s12, s11, s0
	s_add_i32 s13, s11, 1
	s_sub_i32 s12, s8, s12
	s_sub_i32 s16, s12, s0
	s_cmp_ge_u32 s12, s0
	s_cselect_b32 s11, s13, s11
	s_cselect_b32 s12, s16, s12
	s_add_i32 s13, s11, 1
	s_cmp_ge_u32 s12, s0
	s_cselect_b32 s0, s13, s11
	s_mov_b32 s13, s9
	s_mul_i32 s12, s0, s3
	s_mov_b32 s0, 0xb7000000
	s_lshl_b64 s[12:13], s[12:13], 2
	s_add_u32 s12, s14, s12
	s_addc_u32 s13, s15, s13
	v_mad_u64_u32 v[2:3], null, v9, 36, s[12:13]
	v_lshlrev_b32_e32 v9, 1, v9
	s_getpc_b64 s[12:13]
	s_add_u32 s12, s12, _ZL13iq1s_grid_gpu@rel32@lo+4
	s_addc_u32 s13, s13, _ZL13iq1s_grid_gpu@rel32@hi+12
.LBB288_3:                              ; =>This Inner Loop Header: Depth=1
	v_add_nc_u32_e32 v10, v6, v4
	v_mad_i64_i32 v[18:19], null, v7, 36, v[2:3]
	v_add_nc_u32_e32 v4, 4, v4
	v_add_nc_u32_e32 v7, 32, v7
	v_mad_i64_i32 v[10:11], null, v10, 50, s[4:5]
	v_add_co_u32 v12, vcc_lo, v10, v8
	v_add_co_ci_u32_e64 v13, null, 0, v11, vcc_lo
	v_add_co_u32 v14, vcc_lo, v10, v9
	v_add_co_ci_u32_e64 v15, null, 0, v11, vcc_lo
	s_clause 0x2
	global_load_dword v16, v[12:13], off offset:2
	global_load_ushort v20, v[14:15], off offset:34
	global_load_ushort v21, v[10:11], off
	v_cmp_le_u32_e32 vcc_lo, s10, v4
	s_or_b32 s9, vcc_lo, s9
	s_waitcnt vmcnt(2)
	v_and_b32_e32 v10, 0xff, v16
	s_waitcnt vmcnt(1)
	v_lshlrev_b32_e32 v11, 8, v20
	v_bfe_u32 v14, v16, 8, 8
	v_lshlrev_b32_e32 v15, 5, v20
	v_lshrrev_b32_e32 v24, 24, v16
	v_lshrrev_b32_e32 v25, 1, v20
	v_and_or_b32 v10, 0x700, v11, v10
	v_and_or_b32 v14, 0x700, v15, v14
	v_bfe_u32 v15, v16, 16, 8
	v_and_or_b32 v24, 0x700, v25, v24
	v_lshlrev_b32_e32 v17, 3, v10
	global_load_dwordx4 v[10:13], v[18:19], off
	v_lshlrev_b32_e32 v14, 3, v14
	v_lshlrev_b32_e32 v24, 3, v24
	s_clause 0x1
	global_load_dword v22, v17, s[12:13]
	global_load_dword v23, v14, s[12:13]
	v_lshlrev_b32_e32 v17, 2, v20
	v_and_or_b32 v15, 0x700, v17, v15
	v_lshlrev_b32_e32 v26, 3, v15
	global_load_dwordx4 v[14:17], v[18:19], off offset:16
	s_clause 0x1
	global_load_dword v25, v26, s[12:13]
	global_load_dword v24, v24, s[12:13]
	global_load_dword v18, v[18:19], off offset:32
	v_mov_b32_e32 v19, 0
	s_waitcnt vmcnt(5)
	v_lshrrev_b32_e32 v26, 4, v22
	v_and_b32_e32 v22, 0xf0f0f0f, v22
	v_and_b32_e32 v26, 0xf0f0f0f, v26
	v_dot4c_i32_i8 v19, v22, v11
	s_waitcnt vmcnt(4)
	v_and_b32_e32 v11, 0xf0f0f0f, v23
	v_lshrrev_b32_e32 v22, 4, v23
	v_dot4c_i32_i8 v19, v26, v12
	v_and_b32_e32 v12, 0xf0f0f0f, v22
	v_dot4c_i32_i8 v19, v11, v13
	s_waitcnt vmcnt(2)
	v_and_b32_e32 v11, 0xf0f0f0f, v25
	v_lshrrev_b32_e32 v13, 4, v25
	v_dot4c_i32_i8 v19, v12, v14
	s_waitcnt vmcnt(1)
	v_lshrrev_b32_e32 v14, 4, v24
	v_and_b32_e32 v12, 0xf0f0f0f, v13
	v_and_b32_e32 v13, 0xf0f0f0f, v24
	v_dot4c_i32_i8 v19, v11, v15
	v_and_b32_e32 v11, 0x8000, v20
	v_and_b32_e32 v14, 0xf0f0f0f, v14
	v_dot4c_i32_i8 v19, v12, v16
	v_lshrrev_b32_e32 v12, 11, v20
	v_cvt_f32_u32_e32 v11, v11
	v_dot4c_i32_i8 v19, v13, v17
	v_cvt_f32_f16_sdwa v13, v10 dst_sel:DWORD dst_unused:UNUSED_PAD src0_sel:WORD_1
	v_and_or_b32 v12, v12, 14, 1
	v_fmaak_f32 v11, s0, v11, 0xbf600000
	s_waitcnt vmcnt(0)
	v_dot4c_i32_i8 v19, v14, v18
	v_cvt_f32_f16_e32 v14, v21
	v_cvt_f32_ubyte0_e32 v12, v12
	v_mul_f32_e32 v11, v11, v13
	v_cvt_f32_i32_e32 v13, v19
	v_mul_f32_e32 v12, v12, v14
	v_fma_mix_f32 v10, v13, v10, v11 op_sel_hi:[0,1,0]
	v_fmac_f32_e32 v5, v12, v10
	s_andn2_b32 exec_lo, exec_lo, s9
	s_cbranch_execnz .LBB288_3
; %bb.4:
	s_or_b32 exec_lo, exec_lo, s9
.LBB288_5:
	s_or_b32 exec_lo, exec_lo, s1
	v_mbcnt_lo_u32_b32 v2, -1, 0
	v_xor_b32_e32 v3, 16, v2
	v_xor_b32_e32 v4, 8, v2
	v_cmp_gt_i32_e32 vcc_lo, 32, v3
	v_cndmask_b32_e32 v3, v2, v3, vcc_lo
	v_cmp_gt_i32_e32 vcc_lo, 32, v4
	v_lshlrev_b32_e32 v3, 2, v3
	v_cndmask_b32_e32 v4, v2, v4, vcc_lo
	ds_bpermute_b32 v3, v3, v5
	v_lshlrev_b32_e32 v4, 2, v4
	s_waitcnt lgkmcnt(0)
	v_add_f32_e32 v3, v5, v3
	v_xor_b32_e32 v5, 4, v2
	ds_bpermute_b32 v4, v4, v3
	v_cmp_gt_i32_e32 vcc_lo, 32, v5
	v_cndmask_b32_e32 v5, v2, v5, vcc_lo
	v_lshlrev_b32_e32 v5, 2, v5
	s_waitcnt lgkmcnt(0)
	v_add_f32_e32 v3, v3, v4
	ds_bpermute_b32 v4, v5, v3
	v_xor_b32_e32 v5, 2, v2
	v_cmp_gt_i32_e32 vcc_lo, 32, v5
	v_cndmask_b32_e32 v5, v2, v5, vcc_lo
	v_lshlrev_b32_e32 v5, 2, v5
	s_waitcnt lgkmcnt(0)
	v_add_f32_e32 v3, v3, v4
	ds_bpermute_b32 v4, v5, v3
	v_xor_b32_e32 v5, 1, v2
	v_cmp_gt_i32_e32 vcc_lo, 32, v5
	v_cndmask_b32_e32 v5, v2, v5, vcc_lo
	v_cmp_eq_u32_e32 vcc_lo, 0, v0
	s_waitcnt lgkmcnt(0)
	v_add_f32_e32 v2, v3, v4
	v_lshlrev_b32_e32 v3, 2, v5
	ds_bpermute_b32 v3, v3, v2
	s_and_b32 exec_lo, exec_lo, vcc_lo
	s_cbranch_execz .LBB288_7
; %bb.6:
	s_waitcnt lgkmcnt(0)
	v_add_f32_e32 v2, v2, v3
	v_mov_b32_e32 v4, 0x7fc0
	v_mad_u64_u32 v[0:1], null, s2, s8, v[1:2]
	v_mov_b32_e32 v1, 0
	v_bfe_u32 v3, v2, 16, 1
	v_cmp_o_f32_e32 vcc_lo, v2, v2
	v_add3_u32 v2, v2, v3, 0x7fff
	v_lshlrev_b64 v[0:1], 1, v[0:1]
	v_cndmask_b32_sdwa v2, v4, v2, vcc_lo dst_sel:DWORD dst_unused:UNUSED_PAD src0_sel:DWORD src1_sel:WORD_1
	v_add_co_u32 v0, vcc_lo, s6, v0
	v_add_co_ci_u32_e64 v1, null, s7, v1, vcc_lo
	global_store_short v[0:1], v2, off
.LBB288_7:
	s_endpgm
	.section	.rodata,"a",@progbits
	.p2align	6, 0x0
	.amdhsa_kernel _ZL9moe_vec_qIN3c108BFloat16ELi256ELi8E11block_iq1_sLi1EXadL_ZL18vec_dot_iq1_s_q8_1PKvPK10block_q8_1RKiEEEvS4_S4_PT_PS8_iiii
		.amdhsa_group_segment_fixed_size 0
		.amdhsa_private_segment_fixed_size 0
		.amdhsa_kernarg_size 304
		.amdhsa_user_sgpr_count 6
		.amdhsa_user_sgpr_private_segment_buffer 1
		.amdhsa_user_sgpr_dispatch_ptr 0
		.amdhsa_user_sgpr_queue_ptr 0
		.amdhsa_user_sgpr_kernarg_segment_ptr 1
		.amdhsa_user_sgpr_dispatch_id 0
		.amdhsa_user_sgpr_flat_scratch_init 0
		.amdhsa_user_sgpr_private_segment_size 0
		.amdhsa_wavefront_size32 1
		.amdhsa_uses_dynamic_stack 0
		.amdhsa_system_sgpr_private_segment_wavefront_offset 0
		.amdhsa_system_sgpr_workgroup_id_x 1
		.amdhsa_system_sgpr_workgroup_id_y 0
		.amdhsa_system_sgpr_workgroup_id_z 1
		.amdhsa_system_sgpr_workgroup_info 0
		.amdhsa_system_vgpr_workitem_id 1
		.amdhsa_next_free_vgpr 27
		.amdhsa_next_free_sgpr 17
		.amdhsa_reserve_vcc 1
		.amdhsa_reserve_flat_scratch 0
		.amdhsa_float_round_mode_32 0
		.amdhsa_float_round_mode_16_64 0
		.amdhsa_float_denorm_mode_32 3
		.amdhsa_float_denorm_mode_16_64 3
		.amdhsa_dx10_clamp 1
		.amdhsa_ieee_mode 1
		.amdhsa_fp16_overflow 0
		.amdhsa_workgroup_processor_mode 1
		.amdhsa_memory_ordered 1
		.amdhsa_forward_progress 1
		.amdhsa_shared_vgpr_count 0
		.amdhsa_exception_fp_ieee_invalid_op 0
		.amdhsa_exception_fp_denorm_src 0
		.amdhsa_exception_fp_ieee_div_zero 0
		.amdhsa_exception_fp_ieee_overflow 0
		.amdhsa_exception_fp_ieee_underflow 0
		.amdhsa_exception_fp_ieee_inexact 0
		.amdhsa_exception_int_div_zero 0
	.end_amdhsa_kernel
	.section	.text._ZL9moe_vec_qIN3c108BFloat16ELi256ELi8E11block_iq1_sLi1EXadL_ZL18vec_dot_iq1_s_q8_1PKvPK10block_q8_1RKiEEEvS4_S4_PT_PS8_iiii,"axG",@progbits,_ZL9moe_vec_qIN3c108BFloat16ELi256ELi8E11block_iq1_sLi1EXadL_ZL18vec_dot_iq1_s_q8_1PKvPK10block_q8_1RKiEEEvS4_S4_PT_PS8_iiii,comdat
.Lfunc_end288:
	.size	_ZL9moe_vec_qIN3c108BFloat16ELi256ELi8E11block_iq1_sLi1EXadL_ZL18vec_dot_iq1_s_q8_1PKvPK10block_q8_1RKiEEEvS4_S4_PT_PS8_iiii, .Lfunc_end288-_ZL9moe_vec_qIN3c108BFloat16ELi256ELi8E11block_iq1_sLi1EXadL_ZL18vec_dot_iq1_s_q8_1PKvPK10block_q8_1RKiEEEvS4_S4_PT_PS8_iiii
                                        ; -- End function
	.set _ZL9moe_vec_qIN3c108BFloat16ELi256ELi8E11block_iq1_sLi1EXadL_ZL18vec_dot_iq1_s_q8_1PKvPK10block_q8_1RKiEEEvS4_S4_PT_PS8_iiii.num_vgpr, 27
	.set _ZL9moe_vec_qIN3c108BFloat16ELi256ELi8E11block_iq1_sLi1EXadL_ZL18vec_dot_iq1_s_q8_1PKvPK10block_q8_1RKiEEEvS4_S4_PT_PS8_iiii.num_agpr, 0
	.set _ZL9moe_vec_qIN3c108BFloat16ELi256ELi8E11block_iq1_sLi1EXadL_ZL18vec_dot_iq1_s_q8_1PKvPK10block_q8_1RKiEEEvS4_S4_PT_PS8_iiii.numbered_sgpr, 17
	.set _ZL9moe_vec_qIN3c108BFloat16ELi256ELi8E11block_iq1_sLi1EXadL_ZL18vec_dot_iq1_s_q8_1PKvPK10block_q8_1RKiEEEvS4_S4_PT_PS8_iiii.num_named_barrier, 0
	.set _ZL9moe_vec_qIN3c108BFloat16ELi256ELi8E11block_iq1_sLi1EXadL_ZL18vec_dot_iq1_s_q8_1PKvPK10block_q8_1RKiEEEvS4_S4_PT_PS8_iiii.private_seg_size, 0
	.set _ZL9moe_vec_qIN3c108BFloat16ELi256ELi8E11block_iq1_sLi1EXadL_ZL18vec_dot_iq1_s_q8_1PKvPK10block_q8_1RKiEEEvS4_S4_PT_PS8_iiii.uses_vcc, 1
	.set _ZL9moe_vec_qIN3c108BFloat16ELi256ELi8E11block_iq1_sLi1EXadL_ZL18vec_dot_iq1_s_q8_1PKvPK10block_q8_1RKiEEEvS4_S4_PT_PS8_iiii.uses_flat_scratch, 0
	.set _ZL9moe_vec_qIN3c108BFloat16ELi256ELi8E11block_iq1_sLi1EXadL_ZL18vec_dot_iq1_s_q8_1PKvPK10block_q8_1RKiEEEvS4_S4_PT_PS8_iiii.has_dyn_sized_stack, 0
	.set _ZL9moe_vec_qIN3c108BFloat16ELi256ELi8E11block_iq1_sLi1EXadL_ZL18vec_dot_iq1_s_q8_1PKvPK10block_q8_1RKiEEEvS4_S4_PT_PS8_iiii.has_recursion, 0
	.set _ZL9moe_vec_qIN3c108BFloat16ELi256ELi8E11block_iq1_sLi1EXadL_ZL18vec_dot_iq1_s_q8_1PKvPK10block_q8_1RKiEEEvS4_S4_PT_PS8_iiii.has_indirect_call, 0
	.section	.AMDGPU.csdata,"",@progbits
; Kernel info:
; codeLenInByte = 1116
; TotalNumSgprs: 19
; NumVgprs: 27
; ScratchSize: 0
; MemoryBound: 0
; FloatMode: 240
; IeeeMode: 1
; LDSByteSize: 0 bytes/workgroup (compile time only)
; SGPRBlocks: 0
; VGPRBlocks: 3
; NumSGPRsForWavesPerEU: 19
; NumVGPRsForWavesPerEU: 27
; Occupancy: 16
; WaveLimiterHint : 1
; COMPUTE_PGM_RSRC2:SCRATCH_EN: 0
; COMPUTE_PGM_RSRC2:USER_SGPR: 6
; COMPUTE_PGM_RSRC2:TRAP_HANDLER: 0
; COMPUTE_PGM_RSRC2:TGID_X_EN: 1
; COMPUTE_PGM_RSRC2:TGID_Y_EN: 0
; COMPUTE_PGM_RSRC2:TGID_Z_EN: 1
; COMPUTE_PGM_RSRC2:TIDIG_COMP_CNT: 1
	.section	.text._ZL9moe_vec_qIN3c108BFloat16ELi32ELi4E12block_iq4_nlLi2EXadL_ZL19vec_dot_iq4_nl_q8_1PKvPK10block_q8_1RKiEEEvS4_S4_PT_PS8_iiii,"axG",@progbits,_ZL9moe_vec_qIN3c108BFloat16ELi32ELi4E12block_iq4_nlLi2EXadL_ZL19vec_dot_iq4_nl_q8_1PKvPK10block_q8_1RKiEEEvS4_S4_PT_PS8_iiii,comdat
	.globl	_ZL9moe_vec_qIN3c108BFloat16ELi32ELi4E12block_iq4_nlLi2EXadL_ZL19vec_dot_iq4_nl_q8_1PKvPK10block_q8_1RKiEEEvS4_S4_PT_PS8_iiii ; -- Begin function _ZL9moe_vec_qIN3c108BFloat16ELi32ELi4E12block_iq4_nlLi2EXadL_ZL19vec_dot_iq4_nl_q8_1PKvPK10block_q8_1RKiEEEvS4_S4_PT_PS8_iiii
	.p2align	8
	.type	_ZL9moe_vec_qIN3c108BFloat16ELi32ELi4E12block_iq4_nlLi2EXadL_ZL19vec_dot_iq4_nl_q8_1PKvPK10block_q8_1RKiEEEvS4_S4_PT_PS8_iiii,@function
_ZL9moe_vec_qIN3c108BFloat16ELi32ELi4E12block_iq4_nlLi2EXadL_ZL19vec_dot_iq4_nl_q8_1PKvPK10block_q8_1RKiEEEvS4_S4_PT_PS8_iiii: ; @_ZL9moe_vec_qIN3c108BFloat16ELi32ELi4E12block_iq4_nlLi2EXadL_ZL19vec_dot_iq4_nl_q8_1PKvPK10block_q8_1RKiEEEvS4_S4_PT_PS8_iiii
; %bb.0:
	s_mov_b32 s8, s7
	s_clause 0x1
	s_load_dword s7, s[4:5], 0x3c
	s_load_dwordx4 s[0:3], s[4:5], 0x20
	s_waitcnt lgkmcnt(0)
	s_lshr_b32 s7, s7, 16
	v_mad_u64_u32 v[1:2], null, s6, s7, v[1:2]
	s_mov_b32 s6, exec_lo
	v_cmpx_gt_u32_e64 s2, v1
	s_cbranch_execz .LBB289_7
; %bb.1:
	v_cvt_f32_u32_e32 v2, s0
	s_load_dwordx2 s[10:11], s[4:5], 0x10
	s_ashr_i32 s6, s1, 31
	s_mov_b32 s12, exec_lo
	s_lshr_b32 s6, s6, 27
	v_rcp_iflag_f32_e32 v2, v2
	s_add_i32 s1, s1, s6
	s_ashr_i32 s13, s1, 5
	v_mul_f32_e32 v3, 0x4f7ffffe, v2
	v_lshrrev_b32_e32 v2, 1, v0
	v_cvt_u32_f32_e32 v3, v3
	v_readfirstlane_b32 s1, v3
	v_mov_b32_e32 v3, 0
	v_cmpx_gt_u32_e64 s13, v2
	s_cbranch_execz .LBB289_5
; %bb.2:
	s_load_dwordx2 s[6:7], s[4:5], 0x18
	s_sub_i32 s9, 0, s0
	v_lshlrev_b32_e32 v5, 1, v0
	s_mul_i32 s14, s9, s1
	s_mov_b32 s9, 0
	s_mul_hi_u32 s16, s1, s14
	s_lshl_b64 s[14:15], s[8:9], 2
	s_add_i32 s1, s1, s16
	v_and_b32_e32 v6, 2, v5
	s_mul_hi_u32 s1, s8, s1
	s_mul_i32 s16, s13, s2
	s_mul_i32 s17, s1, s0
	v_mul_lo_u32 v4, v1, s13
	v_lshlrev_b32_e32 v5, 1, v6
	v_mov_b32_e32 v3, 0
	v_lshlrev_b32_e32 v6, 2, v6
	v_lshlrev_b32_e32 v5, 1, v5
	s_waitcnt lgkmcnt(0)
	s_add_u32 s14, s6, s14
	s_addc_u32 s15, s7, s15
	s_load_dwordx4 s[4:7], s[4:5], 0x0
	s_load_dword s14, s[14:15], 0x0
	s_sub_i32 s17, s8, s17
	s_add_i32 s18, s1, 1
	s_sub_i32 s19, s17, s0
	s_cmp_ge_u32 s17, s0
	s_mov_b32 s15, s9
	s_cselect_b32 s1, s18, s1
	s_cselect_b32 s17, s19, s17
	s_add_i32 s18, s1, 1
	s_cmp_ge_u32 s17, s0
	s_cselect_b32 s0, s18, s1
	s_waitcnt lgkmcnt(0)
	s_mul_i32 s1, s16, s14
	s_mul_i32 s14, s0, s3
	;; [unrolled: 1-line block ×3, first 2 shown]
	s_mul_hi_i32 s1, s1, 18
	s_add_u32 s0, s4, s0
	s_addc_u32 s1, s5, s1
	s_lshl_b64 s[4:5], s[14:15], 2
	s_add_u32 s4, s6, s4
	s_addc_u32 s5, s7, s5
	s_getpc_b64 s[6:7]
	s_add_u32 s6, s6, _ZL13kvalues_iq4nl@rel32@lo+4
	s_addc_u32 s7, s7, _ZL13kvalues_iq4nl@rel32@hi+12
.LBB289_3:                              ; =>This Inner Loop Header: Depth=1
	v_add_nc_u32_e32 v7, v4, v2
	v_mad_i64_i32 v[11:12], null, v2, 36, s[4:5]
	v_add_nc_u32_e32 v2, 16, v2
	v_mad_i64_i32 v[7:8], null, v7, 18, s[0:1]
	v_add_co_u32 v9, vcc_lo, v7, v5
	v_add_co_ci_u32_e64 v10, null, 0, v8, vcc_lo
	v_add_co_u32 v13, vcc_lo, v11, v6
	v_add_co_ci_u32_e64 v14, null, 0, v12, vcc_lo
	global_load_dwordx2 v[9:10], v[9:10], off offset:2
	v_cmp_le_u32_e32 vcc_lo, s13, v2
	s_or_b32 s9, vcc_lo, s9
	s_waitcnt vmcnt(0)
	v_and_b32_e32 v16, 15, v9
	v_bfe_u32 v17, v9, 8, 4
	v_bfe_u32 v18, v9, 16, 4
	;; [unrolled: 1-line block ×5, first 2 shown]
	v_lshrrev_b32_e32 v21, 28, v9
	v_bfe_u32 v9, v9, 4, 4
	v_bfe_u32 v22, v10, 24, 4
	v_and_b32_e32 v23, 15, v10
	v_bfe_u32 v24, v10, 8, 4
	v_bfe_u32 v25, v10, 16, 4
	;; [unrolled: 1-line block ×4, first 2 shown]
	v_lshrrev_b32_e32 v28, 28, v10
	v_bfe_u32 v10, v10, 4, 4
	s_clause 0xf
	global_load_ubyte v16, v16, s[6:7]
	global_load_ubyte v17, v17, s[6:7]
	global_load_ubyte v18, v18, s[6:7]
	global_load_ubyte v29, v9, s[6:7]
	global_load_ubyte v19, v19, s[6:7]
	global_load_ubyte v20, v20, s[6:7]
	global_load_ubyte v21, v21, s[6:7]
	global_load_ubyte v15, v15, s[6:7]
	global_load_ubyte v24, v24, s[6:7]
	global_load_ubyte v25, v25, s[6:7]
	global_load_ubyte v26, v26, s[6:7]
	global_load_ubyte v27, v27, s[6:7]
	global_load_ubyte v28, v28, s[6:7]
	global_load_ubyte v22, v22, s[6:7]
	global_load_ubyte v23, v23, s[6:7]
	global_load_ubyte v30, v10, s[6:7]
	s_clause 0x2
	global_load_dwordx2 v[9:10], v[13:14], off offset:4
	global_load_dwordx2 v[13:14], v[13:14], off offset:20
	global_load_dword v11, v[11:12], off
	global_load_ushort v7, v[7:8], off
	v_mov_b32_e32 v8, 0
	v_mov_b32_e32 v12, 0
	s_waitcnt vmcnt(18)
	v_lshl_or_b32 v16, v17, 8, v16
	s_waitcnt vmcnt(17)
	v_lshlrev_b32_e32 v18, 16, v18
	s_waitcnt vmcnt(15)
	v_lshl_or_b32 v19, v19, 8, v29
	s_waitcnt vmcnt(14)
	v_lshlrev_b32_e32 v20, 16, v20
	s_waitcnt vmcnt(13)
	v_lshlrev_b32_e32 v17, 24, v21
	;; [unrolled: 2-line block ×3, first 2 shown]
	v_or3_b32 v15, v16, v18, v15
	s_waitcnt vmcnt(6)
	v_lshlrev_b32_e32 v21, 24, v22
	v_lshlrev_b32_e32 v22, 16, v25
	s_waitcnt vmcnt(5)
	v_lshl_or_b32 v23, v24, 8, v23
	v_lshlrev_b32_e32 v24, 24, v28
	v_lshlrev_b32_e32 v25, 16, v27
	s_waitcnt vmcnt(4)
	v_lshl_or_b32 v26, v26, 8, v30
	v_or3_b32 v16, v19, v20, v17
	v_or3_b32 v17, v23, v22, v21
	s_waitcnt vmcnt(3)
	v_dot4c_i32_i8 v8, v15, v9
	s_waitcnt vmcnt(1)
	v_cvt_f32_f16_e32 v9, v11
	v_or3_b32 v18, v26, v25, v24
	v_dot4c_i32_i8 v12, v16, v13
	s_waitcnt vmcnt(0)
	v_cvt_f32_f16_e32 v7, v7
	v_dot4c_i32_i8 v8, v17, v10
	v_dot4c_i32_i8 v12, v18, v14
	v_mul_f32_e32 v7, v7, v9
	v_add_nc_u32_e32 v8, v12, v8
	v_cvt_f32_i32_e32 v8, v8
	v_fmac_f32_e32 v3, v7, v8
	s_andn2_b32 exec_lo, exec_lo, s9
	s_cbranch_execnz .LBB289_3
; %bb.4:
	s_or_b32 exec_lo, exec_lo, s9
.LBB289_5:
	s_or_b32 exec_lo, exec_lo, s12
	v_mbcnt_lo_u32_b32 v2, -1, 0
	v_xor_b32_e32 v4, 16, v2
	v_xor_b32_e32 v5, 8, v2
	v_cmp_gt_i32_e32 vcc_lo, 32, v4
	v_cndmask_b32_e32 v4, v2, v4, vcc_lo
	v_cmp_gt_i32_e32 vcc_lo, 32, v5
	v_lshlrev_b32_e32 v4, 2, v4
	v_cndmask_b32_e32 v5, v2, v5, vcc_lo
	ds_bpermute_b32 v4, v4, v3
	v_lshlrev_b32_e32 v5, 2, v5
	s_waitcnt lgkmcnt(0)
	v_add_f32_e32 v3, v3, v4
	ds_bpermute_b32 v4, v5, v3
	v_xor_b32_e32 v5, 4, v2
	v_cmp_gt_i32_e32 vcc_lo, 32, v5
	v_cndmask_b32_e32 v5, v2, v5, vcc_lo
	v_lshlrev_b32_e32 v5, 2, v5
	s_waitcnt lgkmcnt(0)
	v_add_f32_e32 v3, v3, v4
	ds_bpermute_b32 v4, v5, v3
	v_xor_b32_e32 v5, 2, v2
	v_cmp_gt_i32_e32 vcc_lo, 32, v5
	v_cndmask_b32_e32 v5, v2, v5, vcc_lo
	;; [unrolled: 7-line block ×3, first 2 shown]
	v_cmp_eq_u32_e32 vcc_lo, 0, v0
	s_waitcnt lgkmcnt(0)
	v_add_f32_e32 v2, v3, v4
	v_lshlrev_b32_e32 v3, 2, v5
	ds_bpermute_b32 v3, v3, v2
	s_and_b32 exec_lo, exec_lo, vcc_lo
	s_cbranch_execz .LBB289_7
; %bb.6:
	s_waitcnt lgkmcnt(0)
	v_add_f32_e32 v2, v2, v3
	v_mov_b32_e32 v4, 0x7fc0
	v_mad_u64_u32 v[0:1], null, s2, s8, v[1:2]
	v_mov_b32_e32 v1, 0
	v_bfe_u32 v3, v2, 16, 1
	v_cmp_o_f32_e32 vcc_lo, v2, v2
	v_add3_u32 v2, v2, v3, 0x7fff
	v_lshlrev_b64 v[0:1], 1, v[0:1]
	v_cndmask_b32_sdwa v2, v4, v2, vcc_lo dst_sel:DWORD dst_unused:UNUSED_PAD src0_sel:DWORD src1_sel:WORD_1
	v_add_co_u32 v0, vcc_lo, s10, v0
	v_add_co_ci_u32_e64 v1, null, s11, v1, vcc_lo
	global_store_short v[0:1], v2, off
.LBB289_7:
	s_endpgm
	.section	.rodata,"a",@progbits
	.p2align	6, 0x0
	.amdhsa_kernel _ZL9moe_vec_qIN3c108BFloat16ELi32ELi4E12block_iq4_nlLi2EXadL_ZL19vec_dot_iq4_nl_q8_1PKvPK10block_q8_1RKiEEEvS4_S4_PT_PS8_iiii
		.amdhsa_group_segment_fixed_size 0
		.amdhsa_private_segment_fixed_size 0
		.amdhsa_kernarg_size 304
		.amdhsa_user_sgpr_count 6
		.amdhsa_user_sgpr_private_segment_buffer 1
		.amdhsa_user_sgpr_dispatch_ptr 0
		.amdhsa_user_sgpr_queue_ptr 0
		.amdhsa_user_sgpr_kernarg_segment_ptr 1
		.amdhsa_user_sgpr_dispatch_id 0
		.amdhsa_user_sgpr_flat_scratch_init 0
		.amdhsa_user_sgpr_private_segment_size 0
		.amdhsa_wavefront_size32 1
		.amdhsa_uses_dynamic_stack 0
		.amdhsa_system_sgpr_private_segment_wavefront_offset 0
		.amdhsa_system_sgpr_workgroup_id_x 1
		.amdhsa_system_sgpr_workgroup_id_y 0
		.amdhsa_system_sgpr_workgroup_id_z 1
		.amdhsa_system_sgpr_workgroup_info 0
		.amdhsa_system_vgpr_workitem_id 1
		.amdhsa_next_free_vgpr 31
		.amdhsa_next_free_sgpr 20
		.amdhsa_reserve_vcc 1
		.amdhsa_reserve_flat_scratch 0
		.amdhsa_float_round_mode_32 0
		.amdhsa_float_round_mode_16_64 0
		.amdhsa_float_denorm_mode_32 3
		.amdhsa_float_denorm_mode_16_64 3
		.amdhsa_dx10_clamp 1
		.amdhsa_ieee_mode 1
		.amdhsa_fp16_overflow 0
		.amdhsa_workgroup_processor_mode 1
		.amdhsa_memory_ordered 1
		.amdhsa_forward_progress 1
		.amdhsa_shared_vgpr_count 0
		.amdhsa_exception_fp_ieee_invalid_op 0
		.amdhsa_exception_fp_denorm_src 0
		.amdhsa_exception_fp_ieee_div_zero 0
		.amdhsa_exception_fp_ieee_overflow 0
		.amdhsa_exception_fp_ieee_underflow 0
		.amdhsa_exception_fp_ieee_inexact 0
		.amdhsa_exception_int_div_zero 0
	.end_amdhsa_kernel
	.section	.text._ZL9moe_vec_qIN3c108BFloat16ELi32ELi4E12block_iq4_nlLi2EXadL_ZL19vec_dot_iq4_nl_q8_1PKvPK10block_q8_1RKiEEEvS4_S4_PT_PS8_iiii,"axG",@progbits,_ZL9moe_vec_qIN3c108BFloat16ELi32ELi4E12block_iq4_nlLi2EXadL_ZL19vec_dot_iq4_nl_q8_1PKvPK10block_q8_1RKiEEEvS4_S4_PT_PS8_iiii,comdat
.Lfunc_end289:
	.size	_ZL9moe_vec_qIN3c108BFloat16ELi32ELi4E12block_iq4_nlLi2EXadL_ZL19vec_dot_iq4_nl_q8_1PKvPK10block_q8_1RKiEEEvS4_S4_PT_PS8_iiii, .Lfunc_end289-_ZL9moe_vec_qIN3c108BFloat16ELi32ELi4E12block_iq4_nlLi2EXadL_ZL19vec_dot_iq4_nl_q8_1PKvPK10block_q8_1RKiEEEvS4_S4_PT_PS8_iiii
                                        ; -- End function
	.set _ZL9moe_vec_qIN3c108BFloat16ELi32ELi4E12block_iq4_nlLi2EXadL_ZL19vec_dot_iq4_nl_q8_1PKvPK10block_q8_1RKiEEEvS4_S4_PT_PS8_iiii.num_vgpr, 31
	.set _ZL9moe_vec_qIN3c108BFloat16ELi32ELi4E12block_iq4_nlLi2EXadL_ZL19vec_dot_iq4_nl_q8_1PKvPK10block_q8_1RKiEEEvS4_S4_PT_PS8_iiii.num_agpr, 0
	.set _ZL9moe_vec_qIN3c108BFloat16ELi32ELi4E12block_iq4_nlLi2EXadL_ZL19vec_dot_iq4_nl_q8_1PKvPK10block_q8_1RKiEEEvS4_S4_PT_PS8_iiii.numbered_sgpr, 20
	.set _ZL9moe_vec_qIN3c108BFloat16ELi32ELi4E12block_iq4_nlLi2EXadL_ZL19vec_dot_iq4_nl_q8_1PKvPK10block_q8_1RKiEEEvS4_S4_PT_PS8_iiii.num_named_barrier, 0
	.set _ZL9moe_vec_qIN3c108BFloat16ELi32ELi4E12block_iq4_nlLi2EXadL_ZL19vec_dot_iq4_nl_q8_1PKvPK10block_q8_1RKiEEEvS4_S4_PT_PS8_iiii.private_seg_size, 0
	.set _ZL9moe_vec_qIN3c108BFloat16ELi32ELi4E12block_iq4_nlLi2EXadL_ZL19vec_dot_iq4_nl_q8_1PKvPK10block_q8_1RKiEEEvS4_S4_PT_PS8_iiii.uses_vcc, 1
	.set _ZL9moe_vec_qIN3c108BFloat16ELi32ELi4E12block_iq4_nlLi2EXadL_ZL19vec_dot_iq4_nl_q8_1PKvPK10block_q8_1RKiEEEvS4_S4_PT_PS8_iiii.uses_flat_scratch, 0
	.set _ZL9moe_vec_qIN3c108BFloat16ELi32ELi4E12block_iq4_nlLi2EXadL_ZL19vec_dot_iq4_nl_q8_1PKvPK10block_q8_1RKiEEEvS4_S4_PT_PS8_iiii.has_dyn_sized_stack, 0
	.set _ZL9moe_vec_qIN3c108BFloat16ELi32ELi4E12block_iq4_nlLi2EXadL_ZL19vec_dot_iq4_nl_q8_1PKvPK10block_q8_1RKiEEEvS4_S4_PT_PS8_iiii.has_recursion, 0
	.set _ZL9moe_vec_qIN3c108BFloat16ELi32ELi4E12block_iq4_nlLi2EXadL_ZL19vec_dot_iq4_nl_q8_1PKvPK10block_q8_1RKiEEEvS4_S4_PT_PS8_iiii.has_indirect_call, 0
	.section	.AMDGPU.csdata,"",@progbits
; Kernel info:
; codeLenInByte = 1164
; TotalNumSgprs: 22
; NumVgprs: 31
; ScratchSize: 0
; MemoryBound: 0
; FloatMode: 240
; IeeeMode: 1
; LDSByteSize: 0 bytes/workgroup (compile time only)
; SGPRBlocks: 0
; VGPRBlocks: 3
; NumSGPRsForWavesPerEU: 22
; NumVGPRsForWavesPerEU: 31
; Occupancy: 16
; WaveLimiterHint : 1
; COMPUTE_PGM_RSRC2:SCRATCH_EN: 0
; COMPUTE_PGM_RSRC2:USER_SGPR: 6
; COMPUTE_PGM_RSRC2:TRAP_HANDLER: 0
; COMPUTE_PGM_RSRC2:TGID_X_EN: 1
; COMPUTE_PGM_RSRC2:TGID_Y_EN: 0
; COMPUTE_PGM_RSRC2:TGID_Z_EN: 1
; COMPUTE_PGM_RSRC2:TIDIG_COMP_CNT: 1
	.section	.text._ZL9moe_vec_qIN3c108BFloat16ELi256ELi8E11block_iq3_sLi1EXadL_ZL18vec_dot_iq3_s_q8_1PKvPK10block_q8_1RKiEEEvS4_S4_PT_PS8_iiii,"axG",@progbits,_ZL9moe_vec_qIN3c108BFloat16ELi256ELi8E11block_iq3_sLi1EXadL_ZL18vec_dot_iq3_s_q8_1PKvPK10block_q8_1RKiEEEvS4_S4_PT_PS8_iiii,comdat
	.globl	_ZL9moe_vec_qIN3c108BFloat16ELi256ELi8E11block_iq3_sLi1EXadL_ZL18vec_dot_iq3_s_q8_1PKvPK10block_q8_1RKiEEEvS4_S4_PT_PS8_iiii ; -- Begin function _ZL9moe_vec_qIN3c108BFloat16ELi256ELi8E11block_iq3_sLi1EXadL_ZL18vec_dot_iq3_s_q8_1PKvPK10block_q8_1RKiEEEvS4_S4_PT_PS8_iiii
	.p2align	8
	.type	_ZL9moe_vec_qIN3c108BFloat16ELi256ELi8E11block_iq3_sLi1EXadL_ZL18vec_dot_iq3_s_q8_1PKvPK10block_q8_1RKiEEEvS4_S4_PT_PS8_iiii,@function
_ZL9moe_vec_qIN3c108BFloat16ELi256ELi8E11block_iq3_sLi1EXadL_ZL18vec_dot_iq3_s_q8_1PKvPK10block_q8_1RKiEEEvS4_S4_PT_PS8_iiii: ; @_ZL9moe_vec_qIN3c108BFloat16ELi256ELi8E11block_iq3_sLi1EXadL_ZL18vec_dot_iq3_s_q8_1PKvPK10block_q8_1RKiEEEvS4_S4_PT_PS8_iiii
; %bb.0:
	s_mov_b32 s8, s7
	s_clause 0x1
	s_load_dword s7, s[4:5], 0x3c
	s_load_dwordx4 s[0:3], s[4:5], 0x20
	s_waitcnt lgkmcnt(0)
	s_lshr_b32 s7, s7, 16
	v_mad_u64_u32 v[1:2], null, s6, s7, v[1:2]
	s_mov_b32 s6, exec_lo
	v_cmpx_gt_u32_e64 s2, v1
	s_cbranch_execz .LBB290_9
; %bb.1:
	s_load_dwordx2 s[10:11], s[4:5], 0x10
	s_ashr_i32 s6, s1, 31
	v_lshrrev_b32_e32 v18, 3, v0
	s_lshr_b32 s6, s6, 24
	v_mov_b32_e32 v19, 0
	s_add_i32 s1, s1, s6
	s_ashr_i32 s12, s1, 8
	s_mov_b32 s1, exec_lo
	v_cmpx_gt_u32_e64 s12, v18
	s_cbranch_execz .LBB290_7
; %bb.2:
	s_load_dwordx2 s[6:7], s[4:5], 0x18
	s_mov_b32 s9, 0
	v_cvt_f32_u32_e32 v2, s0
	s_lshl_b64 s[14:15], s[8:9], 2
	v_and_b32_e32 v21, 7, v0
	v_mul_lo_u32 v20, v1, s12
	v_mov_b32_e32 v19, 0
	v_rcp_iflag_f32_e32 v2, v2
	v_bfe_u32 v22, v0, 1, 2
	v_lshlrev_b32_e32 v3, 3, v21
	v_mov_b32_e32 v25, 0xffff
	v_add_nc_u32_e32 v24, v18, v20
	v_mul_f32_e32 v2, 0x4f7ffffe, v2
	s_waitcnt lgkmcnt(0)
	s_add_u32 s6, s6, s14
	s_addc_u32 s7, s7, s15
	v_cvt_u32_f32_e32 v2, v2
	s_load_dword s13, s[6:7], 0x0
	s_load_dwordx4 s[4:7], s[4:5], 0x0
	s_mul_i32 s14, s12, s2
	s_waitcnt lgkmcnt(0)
	s_mul_i32 s13, s14, s13
	v_readfirstlane_b32 s14, v2
	s_mul_i32 s15, s13, 0x6e
	s_mul_hi_i32 s13, s13, 0x6e
	s_add_u32 s4, s4, s15
	s_addc_u32 s5, s5, s13
	s_sub_i32 s13, 0, s0
	v_lshlrev_b32_e32 v2, 2, v0
	s_mul_i32 s13, s13, s14
	s_mov_b32 s15, s9
	s_mul_hi_u32 s13, s14, s13
	s_add_i32 s14, s14, s13
	v_and_b32_e32 v23, 4, v2
	s_mul_hi_u32 s13, s8, s14
	v_lshlrev_b32_e32 v2, 2, v21
	s_mul_i32 s14, s13, s0
	s_add_i32 s16, s13, 1
	s_sub_i32 s14, s8, s14
	s_sub_i32 s17, s14, s0
	s_cmp_ge_u32 s14, s0
	s_cselect_b32 s13, s16, s13
	s_cselect_b32 s14, s17, s14
	s_add_i32 s16, s13, 1
	s_cmp_ge_u32 s14, s0
	s_cselect_b32 s0, s16, s13
	v_add_co_u32 v2, s13, s4, v2
	s_mul_i32 s14, s0, s3
	v_add_co_ci_u32_e64 v4, null, s5, 0, s13
	s_lshl_b64 s[14:15], s[14:15], 2
	v_add_co_u32 v6, s0, s4, v3
	s_add_u32 s6, s6, s14
	v_add_co_ci_u32_e64 v7, null, s5, 0, s0
	v_add_co_u32 v2, vcc_lo, 0x4a, v2
	s_addc_u32 s7, s7, s15
	v_add_co_ci_u32_e64 v3, null, 0, v4, vcc_lo
	v_mad_u64_u32 v[4:5], null, v21, 36, s[6:7]
	v_add_co_u32 v6, vcc_lo, v6, 2
	v_add_co_ci_u32_e64 v7, null, 0, v7, vcc_lo
.LBB290_3:                              ; =>This Loop Header: Depth=1
                                        ;     Child Loop BB290_4 Depth 2
	v_add_nc_u32_e32 v8, v18, v20
	v_mad_i64_i32 v[12:13], null, 0x6e, v24, v[2:3]
	v_mad_i64_i32 v[14:15], null, 0x6e, v24, v[6:7]
	;; [unrolled: 1-line block ×3, first 2 shown]
	v_mov_b32_e32 v26, 0
	s_mov_b32 s0, 7
	v_add_co_u32 v10, vcc_lo, v8, v21
	v_add_co_ci_u32_e64 v11, null, 0, v9, vcc_lo
	global_load_ubyte v27, v[10:11], off offset:66
	v_lshlrev_b32_e32 v10, 3, v18
	v_mad_i64_i32 v[10:11], null, v10, 36, v[4:5]
	v_add_co_u32 v16, vcc_lo, v10, 4
	v_add_co_ci_u32_e64 v17, null, 0, v11, vcc_lo
.LBB290_4:                              ;   Parent Loop BB290_3 Depth=1
                                        ; =>  This Inner Loop Header: Depth=2
	global_load_ushort v28, v[14:15], off
	global_load_ubyte v30, v[12:13], off
	s_add_i32 s3, s0, 1
	s_waitcnt vmcnt(2)
	v_lshlrev_b32_e32 v29, s0, v27
	v_lshlrev_b32_e32 v31, s3, v27
	s_getpc_b64 s[6:7]
	s_add_u32 s6, s6, _ZL10iq3xs_grid@rel32@lo+4
	s_addc_u32 s7, s7, _ZL10iq3xs_grid@rel32@hi+12
	s_add_i32 s0, s0, -2
	s_cmp_lg_u32 s0, -1
	s_waitcnt vmcnt(1)
	v_and_b32_e32 v32, 0xff, v28
	v_and_b32_sdwa v28, v25, v28 dst_sel:DWORD dst_unused:UNUSED_PAD src0_sel:DWORD src1_sel:BYTE_1
	s_waitcnt vmcnt(0)
	v_and_b32_e32 v33, 15, v30
	v_lshrrev_b16 v30, 4, v30
	v_and_or_b32 v31, 0x100, v31, v32
	v_and_or_b32 v28, 0x100, v29, v28
	v_and_b32_e32 v33, 0xffff, v33
	v_and_b32_e32 v30, 0xffff, v30
	v_lshlrev_b32_e32 v29, 2, v31
	v_lshlrev_b32_e32 v28, 2, v28
	v_mul_lo_u32 v33, 0x1010101, v33
	v_mul_lo_u32 v30, 0x1010101, v30
	s_clause 0x1
	global_load_dword v31, v29, s[6:7]
	global_load_dword v32, v28, s[6:7]
	global_load_dwordx2 v[28:29], v[16:17], off
	v_add_co_u32 v16, vcc_lo, v16, 8
	v_add_co_ci_u32_e64 v17, null, 0, v17, vcc_lo
	v_not_b32_e32 v33, v33
	v_not_b32_e32 v30, v30
	v_and_b32_e32 v34, 0x8040201, v33
	v_and_b32_e32 v35, 0x40000, v33
	;; [unrolled: 1-line block ×5, first 2 shown]
	v_cmp_gt_u32_e32 vcc_lo, 0x1000000, v34
	v_and_b32_e32 v38, 0x40000, v30
	v_and_b32_e32 v39, 0x200, v30
	;; [unrolled: 1-line block ×3, first 2 shown]
	v_cndmask_b32_e64 v34, 0, -1, vcc_lo
	v_cmp_eq_u32_e32 vcc_lo, 0, v35
	v_lshlrev_b32_e32 v34, 24, v34
	v_cndmask_b32_e64 v35, 0, 0xff0000, vcc_lo
	v_cmp_eq_u32_e32 vcc_lo, 0, v36
	v_cndmask_b32_e64 v36, 0, 0xff00, vcc_lo
	v_cmp_eq_u32_e32 vcc_lo, 0, v33
	v_cndmask_b32_e64 v33, 0, 0xff, vcc_lo
	v_cmp_gt_u32_e32 vcc_lo, 0x1000000, v37
	v_or_b32_e32 v40, v36, v33
	v_cndmask_b32_e64 v37, 0, -1, vcc_lo
	v_cmp_eq_u32_e32 vcc_lo, 0, v38
	v_or3_b32 v40, v40, v35, v34
	v_lshlrev_b32_e32 v37, 24, v37
	v_cndmask_b32_e64 v38, 0, 0xff0000, vcc_lo
	v_cmp_eq_u32_e32 vcc_lo, 0, v39
	v_cndmask_b32_e64 v39, 0, 0xff00, vcc_lo
	v_cmp_eq_u32_e32 vcc_lo, 0, v30
	v_cndmask_b32_e64 v30, 0, 0xff, vcc_lo
	v_add_co_u32 v12, vcc_lo, v12, 1
	v_add_co_ci_u32_e64 v13, null, 0, v13, vcc_lo
	v_or_b32_e32 v41, v39, v30
	v_add_co_u32 v14, vcc_lo, v14, 2
	v_add_co_ci_u32_e64 v15, null, 0, v15, vcc_lo
	v_or3_b32 v41, v41, v38, v37
	s_waitcnt vmcnt(2)
	v_xor_b32_e32 v31, v40, v31
	s_waitcnt vmcnt(1)
	v_xor_b32_e32 v32, v41, v32
	v_sub_nc_u32_e32 v34, v31, v34
	v_sub_nc_u32_e32 v35, v31, v35
	;; [unrolled: 1-line block ×8, first 2 shown]
	v_and_b32_e32 v32, 0xff000000, v34
	v_and_b32_e32 v34, 0xff00, v36
	v_perm_b32 v31, v35, v31, 0xc060c00
	v_and_b32_e32 v33, 0xff000000, v33
	v_and_b32_e32 v35, 0xff00, v38
	v_perm_b32 v30, v37, v30, 0xc060c00
	v_or3_b32 v31, v31, v32, v34
	v_or3_b32 v30, v30, v33, v35
	s_waitcnt vmcnt(0)
	v_dot4c_i32_i8 v26, v31, v28
	v_dot4c_i32_i8 v26, v30, v29
	s_cbranch_scc1 .LBB290_4
; %bb.5:                                ;   in Loop: Header=BB290_3 Depth=1
	v_add_co_u32 v12, vcc_lo, v8, v22
	v_add_co_ci_u32_e64 v13, null, 0, v9, vcc_lo
	v_add_nc_u32_e32 v18, 4, v18
	v_add_nc_u32_e32 v24, 4, v24
	s_clause 0x1
	global_load_ubyte v12, v[12:13], off offset:106
	global_load_ushort v8, v[8:9], off
	global_load_dword v9, v[10:11], off
	v_cmp_le_u32_e32 vcc_lo, s12, v18
	s_or_b32 s9, vcc_lo, s9
	s_waitcnt vmcnt(2)
	v_bfe_u32 v10, v12, v23, 4
	s_waitcnt vmcnt(1)
	v_cvt_f32_f16_e32 v8, v8
	s_waitcnt vmcnt(0)
	v_cvt_f32_f16_e32 v9, v9
	v_cvt_f32_ubyte0_e32 v10, v10
	v_add_f32_e32 v10, 0.5, v10
	v_mul_f32_e32 v8, v10, v8
	v_mul_f32_e32 v8, v8, v9
	v_cvt_f32_i32_e32 v9, v26
	v_mul_f32_e32 v8, 0.5, v8
	v_fmac_f32_e32 v19, v8, v9
	s_andn2_b32 exec_lo, exec_lo, s9
	s_cbranch_execnz .LBB290_3
; %bb.6:
	s_or_b32 exec_lo, exec_lo, s9
.LBB290_7:
	s_or_b32 exec_lo, exec_lo, s1
	v_mbcnt_lo_u32_b32 v2, -1, 0
	v_xor_b32_e32 v3, 16, v2
	v_xor_b32_e32 v4, 8, v2
	;; [unrolled: 1-line block ×3, first 2 shown]
	v_cmp_gt_i32_e32 vcc_lo, 32, v3
	v_cndmask_b32_e32 v3, v2, v3, vcc_lo
	v_cmp_gt_i32_e32 vcc_lo, 32, v4
	v_lshlrev_b32_e32 v3, 2, v3
	v_cndmask_b32_e32 v4, v2, v4, vcc_lo
	v_cmp_gt_i32_e32 vcc_lo, 32, v5
	ds_bpermute_b32 v3, v3, v19
	v_lshlrev_b32_e32 v4, 2, v4
	v_cndmask_b32_e32 v5, v2, v5, vcc_lo
	v_lshlrev_b32_e32 v5, 2, v5
	s_waitcnt lgkmcnt(0)
	v_add_f32_e32 v3, v19, v3
	ds_bpermute_b32 v4, v4, v3
	s_waitcnt lgkmcnt(0)
	v_add_f32_e32 v3, v3, v4
	ds_bpermute_b32 v4, v5, v3
	v_xor_b32_e32 v5, 2, v2
	v_cmp_gt_i32_e32 vcc_lo, 32, v5
	v_cndmask_b32_e32 v5, v2, v5, vcc_lo
	v_lshlrev_b32_e32 v5, 2, v5
	s_waitcnt lgkmcnt(0)
	v_add_f32_e32 v3, v3, v4
	ds_bpermute_b32 v4, v5, v3
	v_xor_b32_e32 v5, 1, v2
	v_cmp_gt_i32_e32 vcc_lo, 32, v5
	v_cndmask_b32_e32 v5, v2, v5, vcc_lo
	v_cmp_eq_u32_e32 vcc_lo, 0, v0
	s_waitcnt lgkmcnt(0)
	v_add_f32_e32 v2, v3, v4
	v_lshlrev_b32_e32 v3, 2, v5
	ds_bpermute_b32 v3, v3, v2
	s_and_b32 exec_lo, exec_lo, vcc_lo
	s_cbranch_execz .LBB290_9
; %bb.8:
	s_waitcnt lgkmcnt(0)
	v_add_f32_e32 v2, v2, v3
	v_mov_b32_e32 v4, 0x7fc0
	v_mad_u64_u32 v[0:1], null, s2, s8, v[1:2]
	v_mov_b32_e32 v1, 0
	v_bfe_u32 v3, v2, 16, 1
	v_cmp_o_f32_e32 vcc_lo, v2, v2
	v_add3_u32 v2, v2, v3, 0x7fff
	v_lshlrev_b64 v[0:1], 1, v[0:1]
	v_cndmask_b32_sdwa v2, v4, v2, vcc_lo dst_sel:DWORD dst_unused:UNUSED_PAD src0_sel:DWORD src1_sel:WORD_1
	v_add_co_u32 v0, vcc_lo, s10, v0
	v_add_co_ci_u32_e64 v1, null, s11, v1, vcc_lo
	global_store_short v[0:1], v2, off
.LBB290_9:
	s_endpgm
	.section	.rodata,"a",@progbits
	.p2align	6, 0x0
	.amdhsa_kernel _ZL9moe_vec_qIN3c108BFloat16ELi256ELi8E11block_iq3_sLi1EXadL_ZL18vec_dot_iq3_s_q8_1PKvPK10block_q8_1RKiEEEvS4_S4_PT_PS8_iiii
		.amdhsa_group_segment_fixed_size 0
		.amdhsa_private_segment_fixed_size 0
		.amdhsa_kernarg_size 304
		.amdhsa_user_sgpr_count 6
		.amdhsa_user_sgpr_private_segment_buffer 1
		.amdhsa_user_sgpr_dispatch_ptr 0
		.amdhsa_user_sgpr_queue_ptr 0
		.amdhsa_user_sgpr_kernarg_segment_ptr 1
		.amdhsa_user_sgpr_dispatch_id 0
		.amdhsa_user_sgpr_flat_scratch_init 0
		.amdhsa_user_sgpr_private_segment_size 0
		.amdhsa_wavefront_size32 1
		.amdhsa_uses_dynamic_stack 0
		.amdhsa_system_sgpr_private_segment_wavefront_offset 0
		.amdhsa_system_sgpr_workgroup_id_x 1
		.amdhsa_system_sgpr_workgroup_id_y 0
		.amdhsa_system_sgpr_workgroup_id_z 1
		.amdhsa_system_sgpr_workgroup_info 0
		.amdhsa_system_vgpr_workitem_id 1
		.amdhsa_next_free_vgpr 42
		.amdhsa_next_free_sgpr 18
		.amdhsa_reserve_vcc 1
		.amdhsa_reserve_flat_scratch 0
		.amdhsa_float_round_mode_32 0
		.amdhsa_float_round_mode_16_64 0
		.amdhsa_float_denorm_mode_32 3
		.amdhsa_float_denorm_mode_16_64 3
		.amdhsa_dx10_clamp 1
		.amdhsa_ieee_mode 1
		.amdhsa_fp16_overflow 0
		.amdhsa_workgroup_processor_mode 1
		.amdhsa_memory_ordered 1
		.amdhsa_forward_progress 1
		.amdhsa_shared_vgpr_count 0
		.amdhsa_exception_fp_ieee_invalid_op 0
		.amdhsa_exception_fp_denorm_src 0
		.amdhsa_exception_fp_ieee_div_zero 0
		.amdhsa_exception_fp_ieee_overflow 0
		.amdhsa_exception_fp_ieee_underflow 0
		.amdhsa_exception_fp_ieee_inexact 0
		.amdhsa_exception_int_div_zero 0
	.end_amdhsa_kernel
	.section	.text._ZL9moe_vec_qIN3c108BFloat16ELi256ELi8E11block_iq3_sLi1EXadL_ZL18vec_dot_iq3_s_q8_1PKvPK10block_q8_1RKiEEEvS4_S4_PT_PS8_iiii,"axG",@progbits,_ZL9moe_vec_qIN3c108BFloat16ELi256ELi8E11block_iq3_sLi1EXadL_ZL18vec_dot_iq3_s_q8_1PKvPK10block_q8_1RKiEEEvS4_S4_PT_PS8_iiii,comdat
.Lfunc_end290:
	.size	_ZL9moe_vec_qIN3c108BFloat16ELi256ELi8E11block_iq3_sLi1EXadL_ZL18vec_dot_iq3_s_q8_1PKvPK10block_q8_1RKiEEEvS4_S4_PT_PS8_iiii, .Lfunc_end290-_ZL9moe_vec_qIN3c108BFloat16ELi256ELi8E11block_iq3_sLi1EXadL_ZL18vec_dot_iq3_s_q8_1PKvPK10block_q8_1RKiEEEvS4_S4_PT_PS8_iiii
                                        ; -- End function
	.set _ZL9moe_vec_qIN3c108BFloat16ELi256ELi8E11block_iq3_sLi1EXadL_ZL18vec_dot_iq3_s_q8_1PKvPK10block_q8_1RKiEEEvS4_S4_PT_PS8_iiii.num_vgpr, 42
	.set _ZL9moe_vec_qIN3c108BFloat16ELi256ELi8E11block_iq3_sLi1EXadL_ZL18vec_dot_iq3_s_q8_1PKvPK10block_q8_1RKiEEEvS4_S4_PT_PS8_iiii.num_agpr, 0
	.set _ZL9moe_vec_qIN3c108BFloat16ELi256ELi8E11block_iq3_sLi1EXadL_ZL18vec_dot_iq3_s_q8_1PKvPK10block_q8_1RKiEEEvS4_S4_PT_PS8_iiii.numbered_sgpr, 18
	.set _ZL9moe_vec_qIN3c108BFloat16ELi256ELi8E11block_iq3_sLi1EXadL_ZL18vec_dot_iq3_s_q8_1PKvPK10block_q8_1RKiEEEvS4_S4_PT_PS8_iiii.num_named_barrier, 0
	.set _ZL9moe_vec_qIN3c108BFloat16ELi256ELi8E11block_iq3_sLi1EXadL_ZL18vec_dot_iq3_s_q8_1PKvPK10block_q8_1RKiEEEvS4_S4_PT_PS8_iiii.private_seg_size, 0
	.set _ZL9moe_vec_qIN3c108BFloat16ELi256ELi8E11block_iq3_sLi1EXadL_ZL18vec_dot_iq3_s_q8_1PKvPK10block_q8_1RKiEEEvS4_S4_PT_PS8_iiii.uses_vcc, 1
	.set _ZL9moe_vec_qIN3c108BFloat16ELi256ELi8E11block_iq3_sLi1EXadL_ZL18vec_dot_iq3_s_q8_1PKvPK10block_q8_1RKiEEEvS4_S4_PT_PS8_iiii.uses_flat_scratch, 0
	.set _ZL9moe_vec_qIN3c108BFloat16ELi256ELi8E11block_iq3_sLi1EXadL_ZL18vec_dot_iq3_s_q8_1PKvPK10block_q8_1RKiEEEvS4_S4_PT_PS8_iiii.has_dyn_sized_stack, 0
	.set _ZL9moe_vec_qIN3c108BFloat16ELi256ELi8E11block_iq3_sLi1EXadL_ZL18vec_dot_iq3_s_q8_1PKvPK10block_q8_1RKiEEEvS4_S4_PT_PS8_iiii.has_recursion, 0
	.set _ZL9moe_vec_qIN3c108BFloat16ELi256ELi8E11block_iq3_sLi1EXadL_ZL18vec_dot_iq3_s_q8_1PKvPK10block_q8_1RKiEEEvS4_S4_PT_PS8_iiii.has_indirect_call, 0
	.section	.AMDGPU.csdata,"",@progbits
; Kernel info:
; codeLenInByte = 1520
; TotalNumSgprs: 20
; NumVgprs: 42
; ScratchSize: 0
; MemoryBound: 0
; FloatMode: 240
; IeeeMode: 1
; LDSByteSize: 0 bytes/workgroup (compile time only)
; SGPRBlocks: 0
; VGPRBlocks: 5
; NumSGPRsForWavesPerEU: 20
; NumVGPRsForWavesPerEU: 42
; Occupancy: 16
; WaveLimiterHint : 1
; COMPUTE_PGM_RSRC2:SCRATCH_EN: 0
; COMPUTE_PGM_RSRC2:USER_SGPR: 6
; COMPUTE_PGM_RSRC2:TRAP_HANDLER: 0
; COMPUTE_PGM_RSRC2:TGID_X_EN: 1
; COMPUTE_PGM_RSRC2:TGID_Y_EN: 0
; COMPUTE_PGM_RSRC2:TGID_Z_EN: 1
; COMPUTE_PGM_RSRC2:TIDIG_COMP_CNT: 1
	.section	.text._ZL9moe_vec_qIN3c108BFloat16ELi256ELi8E11block_iq2_sLi1EXadL_ZL18vec_dot_iq2_s_q8_1PKvPK10block_q8_1RKiEEEvS4_S4_PT_PS8_iiii,"axG",@progbits,_ZL9moe_vec_qIN3c108BFloat16ELi256ELi8E11block_iq2_sLi1EXadL_ZL18vec_dot_iq2_s_q8_1PKvPK10block_q8_1RKiEEEvS4_S4_PT_PS8_iiii,comdat
	.globl	_ZL9moe_vec_qIN3c108BFloat16ELi256ELi8E11block_iq2_sLi1EXadL_ZL18vec_dot_iq2_s_q8_1PKvPK10block_q8_1RKiEEEvS4_S4_PT_PS8_iiii ; -- Begin function _ZL9moe_vec_qIN3c108BFloat16ELi256ELi8E11block_iq2_sLi1EXadL_ZL18vec_dot_iq2_s_q8_1PKvPK10block_q8_1RKiEEEvS4_S4_PT_PS8_iiii
	.p2align	8
	.type	_ZL9moe_vec_qIN3c108BFloat16ELi256ELi8E11block_iq2_sLi1EXadL_ZL18vec_dot_iq2_s_q8_1PKvPK10block_q8_1RKiEEEvS4_S4_PT_PS8_iiii,@function
_ZL9moe_vec_qIN3c108BFloat16ELi256ELi8E11block_iq2_sLi1EXadL_ZL18vec_dot_iq2_s_q8_1PKvPK10block_q8_1RKiEEEvS4_S4_PT_PS8_iiii: ; @_ZL9moe_vec_qIN3c108BFloat16ELi256ELi8E11block_iq2_sLi1EXadL_ZL18vec_dot_iq2_s_q8_1PKvPK10block_q8_1RKiEEEvS4_S4_PT_PS8_iiii
; %bb.0:
	s_mov_b32 s8, s7
	s_clause 0x1
	s_load_dword s7, s[4:5], 0x3c
	s_load_dwordx4 s[0:3], s[4:5], 0x20
	s_waitcnt lgkmcnt(0)
	s_lshr_b32 s7, s7, 16
	v_mad_u64_u32 v[5:6], null, s6, s7, v[1:2]
	s_mov_b32 s6, exec_lo
	v_cmpx_gt_u32_e64 s2, v5
	s_cbranch_execz .LBB291_7
; %bb.1:
	s_load_dwordx2 s[6:7], s[4:5], 0x10
	s_ashr_i32 s9, s1, 31
	v_lshrrev_b32_e32 v12, 3, v0
	s_lshr_b32 s9, s9, 24
	v_mov_b32_e32 v13, 0
	s_add_i32 s1, s1, s9
	s_mov_b32 s10, exec_lo
	s_ashr_i32 s11, s1, 8
	v_cmpx_gt_u32_e64 s11, v12
	s_cbranch_execz .LBB291_5
; %bb.2:
	s_load_dwordx2 s[12:13], s[4:5], 0x18
	s_mov_b32 s9, 0
	v_cvt_f32_u32_e32 v1, s0
	s_lshl_b64 s[14:15], s[8:9], 2
	v_and_b32_e32 v14, 7, v0
	v_mul_lo_u32 v15, v5, s11
	v_mov_b32_e32 v13, 0
	v_rcp_iflag_f32_e32 v1, v1
	v_lshlrev_b32_e32 v17, 3, v12
	v_lshlrev_b32_e32 v16, 2, v14
	v_mul_f32_e32 v1, 0x4f7ffffe, v1
	s_waitcnt lgkmcnt(0)
	s_add_u32 s12, s12, s14
	s_addc_u32 s13, s13, s15
	v_cvt_u32_f32_e32 v1, v1
	s_load_dword s1, s[12:13], 0x0
	s_load_dwordx4 s[12:15], s[4:5], 0x0
	s_mul_i32 s4, s11, s2
	v_readfirstlane_b32 s16, v1
	s_waitcnt lgkmcnt(0)
	s_mul_i32 s1, s4, s1
	s_mul_i32 s4, s1, 0x52
	s_mul_hi_i32 s1, s1, 0x52
	s_add_u32 s4, s12, s4
	s_addc_u32 s5, s13, s1
	s_sub_i32 s1, 0, s0
	s_mul_i32 s1, s1, s16
	s_mul_hi_u32 s1, s16, s1
	s_add_i32 s16, s16, s1
	s_mul_hi_u32 s1, s8, s16
	s_mul_i32 s12, s1, s0
	s_add_i32 s13, s1, 1
	s_sub_i32 s12, s8, s12
	s_sub_i32 s16, s12, s0
	s_cmp_ge_u32 s12, s0
	s_cselect_b32 s1, s13, s1
	s_cselect_b32 s12, s16, s12
	s_add_i32 s13, s1, 1
	s_cmp_ge_u32 s12, s0
	s_cselect_b32 s0, s13, s1
	s_mov_b32 s1, s9
	s_mul_i32 s0, s0, s3
	s_lshl_b64 s[0:1], s[0:1], 2
	s_add_u32 s0, s14, s0
	s_addc_u32 s1, s15, s1
	v_mad_u64_u32 v[6:7], null, v14, 36, s[0:1]
.LBB291_3:                              ; =>This Inner Loop Header: Depth=1
	v_add_nc_u32_e32 v1, v15, v12
	v_mad_i64_i32 v[10:11], null, v17, 36, v[6:7]
	s_getpc_b64 s[0:1]
	s_add_u32 s0, s0, _ZL9iq2s_grid@rel32@lo+4
	s_addc_u32 s1, s1, _ZL9iq2s_grid@rel32@hi+12
	v_add_nc_u32_e32 v12, 4, v12
	v_mad_i64_i32 v[8:9], null, 0x52, v1, s[4:5]
	v_add_nc_u32_e32 v17, 32, v17
	s_clause 0x1
	global_load_dwordx4 v[1:4], v[10:11], off
	global_load_dword v18, v[10:11], off offset:32
	v_add_co_u32 v19, vcc_lo, v8, v16
	v_add_co_ci_u32_e64 v20, null, 0, v9, vcc_lo
	v_add_co_u32 v21, vcc_lo, v8, v14
	v_add_co_ci_u32_e64 v22, null, 0, v9, vcc_lo
	s_clause 0x3
	global_load_dword v23, v[19:20], off offset:2
	global_load_ubyte v24, v[21:22], off offset:66
	global_load_dword v20, v[19:20], off offset:34
	global_load_ubyte v19, v[21:22], off offset:74
	s_waitcnt vmcnt(5)
	v_cvt_f32_f16_e32 v1, v1
	s_waitcnt vmcnt(3)
	v_and_b32_e32 v22, 0xff, v23
	s_waitcnt vmcnt(2)
	v_lshlrev_b32_e32 v25, 8, v24
	s_waitcnt vmcnt(1)
	v_and_b32_e32 v28, 15, v20
	v_lshrrev_b16 v29, 4, v20
	v_bfe_u32 v30, v23, 8, 8
	v_lshlrev_b32_e32 v31, 6, v24
	v_lshrrev_b32_e32 v21, 24, v23
	v_lshrrev_b32_e32 v26, 8, v20
	;; [unrolled: 1-line block ×3, first 2 shown]
	v_bfe_u32 v32, v20, 8, 4
	v_bfe_u32 v23, v23, 16, 8
	v_lshlrev_b32_e32 v33, 4, v24
	v_bfe_u32 v34, v20, 16, 4
	v_bfe_u32 v35, v20, 20, 4
	;; [unrolled: 1-line block ×3, first 2 shown]
	v_lshlrev_b32_e32 v24, 2, v24
	v_and_or_b32 v22, 0x300, v25, v22
	v_mul_lo_u32 v25, 0x1010101, v28
	v_and_b32_e32 v28, 15, v29
	v_and_or_b32 v29, 0x300, v31, v30
	v_lshrrev_b16 v26, 4, v26
	v_and_or_b32 v23, 0x300, v33, v23
	v_mul_lo_u32 v20, 0x1010101, v20
	v_and_or_b32 v21, 0x300, v24, v21
	v_lshrrev_b16 v24, 4, v27
	v_lshlrev_b32_e32 v22, 3, v22
	v_lshlrev_b32_e32 v27, 3, v29
	v_and_b32_e32 v29, 15, v26
	v_lshlrev_b32_e32 v26, 3, v23
	v_lshlrev_b32_e32 v33, 3, v21
	v_mul_lo_u32 v30, 0x1010101, v32
	v_mul_lo_u32 v31, 0x1010101, v34
	;; [unrolled: 1-line block ×3, first 2 shown]
	v_and_b32_e32 v34, 0xffff, v24
	v_not_b32_e32 v35, v25
	v_not_b32_e32 v36, v20
	s_clause 0x3
	global_load_dwordx2 v[20:21], v22, s[0:1]
	global_load_dwordx2 v[22:23], v27, s[0:1]
	;; [unrolled: 1-line block ×4, first 2 shown]
	v_and_b32_e32 v28, 0xffff, v28
	v_mul_lo_u32 v33, 0x1010101, v34
	v_and_b32_e32 v34, 0x8040201, v35
	v_and_b32_e32 v37, 0x40000, v35
	;; [unrolled: 1-line block ×3, first 2 shown]
	v_not_b32_e32 v30, v30
	v_and_b32_e32 v35, 1, v35
	v_cmp_gt_u32_e32 vcc_lo, 0x1000000, v34
	v_not_b32_e32 v31, v31
	v_not_b32_e32 v32, v32
	v_and_b32_e32 v39, 0x8040201, v30
	v_and_b32_e32 v40, 0x40000, v30
	v_cndmask_b32_e64 v34, 0, -1, vcc_lo
	v_cmp_eq_u32_e32 vcc_lo, 0, v37
	v_and_b32_e32 v41, 0x200, v30
	v_and_b32_e32 v30, 1, v30
	v_and_b32_e32 v42, 0x8040201, v31
	v_and_b32_e32 v43, 0x40000, v31
	v_cndmask_b32_e64 v37, 0, 0xff0000, vcc_lo
	v_cmp_eq_u32_e32 vcc_lo, 0, v38
	v_and_b32_e32 v44, 0x200, v31
	v_and_b32_e32 v31, 1, v31
	v_and_b32_e32 v45, 0x8040201, v32
	v_and_b32_e32 v46, 0x40000, v32
	v_cndmask_b32_e64 v38, 0, 0xff00, vcc_lo
	;; [unrolled: 6-line block ×3, first 2 shown]
	v_cmp_gt_u32_e32 vcc_lo, 0x1000000, v39
	v_mul_lo_u32 v28, 0x1010101, v28
	v_and_b32_e32 v50, 0x200, v36
	v_and_b32_e32 v36, 1, v36
	;; [unrolled: 1-line block ×3, first 2 shown]
	v_cndmask_b32_e64 v39, 0, -1, vcc_lo
	v_cmp_eq_u32_e32 vcc_lo, 0, v40
	v_lshlrev_b32_e32 v34, 24, v34
	v_or_b32_e32 v51, v38, v35
	v_not_b32_e32 v28, v28
	v_mul_lo_u32 v29, 0x1010101, v29
	v_cndmask_b32_e64 v40, 0, 0xff0000, vcc_lo
	v_cmp_eq_u32_e32 vcc_lo, 0, v41
	v_not_b32_e32 v33, v33
	v_and_b32_e32 v52, 0x8040201, v28
	v_and_b32_e32 v53, 0x40000, v28
	;; [unrolled: 1-line block ×3, first 2 shown]
	v_cndmask_b32_e64 v41, 0, 0xff00, vcc_lo
	v_cmp_eq_u32_e32 vcc_lo, 0, v30
	v_not_b32_e32 v29, v29
	v_and_b32_e32 v28, 1, v28
	v_lshlrev_b32_e32 v39, 24, v39
	v_or3_b32 v51, v51, v37, v34
	v_cndmask_b32_e64 v30, 0, 0xff, vcc_lo
	v_cmp_gt_u32_e32 vcc_lo, 0x1000000, v42
	v_and_b32_e32 v60, 0x8040201, v29
	v_and_b32_e32 v61, 0x200, v29
	;; [unrolled: 1-line block ×4, first 2 shown]
	v_cndmask_b32_e64 v42, 0, -1, vcc_lo
	v_cmp_eq_u32_e32 vcc_lo, 0, v43
	v_cmp_gt_u32_e64 s0, 0x1000000, v60
	v_or_b32_e32 v55, v41, v30
	v_and_b32_e32 v58, 0x40000, v33
	v_lshlrev_b32_e32 v42, 24, v42
	v_cndmask_b32_e64 v43, 0, 0xff0000, vcc_lo
	v_cmp_eq_u32_e32 vcc_lo, 0, v44
	v_cndmask_b32_e64 v60, 0, -1, s0
	v_cmp_eq_u32_e64 s0, 0, v61
	v_or3_b32 v55, v55, v40, v39
	v_cndmask_b32_e64 v44, 0, 0xff00, vcc_lo
	v_cmp_eq_u32_e32 vcc_lo, 0, v31
	v_cndmask_b32_e64 v61, 0, 0xff00, s0
	v_cmp_eq_u32_e64 s0, 0, v29
	v_lshlrev_b32_e32 v60, 24, v60
	v_cndmask_b32_e64 v31, 0, 0xff, vcc_lo
	v_cmp_gt_u32_e32 vcc_lo, 0x1000000, v45
	v_cndmask_b32_e64 v29, 0, 0xff, s0
	v_or_b32_e32 v56, v44, v31
	v_cndmask_b32_e64 v45, 0, -1, vcc_lo
	v_cmp_eq_u32_e32 vcc_lo, 0, v46
	v_lshlrev_b32_e32 v45, 24, v45
	v_cndmask_b32_e64 v46, 0, 0xff0000, vcc_lo
	v_cmp_eq_u32_e32 vcc_lo, 0, v47
	v_cndmask_b32_e64 v47, 0, 0xff00, vcc_lo
	v_cmp_eq_u32_e32 vcc_lo, 0, v32
	v_cndmask_b32_e64 v32, 0, 0xff, vcc_lo
	v_cmp_gt_u32_e32 vcc_lo, 0x1000000, v48
	v_or_b32_e32 v57, v47, v32
	v_cndmask_b32_e64 v48, 0, -1, vcc_lo
	v_cmp_eq_u32_e32 vcc_lo, 0, v49
	v_lshlrev_b32_e32 v48, 24, v48
	v_cndmask_b32_e64 v49, 0, 0xff0000, vcc_lo
	v_cmp_eq_u32_e32 vcc_lo, 0, v50
	v_cndmask_b32_e64 v50, 0, 0xff00, vcc_lo
	v_cmp_eq_u32_e32 vcc_lo, 0, v36
	v_cndmask_b32_e64 v36, 0, 0xff, vcc_lo
	v_cmp_gt_u32_e32 vcc_lo, 0x1000000, v52
	v_cndmask_b32_e64 v52, 0, -1, vcc_lo
	v_cmp_eq_u32_e32 vcc_lo, 0, v53
	v_lshlrev_b32_e32 v52, 24, v52
	v_cndmask_b32_e64 v53, 0, 0xff0000, vcc_lo
	v_cmp_eq_u32_e32 vcc_lo, 0, v54
	v_cndmask_b32_e64 v54, 0, 0xff00, vcc_lo
	v_cmp_eq_u32_e32 vcc_lo, 0, v28
	;; [unrolled: 2-line block ×3, first 2 shown]
	v_or_b32_e32 v59, v54, v28
	v_cndmask_b32_e64 v62, 0, 0xff0000, vcc_lo
	v_cmp_eq_u32_e32 vcc_lo, 0, v58
	v_or3_b32 v59, v59, v53, v52
	s_waitcnt vmcnt(3)
	v_xor_b32_e32 v51, v51, v20
	v_xor_b32_e32 v59, v59, v21
	v_or_b32_e32 v20, v61, v29
	v_and_b32_e32 v21, 0x8040201, v33
	s_waitcnt vmcnt(2)
	v_xor_b32_e32 v55, v55, v22
	v_and_b32_e32 v22, 0x200, v33
	v_sub_nc_u32_e32 v35, v51, v35
	v_or3_b32 v20, v20, v62, v60
	v_cmp_gt_u32_e64 s0, 0x1000000, v21
	v_sub_nc_u32_e32 v40, v55, v40
	v_sub_nc_u32_e32 v30, v55, v30
	;; [unrolled: 1-line block ×3, first 2 shown]
	v_xor_b32_e32 v63, v20, v23
	v_and_b32_e32 v23, 1, v33
	v_cndmask_b32_e64 v21, 0, -1, s0
	v_cmp_eq_u32_e64 s0, 0, v22
	v_or3_b32 v33, v56, v43, v42
	v_or3_b32 v56, v57, v46, v45
	v_or_b32_e32 v20, v50, v36
	v_perm_b32 v30, v40, v30, 0xc060c00
	v_cndmask_b32_e64 v57, 0, 0xff00, s0
	v_cmp_eq_u32_e64 s0, 0, v23
	s_waitcnt vmcnt(1)
	v_xor_b32_e32 v24, v33, v24
	v_xor_b32_e32 v25, v56, v25
	v_cndmask_b32_e64 v33, 0, 0xff0000, vcc_lo
	v_lshlrev_b32_e32 v56, 24, v21
	v_cndmask_b32_e64 v58, 0, 0xff, s0
	v_or3_b32 v20, v20, v49, v48
	v_sub_nc_u32_e32 v42, v24, v42
	v_sub_nc_u32_e32 v43, v24, v43
	;; [unrolled: 1-line block ×3, first 2 shown]
	v_or_b32_e32 v21, v57, v58
	s_waitcnt vmcnt(0)
	v_xor_b32_e32 v26, v20, v26
	v_sub_nc_u32_e32 v24, v24, v31
	v_sub_nc_u32_e32 v31, v25, v45
	;; [unrolled: 1-line block ×3, first 2 shown]
	v_or3_b32 v21, v21, v33, v56
	v_sub_nc_u32_e32 v46, v25, v47
	v_sub_nc_u32_e32 v25, v25, v32
	v_and_b32_e32 v40, 0xff000000, v42
	v_and_b32_e32 v42, 0xff00, v44
	v_xor_b32_e32 v27, v21, v27
	global_load_dwordx4 v[20:23], v[10:11], off offset:16
	global_load_ushort v8, v[8:9], off
	v_sub_nc_u32_e32 v10, v51, v34
	v_sub_nc_u32_e32 v11, v51, v37
	;; [unrolled: 1-line block ×3, first 2 shown]
	v_perm_b32 v24, v43, v24, 0xc060c00
	v_mov_b32_e32 v9, 0
	v_sub_nc_u32_e32 v38, v59, v52
	v_sub_nc_u32_e32 v51, v59, v53
	;; [unrolled: 1-line block ×11, first 2 shown]
	v_and_b32_e32 v10, 0xff000000, v10
	v_perm_b32 v11, v11, v35, 0xc060c00
	v_and_b32_e32 v31, 0xff000000, v31
	v_and_b32_e32 v43, 0xff00, v46
	v_perm_b32 v25, v45, v25, 0xc060c00
	v_and_b32_e32 v34, 0xff00, v34
	v_or3_b32 v24, v24, v40, v42
	v_mov_b32_e32 v37, 0
	v_sub_nc_u32_e32 v39, v55, v39
	v_sub_nc_u32_e32 v41, v55, v41
	v_and_b32_e32 v35, 0xff000000, v38
	v_perm_b32 v28, v51, v28, 0xc060c00
	v_and_b32_e32 v32, 0xff000000, v32
	v_and_b32_e32 v44, 0xff00, v48
	v_perm_b32 v26, v47, v26, 0xc060c00
	v_perm_b32 v27, v33, v27, 0xc060c00
	v_and_b32_e32 v33, 0xff00, v52
	v_or3_b32 v25, v25, v31, v43
	v_or3_b32 v10, v11, v10, v34
	v_sub_nc_u32_e32 v54, v63, v60
	v_sub_nc_u32_e32 v55, v63, v62
	;; [unrolled: 1-line block ×4, first 2 shown]
	v_and_b32_e32 v38, 0xff000000, v39
	v_and_b32_e32 v36, 0xff000000, v36
	;; [unrolled: 1-line block ×4, first 2 shown]
	v_dot4c_i32_i8 v37, v10, v2
	v_lshrrev_b16 v53, 4, v19
	v_and_b32_e32 v39, 0xff000000, v54
	v_perm_b32 v29, v55, v29, 0xc060c00
	v_and_b32_e32 v2, 0xff00, v59
	v_or3_b32 v10, v27, v36, v45
	v_or3_b32 v11, v30, v38, v11
	v_cmp_le_u32_e32 vcc_lo, s11, v12
	v_or3_b32 v2, v29, v39, v2
	s_or_b32 s9, vcc_lo, s9
	s_waitcnt vmcnt(1)
	v_dot4c_i32_i8 v9, v24, v21
	v_or3_b32 v21, v26, v32, v44
	v_or3_b32 v24, v28, v35, v33
	v_dot4c_i32_i8 v9, v25, v22
	v_dot4c_i32_i8 v37, v24, v3
	v_and_b32_e32 v3, 15, v19
	v_cvt_f32_ubyte0_e32 v19, v53
	v_dot4c_i32_i8 v9, v21, v23
	v_dot4c_i32_i8 v37, v11, v4
	s_waitcnt vmcnt(0)
	v_cvt_f32_f16_e32 v4, v8
	v_cvt_f32_ubyte0_e32 v3, v3
	v_dot4c_i32_i8 v9, v10, v18
	v_add_f32_e32 v8, 0.5, v19
	v_dot4c_i32_i8 v37, v2, v20
	v_mul_f32_e32 v1, v4, v1
	v_add_f32_e32 v3, 0.5, v3
	v_cvt_f32_i32_e32 v2, v9
	v_cvt_f32_i32_e32 v4, v37
	v_mul_f32_e32 v1, 0x3e800000, v1
	v_mul_f32_e32 v2, v8, v2
	v_fmac_f32_e32 v2, v3, v4
	v_fmac_f32_e32 v13, v1, v2
	s_andn2_b32 exec_lo, exec_lo, s9
	s_cbranch_execnz .LBB291_3
; %bb.4:
	s_or_b32 exec_lo, exec_lo, s9
.LBB291_5:
	s_or_b32 exec_lo, exec_lo, s10
	v_mbcnt_lo_u32_b32 v1, -1, 0
	v_xor_b32_e32 v2, 16, v1
	v_xor_b32_e32 v3, 8, v1
	;; [unrolled: 1-line block ×3, first 2 shown]
	v_cmp_gt_i32_e32 vcc_lo, 32, v2
	v_cndmask_b32_e32 v2, v1, v2, vcc_lo
	v_cmp_gt_i32_e32 vcc_lo, 32, v3
	v_lshlrev_b32_e32 v2, 2, v2
	v_cndmask_b32_e32 v3, v1, v3, vcc_lo
	v_cmp_gt_i32_e32 vcc_lo, 32, v4
	ds_bpermute_b32 v2, v2, v13
	v_lshlrev_b32_e32 v3, 2, v3
	v_cndmask_b32_e32 v4, v1, v4, vcc_lo
	v_lshlrev_b32_e32 v4, 2, v4
	s_waitcnt lgkmcnt(0)
	v_add_f32_e32 v2, v13, v2
	ds_bpermute_b32 v3, v3, v2
	s_waitcnt lgkmcnt(0)
	v_add_f32_e32 v2, v2, v3
	ds_bpermute_b32 v3, v4, v2
	v_xor_b32_e32 v4, 2, v1
	v_cmp_gt_i32_e32 vcc_lo, 32, v4
	v_cndmask_b32_e32 v4, v1, v4, vcc_lo
	v_lshlrev_b32_e32 v4, 2, v4
	s_waitcnt lgkmcnt(0)
	v_add_f32_e32 v2, v2, v3
	ds_bpermute_b32 v3, v4, v2
	v_xor_b32_e32 v4, 1, v1
	v_cmp_gt_i32_e32 vcc_lo, 32, v4
	v_cndmask_b32_e32 v4, v1, v4, vcc_lo
	v_cmp_eq_u32_e32 vcc_lo, 0, v0
	s_waitcnt lgkmcnt(0)
	v_add_f32_e32 v1, v2, v3
	v_lshlrev_b32_e32 v2, 2, v4
	ds_bpermute_b32 v2, v2, v1
	s_and_b32 exec_lo, exec_lo, vcc_lo
	s_cbranch_execz .LBB291_7
; %bb.6:
	s_waitcnt lgkmcnt(0)
	v_add_f32_e32 v2, v1, v2
	v_mad_u64_u32 v[0:1], null, s2, s8, v[5:6]
	v_mov_b32_e32 v1, 0
	v_mov_b32_e32 v4, 0x7fc0
	v_bfe_u32 v3, v2, 16, 1
	v_cmp_o_f32_e32 vcc_lo, v2, v2
	v_lshlrev_b64 v[0:1], 1, v[0:1]
	v_add3_u32 v2, v2, v3, 0x7fff
	v_cndmask_b32_sdwa v2, v4, v2, vcc_lo dst_sel:DWORD dst_unused:UNUSED_PAD src0_sel:DWORD src1_sel:WORD_1
	v_add_co_u32 v0, vcc_lo, s6, v0
	v_add_co_ci_u32_e64 v1, null, s7, v1, vcc_lo
	global_store_short v[0:1], v2, off
.LBB291_7:
	s_endpgm
	.section	.rodata,"a",@progbits
	.p2align	6, 0x0
	.amdhsa_kernel _ZL9moe_vec_qIN3c108BFloat16ELi256ELi8E11block_iq2_sLi1EXadL_ZL18vec_dot_iq2_s_q8_1PKvPK10block_q8_1RKiEEEvS4_S4_PT_PS8_iiii
		.amdhsa_group_segment_fixed_size 0
		.amdhsa_private_segment_fixed_size 0
		.amdhsa_kernarg_size 304
		.amdhsa_user_sgpr_count 6
		.amdhsa_user_sgpr_private_segment_buffer 1
		.amdhsa_user_sgpr_dispatch_ptr 0
		.amdhsa_user_sgpr_queue_ptr 0
		.amdhsa_user_sgpr_kernarg_segment_ptr 1
		.amdhsa_user_sgpr_dispatch_id 0
		.amdhsa_user_sgpr_flat_scratch_init 0
		.amdhsa_user_sgpr_private_segment_size 0
		.amdhsa_wavefront_size32 1
		.amdhsa_uses_dynamic_stack 0
		.amdhsa_system_sgpr_private_segment_wavefront_offset 0
		.amdhsa_system_sgpr_workgroup_id_x 1
		.amdhsa_system_sgpr_workgroup_id_y 0
		.amdhsa_system_sgpr_workgroup_id_z 1
		.amdhsa_system_sgpr_workgroup_info 0
		.amdhsa_system_vgpr_workitem_id 1
		.amdhsa_next_free_vgpr 64
		.amdhsa_next_free_sgpr 17
		.amdhsa_reserve_vcc 1
		.amdhsa_reserve_flat_scratch 0
		.amdhsa_float_round_mode_32 0
		.amdhsa_float_round_mode_16_64 0
		.amdhsa_float_denorm_mode_32 3
		.amdhsa_float_denorm_mode_16_64 3
		.amdhsa_dx10_clamp 1
		.amdhsa_ieee_mode 1
		.amdhsa_fp16_overflow 0
		.amdhsa_workgroup_processor_mode 1
		.amdhsa_memory_ordered 1
		.amdhsa_forward_progress 1
		.amdhsa_shared_vgpr_count 0
		.amdhsa_exception_fp_ieee_invalid_op 0
		.amdhsa_exception_fp_denorm_src 0
		.amdhsa_exception_fp_ieee_div_zero 0
		.amdhsa_exception_fp_ieee_overflow 0
		.amdhsa_exception_fp_ieee_underflow 0
		.amdhsa_exception_fp_ieee_inexact 0
		.amdhsa_exception_int_div_zero 0
	.end_amdhsa_kernel
	.section	.text._ZL9moe_vec_qIN3c108BFloat16ELi256ELi8E11block_iq2_sLi1EXadL_ZL18vec_dot_iq2_s_q8_1PKvPK10block_q8_1RKiEEEvS4_S4_PT_PS8_iiii,"axG",@progbits,_ZL9moe_vec_qIN3c108BFloat16ELi256ELi8E11block_iq2_sLi1EXadL_ZL18vec_dot_iq2_s_q8_1PKvPK10block_q8_1RKiEEEvS4_S4_PT_PS8_iiii,comdat
.Lfunc_end291:
	.size	_ZL9moe_vec_qIN3c108BFloat16ELi256ELi8E11block_iq2_sLi1EXadL_ZL18vec_dot_iq2_s_q8_1PKvPK10block_q8_1RKiEEEvS4_S4_PT_PS8_iiii, .Lfunc_end291-_ZL9moe_vec_qIN3c108BFloat16ELi256ELi8E11block_iq2_sLi1EXadL_ZL18vec_dot_iq2_s_q8_1PKvPK10block_q8_1RKiEEEvS4_S4_PT_PS8_iiii
                                        ; -- End function
	.set _ZL9moe_vec_qIN3c108BFloat16ELi256ELi8E11block_iq2_sLi1EXadL_ZL18vec_dot_iq2_s_q8_1PKvPK10block_q8_1RKiEEEvS4_S4_PT_PS8_iiii.num_vgpr, 64
	.set _ZL9moe_vec_qIN3c108BFloat16ELi256ELi8E11block_iq2_sLi1EXadL_ZL18vec_dot_iq2_s_q8_1PKvPK10block_q8_1RKiEEEvS4_S4_PT_PS8_iiii.num_agpr, 0
	.set _ZL9moe_vec_qIN3c108BFloat16ELi256ELi8E11block_iq2_sLi1EXadL_ZL18vec_dot_iq2_s_q8_1PKvPK10block_q8_1RKiEEEvS4_S4_PT_PS8_iiii.numbered_sgpr, 17
	.set _ZL9moe_vec_qIN3c108BFloat16ELi256ELi8E11block_iq2_sLi1EXadL_ZL18vec_dot_iq2_s_q8_1PKvPK10block_q8_1RKiEEEvS4_S4_PT_PS8_iiii.num_named_barrier, 0
	.set _ZL9moe_vec_qIN3c108BFloat16ELi256ELi8E11block_iq2_sLi1EXadL_ZL18vec_dot_iq2_s_q8_1PKvPK10block_q8_1RKiEEEvS4_S4_PT_PS8_iiii.private_seg_size, 0
	.set _ZL9moe_vec_qIN3c108BFloat16ELi256ELi8E11block_iq2_sLi1EXadL_ZL18vec_dot_iq2_s_q8_1PKvPK10block_q8_1RKiEEEvS4_S4_PT_PS8_iiii.uses_vcc, 1
	.set _ZL9moe_vec_qIN3c108BFloat16ELi256ELi8E11block_iq2_sLi1EXadL_ZL18vec_dot_iq2_s_q8_1PKvPK10block_q8_1RKiEEEvS4_S4_PT_PS8_iiii.uses_flat_scratch, 0
	.set _ZL9moe_vec_qIN3c108BFloat16ELi256ELi8E11block_iq2_sLi1EXadL_ZL18vec_dot_iq2_s_q8_1PKvPK10block_q8_1RKiEEEvS4_S4_PT_PS8_iiii.has_dyn_sized_stack, 0
	.set _ZL9moe_vec_qIN3c108BFloat16ELi256ELi8E11block_iq2_sLi1EXadL_ZL18vec_dot_iq2_s_q8_1PKvPK10block_q8_1RKiEEEvS4_S4_PT_PS8_iiii.has_recursion, 0
	.set _ZL9moe_vec_qIN3c108BFloat16ELi256ELi8E11block_iq2_sLi1EXadL_ZL18vec_dot_iq2_s_q8_1PKvPK10block_q8_1RKiEEEvS4_S4_PT_PS8_iiii.has_indirect_call, 0
	.section	.AMDGPU.csdata,"",@progbits
; Kernel info:
; codeLenInByte = 2624
; TotalNumSgprs: 19
; NumVgprs: 64
; ScratchSize: 0
; MemoryBound: 0
; FloatMode: 240
; IeeeMode: 1
; LDSByteSize: 0 bytes/workgroup (compile time only)
; SGPRBlocks: 0
; VGPRBlocks: 7
; NumSGPRsForWavesPerEU: 19
; NumVGPRsForWavesPerEU: 64
; Occupancy: 16
; WaveLimiterHint : 1
; COMPUTE_PGM_RSRC2:SCRATCH_EN: 0
; COMPUTE_PGM_RSRC2:USER_SGPR: 6
; COMPUTE_PGM_RSRC2:TRAP_HANDLER: 0
; COMPUTE_PGM_RSRC2:TGID_X_EN: 1
; COMPUTE_PGM_RSRC2:TGID_Y_EN: 0
; COMPUTE_PGM_RSRC2:TGID_Z_EN: 1
; COMPUTE_PGM_RSRC2:TIDIG_COMP_CNT: 1
	.section	.text._ZL9moe_vec_qIN3c108BFloat16ELi256ELi8E12block_iq4_xsLi1EXadL_ZL19vec_dot_iq4_xs_q8_1PKvPK10block_q8_1RKiEEEvS4_S4_PT_PS8_iiii,"axG",@progbits,_ZL9moe_vec_qIN3c108BFloat16ELi256ELi8E12block_iq4_xsLi1EXadL_ZL19vec_dot_iq4_xs_q8_1PKvPK10block_q8_1RKiEEEvS4_S4_PT_PS8_iiii,comdat
	.globl	_ZL9moe_vec_qIN3c108BFloat16ELi256ELi8E12block_iq4_xsLi1EXadL_ZL19vec_dot_iq4_xs_q8_1PKvPK10block_q8_1RKiEEEvS4_S4_PT_PS8_iiii ; -- Begin function _ZL9moe_vec_qIN3c108BFloat16ELi256ELi8E12block_iq4_xsLi1EXadL_ZL19vec_dot_iq4_xs_q8_1PKvPK10block_q8_1RKiEEEvS4_S4_PT_PS8_iiii
	.p2align	8
	.type	_ZL9moe_vec_qIN3c108BFloat16ELi256ELi8E12block_iq4_xsLi1EXadL_ZL19vec_dot_iq4_xs_q8_1PKvPK10block_q8_1RKiEEEvS4_S4_PT_PS8_iiii,@function
_ZL9moe_vec_qIN3c108BFloat16ELi256ELi8E12block_iq4_xsLi1EXadL_ZL19vec_dot_iq4_xs_q8_1PKvPK10block_q8_1RKiEEEvS4_S4_PT_PS8_iiii: ; @_ZL9moe_vec_qIN3c108BFloat16ELi256ELi8E12block_iq4_xsLi1EXadL_ZL19vec_dot_iq4_xs_q8_1PKvPK10block_q8_1RKiEEEvS4_S4_PT_PS8_iiii
; %bb.0:
	s_mov_b32 s8, s7
	s_clause 0x1
	s_load_dword s7, s[4:5], 0x3c
	s_load_dwordx4 s[0:3], s[4:5], 0x20
	s_waitcnt lgkmcnt(0)
	s_lshr_b32 s7, s7, 16
	v_mad_u64_u32 v[1:2], null, s6, s7, v[1:2]
	s_mov_b32 s6, exec_lo
	v_cmpx_gt_u32_e64 s2, v1
	s_cbranch_execz .LBB292_7
; %bb.1:
	s_load_dwordx2 s[10:11], s[4:5], 0x10
	s_ashr_i32 s6, s1, 31
	v_lshrrev_b32_e32 v4, 3, v0
	s_lshr_b32 s6, s6, 24
	v_mov_b32_e32 v5, 0
	s_add_i32 s1, s1, s6
	s_mov_b32 s12, exec_lo
	s_ashr_i32 s13, s1, 8
	v_cmpx_gt_u32_e64 s13, v4
	s_cbranch_execz .LBB292_5
; %bb.2:
	s_load_dwordx2 s[6:7], s[4:5], 0x18
	s_mov_b32 s9, 0
	v_cvt_f32_u32_e32 v2, s0
	s_lshl_b64 s[14:15], s[8:9], 2
	v_and_b32_e32 v9, 7, v0
	v_lshlrev_b32_e32 v8, 2, v0
	v_mul_lo_u32 v6, v1, s13
	v_rcp_iflag_f32_e32 v2, v2
	v_mov_b32_e32 v5, 0
	v_lshlrev_b32_e32 v11, 2, v9
	v_bfe_u32 v7, v0, 1, 2
	v_and_b32_e32 v8, 4, v8
	v_lshlrev_b32_e32 v10, 3, v4
	v_lshlrev_b32_e32 v11, 2, v11
	v_mul_f32_e32 v2, 0x4f7ffffe, v2
	s_waitcnt lgkmcnt(0)
	s_add_u32 s6, s6, s14
	s_addc_u32 s7, s7, s15
	v_cvt_u32_f32_e32 v2, v2
	s_load_dword s1, s[6:7], 0x0
	s_load_dwordx4 s[4:7], s[4:5], 0x0
	s_mul_i32 s14, s13, s2
	s_waitcnt lgkmcnt(0)
	s_mul_i32 s1, s14, s1
	v_readfirstlane_b32 s14, v2
	s_mul_i32 s15, s1, 0x88
	s_mul_hi_i32 s1, s1, 0x88
	s_add_u32 s4, s4, s15
	s_addc_u32 s5, s5, s1
	s_sub_i32 s1, 0, s0
	s_mul_i32 s1, s1, s14
	s_mul_hi_u32 s1, s14, s1
	s_add_i32 s14, s14, s1
	s_mul_hi_u32 s1, s8, s14
	s_mul_i32 s14, s1, s0
	s_add_i32 s15, s1, 1
	s_sub_i32 s14, s8, s14
	s_sub_i32 s16, s14, s0
	s_cmp_ge_u32 s14, s0
	s_cselect_b32 s1, s15, s1
	s_cselect_b32 s14, s16, s14
	s_add_i32 s15, s1, 1
	s_cmp_ge_u32 s14, s0
	s_cselect_b32 s0, s15, s1
	s_mov_b32 s1, s9
	s_mul_i32 s0, s0, s3
	s_lshl_b64 s[0:1], s[0:1], 2
	s_add_u32 s0, s6, s0
	s_addc_u32 s1, s7, s1
	v_mad_u64_u32 v[2:3], null, v9, 36, s[0:1]
	v_lshlrev_b32_e32 v9, 1, v9
.LBB292_3:                              ; =>This Inner Loop Header: Depth=1
	v_add_nc_u32_e32 v12, v6, v4
	v_mad_i64_i32 v[26:27], null, v10, 36, v[2:3]
	s_getpc_b64 s[0:1]
	s_add_u32 s0, s0, _ZL13kvalues_iq4nl@rel32@lo+4
	s_addc_u32 s1, s1, _ZL13kvalues_iq4nl@rel32@hi+12
	v_mov_b32_e32 v56, 0
	v_mad_i64_i32 v[24:25], null, 0x88, v12, s[4:5]
	v_add_nc_u32_e32 v4, 4, v4
	v_add_nc_u32_e32 v10, 32, v10
	v_add_co_u32 v12, vcc_lo, v24, v11
	v_add_co_ci_u32_e64 v13, null, 0, v25, vcc_lo
	v_add_co_u32 v16, vcc_lo, v24, v7
	v_add_co_ci_u32_e64 v17, null, 0, v25, vcc_lo
	s_clause 0x1
	global_load_dwordx4 v[12:15], v[12:13], off offset:8
	global_load_ubyte v28, v[16:17], off offset:4
	s_clause 0x1
	global_load_dwordx4 v[16:19], v[26:27], off
	global_load_dwordx4 v[20:23], v[26:27], off offset:16
	global_load_dword v24, v[24:25], off
	v_cmp_le_u32_e32 vcc_lo, s13, v4
	s_or_b32 s9, vcc_lo, s9
	s_waitcnt vmcnt(4)
	v_and_b32_e32 v29, 15, v12
	v_bfe_u32 v30, v12, 8, 4
	v_bfe_u32 v31, v12, 16, 4
	;; [unrolled: 1-line block ×5, first 2 shown]
	v_lshrrev_b32_e32 v33, 28, v12
	v_bfe_u32 v12, v12, 12, 4
	v_bfe_u32 v35, v13, 24, 4
	v_and_b32_e32 v36, 15, v13
	v_bfe_u32 v37, v13, 8, 4
	v_bfe_u32 v38, v13, 16, 4
	v_bfe_u32 v39, v13, 20, 4
	v_lshrrev_b32_e32 v40, 28, v13
	v_bfe_u32 v41, v13, 4, 4
	v_bfe_u32 v13, v13, 12, 4
	v_bfe_u32 v42, v14, 24, 4
	v_and_b32_e32 v43, 15, v14
	v_bfe_u32 v44, v14, 8, 4
	v_bfe_u32 v45, v14, 16, 4
	v_bfe_u32 v46, v14, 20, 4
	v_lshrrev_b32_e32 v47, 28, v14
	v_bfe_u32 v48, v14, 4, 4
	;; [unrolled: 8-line block ×3, first 2 shown]
	v_bfe_u32 v15, v15, 12, 4
	s_clause 0x1f
	global_load_ubyte v29, v29, s[0:1]
	global_load_ubyte v30, v30, s[0:1]
	;; [unrolled: 1-line block ×32, first 2 shown]
	global_load_dword v26, v[26:27], off offset:32
	v_mov_b32_e32 v27, 0
	s_waitcnt vmcnt(33)
	v_lshrrev_b32_sdwa v57, v9, v24 dst_sel:DWORD dst_unused:UNUSED_PAD src0_sel:DWORD src1_sel:WORD_1
	v_bfe_u32 v28, v28, v8, 4
	v_lshlrev_b32_e32 v57, 4, v57
	v_and_or_b32 v28, v57, 48, v28
	s_waitcnt vmcnt(31)
	v_lshl_or_b32 v29, v30, 8, v29
	s_waitcnt vmcnt(30)
	v_lshlrev_b32_e32 v31, 16, v31
	s_waitcnt vmcnt(28)
	v_lshl_or_b32 v12, v12, 8, v34
	s_waitcnt vmcnt(27)
	v_lshlrev_b32_e32 v32, 16, v32
	s_waitcnt vmcnt(26)
	v_lshlrev_b32_e32 v30, 24, v33
	;; [unrolled: 2-line block ×4, first 2 shown]
	v_or3_b32 v12, v12, v32, v30
	s_waitcnt vmcnt(20)
	v_lshl_or_b32 v13, v13, 8, v41
	v_or3_b32 v25, v29, v31, v25
	s_waitcnt vmcnt(17)
	v_lshlrev_b32_e32 v33, 24, v35
	v_lshl_or_b32 v35, v37, 8, v36
	v_lshlrev_b32_e32 v36, 24, v40
	v_lshlrev_b32_e32 v37, 16, v39
	s_waitcnt vmcnt(14)
	v_lshlrev_b32_e32 v39, 16, v45
	v_lshl_or_b32 v40, v44, 8, v43
	s_waitcnt vmcnt(12)
	v_lshl_or_b32 v14, v14, 8, v48
	s_waitcnt vmcnt(10)
	v_lshlrev_b32_e32 v41, 24, v47
	s_waitcnt vmcnt(9)
	v_lshlrev_b32_e32 v38, 24, v42
	v_lshlrev_b32_e32 v42, 16, v46
	v_or3_b32 v30, v35, v34, v33
	v_or3_b32 v13, v13, v37, v36
	v_dot4c_i32_i8 v27, v25, v17
	v_dot4c_i32_i8 v56, v12, v21
	s_waitcnt vmcnt(3)
	v_lshlrev_b32_e32 v43, 24, v49
	v_lshlrev_b32_e32 v44, 16, v52
	s_waitcnt vmcnt(2)
	v_lshl_or_b32 v45, v51, 8, v50
	v_lshlrev_b32_e32 v46, 24, v54
	v_lshlrev_b32_e32 v29, 16, v53
	s_waitcnt vmcnt(1)
	v_lshl_or_b32 v12, v15, 8, v55
	v_or3_b32 v15, v40, v39, v38
	v_or3_b32 v14, v14, v42, v41
	v_dot4c_i32_i8 v27, v30, v18
	v_dot4c_i32_i8 v56, v13, v22
	v_subrev_nc_u32_e32 v13, 32, v28
	v_or3_b32 v17, v45, v44, v43
	v_or3_b32 v12, v12, v29, v46
	v_dot4c_i32_i8 v27, v15, v19
	v_dot4c_i32_i8 v56, v14, v23
	v_cvt_f32_f16_e32 v14, v24
	v_cvt_f32_i32_e32 v13, v13
	v_dot4c_i32_i8 v27, v17, v20
	s_waitcnt vmcnt(0)
	v_dot4c_i32_i8 v56, v12, v26
	v_cvt_f32_f16_e32 v12, v16
	v_mul_f32_e32 v13, v14, v13
	v_add_nc_u32_e32 v14, v56, v27
	v_mul_f32_e32 v12, v13, v12
	v_cvt_f32_i32_e32 v13, v14
	v_fmac_f32_e32 v5, v12, v13
	s_andn2_b32 exec_lo, exec_lo, s9
	s_cbranch_execnz .LBB292_3
; %bb.4:
	s_or_b32 exec_lo, exec_lo, s9
.LBB292_5:
	s_or_b32 exec_lo, exec_lo, s12
	v_mbcnt_lo_u32_b32 v2, -1, 0
	v_xor_b32_e32 v3, 16, v2
	v_xor_b32_e32 v4, 8, v2
	v_cmp_gt_i32_e32 vcc_lo, 32, v3
	v_cndmask_b32_e32 v3, v2, v3, vcc_lo
	v_cmp_gt_i32_e32 vcc_lo, 32, v4
	v_lshlrev_b32_e32 v3, 2, v3
	v_cndmask_b32_e32 v4, v2, v4, vcc_lo
	ds_bpermute_b32 v3, v3, v5
	v_lshlrev_b32_e32 v4, 2, v4
	s_waitcnt lgkmcnt(0)
	v_add_f32_e32 v3, v5, v3
	v_xor_b32_e32 v5, 4, v2
	ds_bpermute_b32 v4, v4, v3
	v_cmp_gt_i32_e32 vcc_lo, 32, v5
	v_cndmask_b32_e32 v5, v2, v5, vcc_lo
	v_lshlrev_b32_e32 v5, 2, v5
	s_waitcnt lgkmcnt(0)
	v_add_f32_e32 v3, v3, v4
	ds_bpermute_b32 v4, v5, v3
	v_xor_b32_e32 v5, 2, v2
	v_cmp_gt_i32_e32 vcc_lo, 32, v5
	v_cndmask_b32_e32 v5, v2, v5, vcc_lo
	v_lshlrev_b32_e32 v5, 2, v5
	s_waitcnt lgkmcnt(0)
	v_add_f32_e32 v3, v3, v4
	ds_bpermute_b32 v4, v5, v3
	v_xor_b32_e32 v5, 1, v2
	v_cmp_gt_i32_e32 vcc_lo, 32, v5
	v_cndmask_b32_e32 v5, v2, v5, vcc_lo
	v_cmp_eq_u32_e32 vcc_lo, 0, v0
	s_waitcnt lgkmcnt(0)
	v_add_f32_e32 v2, v3, v4
	v_lshlrev_b32_e32 v3, 2, v5
	ds_bpermute_b32 v3, v3, v2
	s_and_b32 exec_lo, exec_lo, vcc_lo
	s_cbranch_execz .LBB292_7
; %bb.6:
	s_waitcnt lgkmcnt(0)
	v_add_f32_e32 v2, v2, v3
	v_mov_b32_e32 v4, 0x7fc0
	v_mad_u64_u32 v[0:1], null, s2, s8, v[1:2]
	v_mov_b32_e32 v1, 0
	v_bfe_u32 v3, v2, 16, 1
	v_cmp_o_f32_e32 vcc_lo, v2, v2
	v_add3_u32 v2, v2, v3, 0x7fff
	v_lshlrev_b64 v[0:1], 1, v[0:1]
	v_cndmask_b32_sdwa v2, v4, v2, vcc_lo dst_sel:DWORD dst_unused:UNUSED_PAD src0_sel:DWORD src1_sel:WORD_1
	v_add_co_u32 v0, vcc_lo, s10, v0
	v_add_co_ci_u32_e64 v1, null, s11, v1, vcc_lo
	global_store_short v[0:1], v2, off
.LBB292_7:
	s_endpgm
	.section	.rodata,"a",@progbits
	.p2align	6, 0x0
	.amdhsa_kernel _ZL9moe_vec_qIN3c108BFloat16ELi256ELi8E12block_iq4_xsLi1EXadL_ZL19vec_dot_iq4_xs_q8_1PKvPK10block_q8_1RKiEEEvS4_S4_PT_PS8_iiii
		.amdhsa_group_segment_fixed_size 0
		.amdhsa_private_segment_fixed_size 0
		.amdhsa_kernarg_size 304
		.amdhsa_user_sgpr_count 6
		.amdhsa_user_sgpr_private_segment_buffer 1
		.amdhsa_user_sgpr_dispatch_ptr 0
		.amdhsa_user_sgpr_queue_ptr 0
		.amdhsa_user_sgpr_kernarg_segment_ptr 1
		.amdhsa_user_sgpr_dispatch_id 0
		.amdhsa_user_sgpr_flat_scratch_init 0
		.amdhsa_user_sgpr_private_segment_size 0
		.amdhsa_wavefront_size32 1
		.amdhsa_uses_dynamic_stack 0
		.amdhsa_system_sgpr_private_segment_wavefront_offset 0
		.amdhsa_system_sgpr_workgroup_id_x 1
		.amdhsa_system_sgpr_workgroup_id_y 0
		.amdhsa_system_sgpr_workgroup_id_z 1
		.amdhsa_system_sgpr_workgroup_info 0
		.amdhsa_system_vgpr_workitem_id 1
		.amdhsa_next_free_vgpr 58
		.amdhsa_next_free_sgpr 17
		.amdhsa_reserve_vcc 1
		.amdhsa_reserve_flat_scratch 0
		.amdhsa_float_round_mode_32 0
		.amdhsa_float_round_mode_16_64 0
		.amdhsa_float_denorm_mode_32 3
		.amdhsa_float_denorm_mode_16_64 3
		.amdhsa_dx10_clamp 1
		.amdhsa_ieee_mode 1
		.amdhsa_fp16_overflow 0
		.amdhsa_workgroup_processor_mode 1
		.amdhsa_memory_ordered 1
		.amdhsa_forward_progress 1
		.amdhsa_shared_vgpr_count 0
		.amdhsa_exception_fp_ieee_invalid_op 0
		.amdhsa_exception_fp_denorm_src 0
		.amdhsa_exception_fp_ieee_div_zero 0
		.amdhsa_exception_fp_ieee_overflow 0
		.amdhsa_exception_fp_ieee_underflow 0
		.amdhsa_exception_fp_ieee_inexact 0
		.amdhsa_exception_int_div_zero 0
	.end_amdhsa_kernel
	.section	.text._ZL9moe_vec_qIN3c108BFloat16ELi256ELi8E12block_iq4_xsLi1EXadL_ZL19vec_dot_iq4_xs_q8_1PKvPK10block_q8_1RKiEEEvS4_S4_PT_PS8_iiii,"axG",@progbits,_ZL9moe_vec_qIN3c108BFloat16ELi256ELi8E12block_iq4_xsLi1EXadL_ZL19vec_dot_iq4_xs_q8_1PKvPK10block_q8_1RKiEEEvS4_S4_PT_PS8_iiii,comdat
.Lfunc_end292:
	.size	_ZL9moe_vec_qIN3c108BFloat16ELi256ELi8E12block_iq4_xsLi1EXadL_ZL19vec_dot_iq4_xs_q8_1PKvPK10block_q8_1RKiEEEvS4_S4_PT_PS8_iiii, .Lfunc_end292-_ZL9moe_vec_qIN3c108BFloat16ELi256ELi8E12block_iq4_xsLi1EXadL_ZL19vec_dot_iq4_xs_q8_1PKvPK10block_q8_1RKiEEEvS4_S4_PT_PS8_iiii
                                        ; -- End function
	.set _ZL9moe_vec_qIN3c108BFloat16ELi256ELi8E12block_iq4_xsLi1EXadL_ZL19vec_dot_iq4_xs_q8_1PKvPK10block_q8_1RKiEEEvS4_S4_PT_PS8_iiii.num_vgpr, 58
	.set _ZL9moe_vec_qIN3c108BFloat16ELi256ELi8E12block_iq4_xsLi1EXadL_ZL19vec_dot_iq4_xs_q8_1PKvPK10block_q8_1RKiEEEvS4_S4_PT_PS8_iiii.num_agpr, 0
	.set _ZL9moe_vec_qIN3c108BFloat16ELi256ELi8E12block_iq4_xsLi1EXadL_ZL19vec_dot_iq4_xs_q8_1PKvPK10block_q8_1RKiEEEvS4_S4_PT_PS8_iiii.numbered_sgpr, 17
	.set _ZL9moe_vec_qIN3c108BFloat16ELi256ELi8E12block_iq4_xsLi1EXadL_ZL19vec_dot_iq4_xs_q8_1PKvPK10block_q8_1RKiEEEvS4_S4_PT_PS8_iiii.num_named_barrier, 0
	.set _ZL9moe_vec_qIN3c108BFloat16ELi256ELi8E12block_iq4_xsLi1EXadL_ZL19vec_dot_iq4_xs_q8_1PKvPK10block_q8_1RKiEEEvS4_S4_PT_PS8_iiii.private_seg_size, 0
	.set _ZL9moe_vec_qIN3c108BFloat16ELi256ELi8E12block_iq4_xsLi1EXadL_ZL19vec_dot_iq4_xs_q8_1PKvPK10block_q8_1RKiEEEvS4_S4_PT_PS8_iiii.uses_vcc, 1
	.set _ZL9moe_vec_qIN3c108BFloat16ELi256ELi8E12block_iq4_xsLi1EXadL_ZL19vec_dot_iq4_xs_q8_1PKvPK10block_q8_1RKiEEEvS4_S4_PT_PS8_iiii.uses_flat_scratch, 0
	.set _ZL9moe_vec_qIN3c108BFloat16ELi256ELi8E12block_iq4_xsLi1EXadL_ZL19vec_dot_iq4_xs_q8_1PKvPK10block_q8_1RKiEEEvS4_S4_PT_PS8_iiii.has_dyn_sized_stack, 0
	.set _ZL9moe_vec_qIN3c108BFloat16ELi256ELi8E12block_iq4_xsLi1EXadL_ZL19vec_dot_iq4_xs_q8_1PKvPK10block_q8_1RKiEEEvS4_S4_PT_PS8_iiii.has_recursion, 0
	.set _ZL9moe_vec_qIN3c108BFloat16ELi256ELi8E12block_iq4_xsLi1EXadL_ZL19vec_dot_iq4_xs_q8_1PKvPK10block_q8_1RKiEEEvS4_S4_PT_PS8_iiii.has_indirect_call, 0
	.section	.AMDGPU.csdata,"",@progbits
; Kernel info:
; codeLenInByte = 1632
; TotalNumSgprs: 19
; NumVgprs: 58
; ScratchSize: 0
; MemoryBound: 0
; FloatMode: 240
; IeeeMode: 1
; LDSByteSize: 0 bytes/workgroup (compile time only)
; SGPRBlocks: 0
; VGPRBlocks: 7
; NumSGPRsForWavesPerEU: 19
; NumVGPRsForWavesPerEU: 58
; Occupancy: 16
; WaveLimiterHint : 1
; COMPUTE_PGM_RSRC2:SCRATCH_EN: 0
; COMPUTE_PGM_RSRC2:USER_SGPR: 6
; COMPUTE_PGM_RSRC2:TRAP_HANDLER: 0
; COMPUTE_PGM_RSRC2:TGID_X_EN: 1
; COMPUTE_PGM_RSRC2:TGID_Y_EN: 0
; COMPUTE_PGM_RSRC2:TGID_Z_EN: 1
; COMPUTE_PGM_RSRC2:TIDIG_COMP_CNT: 1
	.section	.text._ZL9moe_vec_qIN3c108BFloat16ELi256ELi8E11block_iq1_mLi1EXadL_ZL18vec_dot_iq1_m_q8_1PKvPK10block_q8_1RKiEEEvS4_S4_PT_PS8_iiii,"axG",@progbits,_ZL9moe_vec_qIN3c108BFloat16ELi256ELi8E11block_iq1_mLi1EXadL_ZL18vec_dot_iq1_m_q8_1PKvPK10block_q8_1RKiEEEvS4_S4_PT_PS8_iiii,comdat
	.globl	_ZL9moe_vec_qIN3c108BFloat16ELi256ELi8E11block_iq1_mLi1EXadL_ZL18vec_dot_iq1_m_q8_1PKvPK10block_q8_1RKiEEEvS4_S4_PT_PS8_iiii ; -- Begin function _ZL9moe_vec_qIN3c108BFloat16ELi256ELi8E11block_iq1_mLi1EXadL_ZL18vec_dot_iq1_m_q8_1PKvPK10block_q8_1RKiEEEvS4_S4_PT_PS8_iiii
	.p2align	8
	.type	_ZL9moe_vec_qIN3c108BFloat16ELi256ELi8E11block_iq1_mLi1EXadL_ZL18vec_dot_iq1_m_q8_1PKvPK10block_q8_1RKiEEEvS4_S4_PT_PS8_iiii,@function
_ZL9moe_vec_qIN3c108BFloat16ELi256ELi8E11block_iq1_mLi1EXadL_ZL18vec_dot_iq1_m_q8_1PKvPK10block_q8_1RKiEEEvS4_S4_PT_PS8_iiii: ; @_ZL9moe_vec_qIN3c108BFloat16ELi256ELi8E11block_iq1_mLi1EXadL_ZL18vec_dot_iq1_m_q8_1PKvPK10block_q8_1RKiEEEvS4_S4_PT_PS8_iiii
; %bb.0:
	s_mov_b32 s8, s7
	s_clause 0x1
	s_load_dword s7, s[4:5], 0x3c
	s_load_dwordx4 s[0:3], s[4:5], 0x20
	s_waitcnt lgkmcnt(0)
	s_lshr_b32 s7, s7, 16
	v_mad_u64_u32 v[1:2], null, s6, s7, v[1:2]
	s_mov_b32 s6, exec_lo
	v_cmpx_gt_u32_e64 s2, v1
	s_cbranch_execz .LBB293_7
; %bb.1:
	s_load_dwordx2 s[10:11], s[4:5], 0x10
	s_ashr_i32 s6, s1, 31
	v_lshrrev_b32_e32 v4, 3, v0
	s_lshr_b32 s6, s6, 24
	v_mov_b32_e32 v5, 0
	s_add_i32 s1, s1, s6
	s_ashr_i32 s12, s1, 8
	s_mov_b32 s1, exec_lo
	v_cmpx_gt_u32_e64 s12, v4
	s_cbranch_execz .LBB293_5
; %bb.2:
	s_load_dwordx2 s[6:7], s[4:5], 0x18
	s_mov_b32 s9, 0
	v_cvt_f32_u32_e32 v2, s0
	s_lshl_b64 s[14:15], s[8:9], 2
	v_and_b32_e32 v3, 1, v0
	v_bfe_u32 v11, v0, 1, 2
	v_mul_lo_u32 v6, v1, s12
	v_rcp_iflag_f32_e32 v2, v2
	v_mov_b32_e32 v5, 0
	v_cmp_eq_u32_e32 vcc_lo, 1, v3
	v_lshlrev_b32_e32 v7, 3, v4
	v_lshlrev_b32_e32 v11, 1, v11
	v_mov_b32_e32 v12, 0xf0
	v_mov_b32_e32 v13, 0xffff
	v_cndmask_b32_e64 v9, 0, 6, vcc_lo
	v_mov_b32_e32 v14, 8
	v_mul_f32_e32 v2, 0x4f7ffffe, v2
	s_waitcnt lgkmcnt(0)
	s_add_u32 s6, s6, s14
	s_addc_u32 s7, s7, s15
	v_cvt_u32_f32_e32 v2, v2
	s_load_dword s13, s[6:7], 0x0
	s_load_dwordx4 s[4:7], s[4:5], 0x0
	s_mul_i32 s14, s12, s2
	s_waitcnt lgkmcnt(0)
	s_mul_i32 s13, s14, s13
	v_readfirstlane_b32 s14, v2
	s_mul_i32 s15, s13, 56
	s_mul_hi_i32 s13, s13, 56
	s_add_u32 s4, s4, s15
	s_addc_u32 s5, s5, s13
	s_sub_i32 s13, 0, s0
	v_and_b32_e32 v2, 7, v0
	s_mul_i32 s13, s13, s14
	s_mul_hi_u32 s13, s14, s13
	s_add_i32 s14, s14, s13
	v_lshlrev_b32_e32 v8, 1, v2
	s_mul_hi_u32 s13, s8, s14
	v_lshlrev_b32_e32 v10, 2, v2
	s_mul_i32 s14, s13, s0
	s_add_i32 s15, s13, 1
	s_sub_i32 s14, s8, s14
	s_sub_i32 s16, s14, s0
	s_cmp_ge_u32 s14, s0
	s_cselect_b32 s13, s15, s13
	s_cselect_b32 s14, s16, s14
	s_add_i32 s16, s13, 1
	s_cmp_ge_u32 s14, s0
	s_mov_b32 s15, s9
	s_cselect_b32 s0, s16, s13
	s_mul_i32 s14, s0, s3
	s_mov_b32 s0, 0xbd000000
	s_lshl_b64 s[14:15], s[14:15], 2
	s_add_u32 s6, s6, s14
	s_addc_u32 s7, s7, s15
	v_mad_u64_u32 v[2:3], null, v2, 36, s[6:7]
	s_getpc_b64 s[6:7]
	s_add_u32 s6, s6, _ZL13iq1s_grid_gpu@rel32@lo+4
	s_addc_u32 s7, s7, _ZL13iq1s_grid_gpu@rel32@hi+12
.LBB293_3:                              ; =>This Inner Loop Header: Depth=1
	v_add_nc_u32_e32 v15, v6, v4
	v_mad_i64_i32 v[25:26], null, v7, 36, v[2:3]
	v_mov_b32_e32 v38, 0
	v_mov_b32_e32 v37, 0
	v_mad_i64_i32 v[23:24], null, v15, 56, s[4:5]
	v_add_nc_u32_e32 v4, 4, v4
	v_add_nc_u32_e32 v7, 32, v7
	v_add_co_u32 v15, vcc_lo, v23, v8
	v_add_co_ci_u32_e64 v16, null, 0, v24, vcc_lo
	v_add_co_u32 v17, vcc_lo, v23, v11
	v_add_co_ci_u32_e64 v18, null, 0, v24, vcc_lo
	;; [unrolled: 2-line block ×3, first 2 shown]
	s_clause 0x2
	global_load_ushort v27, v[17:18], off offset:48
	global_load_ushort v28, v[15:16], off offset:32
	global_load_dword v29, v[19:20], off
	s_clause 0x1
	global_load_dwordx4 v[15:18], v[25:26], off
	global_load_dwordx4 v[19:22], v[25:26], off offset:16
	global_load_dwordx2 v[23:24], v[23:24], off offset:48
	v_cmp_le_u32_e32 vcc_lo, s12, v4
	s_or_b32 s9, vcc_lo, s9
	s_waitcnt vmcnt(5)
	v_lshrrev_b32_e32 v27, v9, v27
	s_waitcnt vmcnt(4)
	v_and_b32_sdwa v31, v13, v28 dst_sel:DWORD dst_unused:UNUSED_PAD src0_sel:DWORD src1_sel:BYTE_1
	s_waitcnt vmcnt(3)
	v_and_b32_e32 v30, 0xff, v29
	v_lshlrev_b32_e32 v33, 8, v28
	v_bfe_u32 v35, v29, 16, 8
	v_bfe_u32 v32, v29, 8, 8
	v_lshrrev_b32_e32 v36, 4, v31
	v_lshlrev_b32_e32 v31, 8, v31
	v_lshlrev_b32_e32 v34, 4, v28
	v_and_or_b32 v30, 0x700, v33, v30
	v_bfe_u32 v39, v28, 4, 4
	v_alignbit_b32 v29, v36, v29, 24
	v_and_or_b32 v31, 0x700, v31, v35
	v_and_or_b32 v32, 0x700, v34, v32
	v_lshlrev_b32_e32 v30, 3, v30
	v_mov_b32_e32 v34, 0
	v_and_b32_e32 v29, 0x7ff, v29
	v_lshlrev_b32_e32 v31, 3, v31
	v_lshlrev_b32_e32 v32, 3, v32
	s_clause 0x1
	global_load_dword v30, v30, s[6:7]
	global_load_dword v32, v32, s[6:7]
	v_lshlrev_b32_e32 v29, 3, v29
	s_clause 0x1
	global_load_dword v31, v31, s[6:7]
	global_load_dword v29, v29, s[6:7]
	global_load_dword v25, v[25:26], off offset:32
	v_mov_b32_e32 v26, 0
	s_waitcnt vmcnt(6)
	v_dot4c_i32_i8 v34, 0x1010101, v20
	v_and_b32_sdwa v40, v28, v14 dst_sel:DWORD dst_unused:UNUSED_PAD src0_sel:BYTE_1 src1_sel:DWORD
	v_and_b32_e32 v28, 8, v28
	v_and_b32_e32 v36, 8, v36
	v_dot4c_i32_i8 v26, 0x1010101, v16
	v_dot4c_i32_i8 v34, 0x1010101, v21
	v_cvt_f32_ubyte0_e32 v40, v40
	v_cvt_f32_ubyte0_e32 v28, v28
	v_mov_b32_e32 v35, 0
	v_dot4c_i32_i8 v26, 0x1010101, v17
	v_cvt_f32_i32_e32 v34, v34
	v_fmaak_f32 v40, s0, v40, 0xbf600000
	v_fmaak_f32 v28, s0, v28, 0xbf600000
	v_mov_b32_e32 v33, 0
	v_cvt_f32_i32_e32 v26, v26
	v_dot4c_i32_i8 v35, 0x1010101, v22
	s_waitcnt vmcnt(5)
	v_pk_lshrrev_b16 v23, 0x8000c, v23
	v_pk_lshrrev_b16 v24, 4, v24
	v_dot4c_i32_i8 v33, 0x1010101, v18
	v_fma_f32 v26, v28, v26, 0
	v_fma_f32 v28, v40, v34, 0
	v_cvt_f32_ubyte0_e32 v34, v36
	v_and_b32_sdwa v41, v23, v12 dst_sel:DWORD dst_unused:UNUSED_PAD src0_sel:WORD_1 src1_sel:DWORD
	v_lshlrev_b32_e32 v42, 1, v27
	v_lshrrev_b32_e32 v27, 2, v27
	v_and_b32_e32 v39, 8, v39
	v_dot4c_i32_i8 v33, 0x1010101, v19
	v_and_b32_e32 v24, 0xf0000f00, v24
	v_or_b32_e32 v23, v41, v23
	v_and_b32_e32 v27, 14, v27
	v_cvt_f32_ubyte0_e32 v39, v39
	v_cvt_f32_i32_e32 v33, v33
	v_and_b32_e32 v41, 14, v42
	v_or_b32_e32 v23, v23, v24
	v_cvt_f32_f16_e32 v15, v15
	s_waitcnt vmcnt(4)
	v_lshrrev_b32_e32 v40, 4, v30
	v_and_b32_e32 v30, 0xf0f0f0f, v30
	s_waitcnt vmcnt(2)
	v_lshrrev_b32_e32 v36, 4, v31
	v_and_b32_e32 v31, 0xf0f0f0f, v31
	v_dot4c_i32_i8 v37, v30, v16
	s_waitcnt vmcnt(1)
	v_and_b32_e32 v16, 0xf0f0f0f, v29
	v_lshrrev_b32_e32 v29, 4, v29
	v_and_b32_e32 v36, 0xf0f0f0f, v36
	v_dot4c_i32_i8 v38, v31, v20
	v_and_b32_e32 v20, 0xf0f0f0f, v40
	s_waitcnt vmcnt(0)
	v_dot4c_i32_i8 v35, 0x1010101, v25
	v_lshrrev_b32_e32 v30, 4, v32
	v_dot4c_i32_i8 v38, v36, v21
	v_and_b32_e32 v21, 0xf0f0f0f, v32
	v_dot4c_i32_i8 v37, v20, v17
	v_and_b32_e32 v17, 0xf0f0f0f, v29
	v_cvt_f32_i32_e32 v35, v35
	v_dot4c_i32_i8 v38, v16, v22
	v_fmaak_f32 v20, s0, v34, 0xbf600000
	v_and_b32_e32 v22, 0xf0f0f0f, v30
	v_dot4c_i32_i8 v37, v21, v18
	v_fmaak_f32 v16, s0, v39, 0xbf600000
	v_dot4c_i32_i8 v38, v17, v25
	v_or_b32_e32 v17, 1, v27
	v_fmac_f32_e32 v28, v20, v35
	v_dot4c_i32_i8 v37, v22, v19
	v_or_b32_e32 v18, 1, v41
	v_cvt_f32_i32_e32 v19, v38
	v_or_b32_sdwa v20, v23, v24 dst_sel:DWORD dst_unused:UNUSED_PAD src0_sel:DWORD src1_sel:WORD_1
	v_fmac_f32_e32 v26, v16, v33
	v_cvt_f32_ubyte0_e32 v16, v17
	v_cvt_f32_i32_e32 v17, v37
	v_add_f32_e32 v19, v28, v19
	v_cvt_f32_ubyte0_e32 v18, v18
	v_cvt_f32_f16_e32 v20, v20
	v_add_f32_e32 v17, v26, v17
	v_mul_f32_e32 v16, v19, v16
	v_mul_f32_e32 v15, v15, v20
	v_fmac_f32_e32 v16, v17, v18
	v_fmac_f32_e32 v5, v15, v16
	s_andn2_b32 exec_lo, exec_lo, s9
	s_cbranch_execnz .LBB293_3
; %bb.4:
	s_or_b32 exec_lo, exec_lo, s9
.LBB293_5:
	s_or_b32 exec_lo, exec_lo, s1
	v_mbcnt_lo_u32_b32 v2, -1, 0
	v_xor_b32_e32 v3, 16, v2
	v_xor_b32_e32 v4, 8, v2
	v_cmp_gt_i32_e32 vcc_lo, 32, v3
	v_cndmask_b32_e32 v3, v2, v3, vcc_lo
	v_cmp_gt_i32_e32 vcc_lo, 32, v4
	v_lshlrev_b32_e32 v3, 2, v3
	v_cndmask_b32_e32 v4, v2, v4, vcc_lo
	ds_bpermute_b32 v3, v3, v5
	v_lshlrev_b32_e32 v4, 2, v4
	s_waitcnt lgkmcnt(0)
	v_add_f32_e32 v3, v5, v3
	v_xor_b32_e32 v5, 4, v2
	ds_bpermute_b32 v4, v4, v3
	v_cmp_gt_i32_e32 vcc_lo, 32, v5
	v_cndmask_b32_e32 v5, v2, v5, vcc_lo
	v_lshlrev_b32_e32 v5, 2, v5
	s_waitcnt lgkmcnt(0)
	v_add_f32_e32 v3, v3, v4
	ds_bpermute_b32 v4, v5, v3
	v_xor_b32_e32 v5, 2, v2
	v_cmp_gt_i32_e32 vcc_lo, 32, v5
	v_cndmask_b32_e32 v5, v2, v5, vcc_lo
	v_lshlrev_b32_e32 v5, 2, v5
	s_waitcnt lgkmcnt(0)
	v_add_f32_e32 v3, v3, v4
	ds_bpermute_b32 v4, v5, v3
	v_xor_b32_e32 v5, 1, v2
	v_cmp_gt_i32_e32 vcc_lo, 32, v5
	v_cndmask_b32_e32 v5, v2, v5, vcc_lo
	v_cmp_eq_u32_e32 vcc_lo, 0, v0
	s_waitcnt lgkmcnt(0)
	v_add_f32_e32 v2, v3, v4
	v_lshlrev_b32_e32 v3, 2, v5
	ds_bpermute_b32 v3, v3, v2
	s_and_b32 exec_lo, exec_lo, vcc_lo
	s_cbranch_execz .LBB293_7
; %bb.6:
	s_waitcnt lgkmcnt(0)
	v_add_f32_e32 v2, v2, v3
	v_mov_b32_e32 v4, 0x7fc0
	v_mad_u64_u32 v[0:1], null, s2, s8, v[1:2]
	v_mov_b32_e32 v1, 0
	v_bfe_u32 v3, v2, 16, 1
	v_cmp_o_f32_e32 vcc_lo, v2, v2
	v_add3_u32 v2, v2, v3, 0x7fff
	v_lshlrev_b64 v[0:1], 1, v[0:1]
	v_cndmask_b32_sdwa v2, v4, v2, vcc_lo dst_sel:DWORD dst_unused:UNUSED_PAD src0_sel:DWORD src1_sel:WORD_1
	v_add_co_u32 v0, vcc_lo, s10, v0
	v_add_co_ci_u32_e64 v1, null, s11, v1, vcc_lo
	global_store_short v[0:1], v2, off
.LBB293_7:
	s_endpgm
	.section	.rodata,"a",@progbits
	.p2align	6, 0x0
	.amdhsa_kernel _ZL9moe_vec_qIN3c108BFloat16ELi256ELi8E11block_iq1_mLi1EXadL_ZL18vec_dot_iq1_m_q8_1PKvPK10block_q8_1RKiEEEvS4_S4_PT_PS8_iiii
		.amdhsa_group_segment_fixed_size 0
		.amdhsa_private_segment_fixed_size 0
		.amdhsa_kernarg_size 304
		.amdhsa_user_sgpr_count 6
		.amdhsa_user_sgpr_private_segment_buffer 1
		.amdhsa_user_sgpr_dispatch_ptr 0
		.amdhsa_user_sgpr_queue_ptr 0
		.amdhsa_user_sgpr_kernarg_segment_ptr 1
		.amdhsa_user_sgpr_dispatch_id 0
		.amdhsa_user_sgpr_flat_scratch_init 0
		.amdhsa_user_sgpr_private_segment_size 0
		.amdhsa_wavefront_size32 1
		.amdhsa_uses_dynamic_stack 0
		.amdhsa_system_sgpr_private_segment_wavefront_offset 0
		.amdhsa_system_sgpr_workgroup_id_x 1
		.amdhsa_system_sgpr_workgroup_id_y 0
		.amdhsa_system_sgpr_workgroup_id_z 1
		.amdhsa_system_sgpr_workgroup_info 0
		.amdhsa_system_vgpr_workitem_id 1
		.amdhsa_next_free_vgpr 43
		.amdhsa_next_free_sgpr 17
		.amdhsa_reserve_vcc 1
		.amdhsa_reserve_flat_scratch 0
		.amdhsa_float_round_mode_32 0
		.amdhsa_float_round_mode_16_64 0
		.amdhsa_float_denorm_mode_32 3
		.amdhsa_float_denorm_mode_16_64 3
		.amdhsa_dx10_clamp 1
		.amdhsa_ieee_mode 1
		.amdhsa_fp16_overflow 0
		.amdhsa_workgroup_processor_mode 1
		.amdhsa_memory_ordered 1
		.amdhsa_forward_progress 1
		.amdhsa_shared_vgpr_count 0
		.amdhsa_exception_fp_ieee_invalid_op 0
		.amdhsa_exception_fp_denorm_src 0
		.amdhsa_exception_fp_ieee_div_zero 0
		.amdhsa_exception_fp_ieee_overflow 0
		.amdhsa_exception_fp_ieee_underflow 0
		.amdhsa_exception_fp_ieee_inexact 0
		.amdhsa_exception_int_div_zero 0
	.end_amdhsa_kernel
	.section	.text._ZL9moe_vec_qIN3c108BFloat16ELi256ELi8E11block_iq1_mLi1EXadL_ZL18vec_dot_iq1_m_q8_1PKvPK10block_q8_1RKiEEEvS4_S4_PT_PS8_iiii,"axG",@progbits,_ZL9moe_vec_qIN3c108BFloat16ELi256ELi8E11block_iq1_mLi1EXadL_ZL18vec_dot_iq1_m_q8_1PKvPK10block_q8_1RKiEEEvS4_S4_PT_PS8_iiii,comdat
.Lfunc_end293:
	.size	_ZL9moe_vec_qIN3c108BFloat16ELi256ELi8E11block_iq1_mLi1EXadL_ZL18vec_dot_iq1_m_q8_1PKvPK10block_q8_1RKiEEEvS4_S4_PT_PS8_iiii, .Lfunc_end293-_ZL9moe_vec_qIN3c108BFloat16ELi256ELi8E11block_iq1_mLi1EXadL_ZL18vec_dot_iq1_m_q8_1PKvPK10block_q8_1RKiEEEvS4_S4_PT_PS8_iiii
                                        ; -- End function
	.set _ZL9moe_vec_qIN3c108BFloat16ELi256ELi8E11block_iq1_mLi1EXadL_ZL18vec_dot_iq1_m_q8_1PKvPK10block_q8_1RKiEEEvS4_S4_PT_PS8_iiii.num_vgpr, 43
	.set _ZL9moe_vec_qIN3c108BFloat16ELi256ELi8E11block_iq1_mLi1EXadL_ZL18vec_dot_iq1_m_q8_1PKvPK10block_q8_1RKiEEEvS4_S4_PT_PS8_iiii.num_agpr, 0
	.set _ZL9moe_vec_qIN3c108BFloat16ELi256ELi8E11block_iq1_mLi1EXadL_ZL18vec_dot_iq1_m_q8_1PKvPK10block_q8_1RKiEEEvS4_S4_PT_PS8_iiii.numbered_sgpr, 17
	.set _ZL9moe_vec_qIN3c108BFloat16ELi256ELi8E11block_iq1_mLi1EXadL_ZL18vec_dot_iq1_m_q8_1PKvPK10block_q8_1RKiEEEvS4_S4_PT_PS8_iiii.num_named_barrier, 0
	.set _ZL9moe_vec_qIN3c108BFloat16ELi256ELi8E11block_iq1_mLi1EXadL_ZL18vec_dot_iq1_m_q8_1PKvPK10block_q8_1RKiEEEvS4_S4_PT_PS8_iiii.private_seg_size, 0
	.set _ZL9moe_vec_qIN3c108BFloat16ELi256ELi8E11block_iq1_mLi1EXadL_ZL18vec_dot_iq1_m_q8_1PKvPK10block_q8_1RKiEEEvS4_S4_PT_PS8_iiii.uses_vcc, 1
	.set _ZL9moe_vec_qIN3c108BFloat16ELi256ELi8E11block_iq1_mLi1EXadL_ZL18vec_dot_iq1_m_q8_1PKvPK10block_q8_1RKiEEEvS4_S4_PT_PS8_iiii.uses_flat_scratch, 0
	.set _ZL9moe_vec_qIN3c108BFloat16ELi256ELi8E11block_iq1_mLi1EXadL_ZL18vec_dot_iq1_m_q8_1PKvPK10block_q8_1RKiEEEvS4_S4_PT_PS8_iiii.has_dyn_sized_stack, 0
	.set _ZL9moe_vec_qIN3c108BFloat16ELi256ELi8E11block_iq1_mLi1EXadL_ZL18vec_dot_iq1_m_q8_1PKvPK10block_q8_1RKiEEEvS4_S4_PT_PS8_iiii.has_recursion, 0
	.set _ZL9moe_vec_qIN3c108BFloat16ELi256ELi8E11block_iq1_mLi1EXadL_ZL18vec_dot_iq1_m_q8_1PKvPK10block_q8_1RKiEEEvS4_S4_PT_PS8_iiii.has_indirect_call, 0
	.section	.AMDGPU.csdata,"",@progbits
; Kernel info:
; codeLenInByte = 1460
; TotalNumSgprs: 19
; NumVgprs: 43
; ScratchSize: 0
; MemoryBound: 0
; FloatMode: 240
; IeeeMode: 1
; LDSByteSize: 0 bytes/workgroup (compile time only)
; SGPRBlocks: 0
; VGPRBlocks: 5
; NumSGPRsForWavesPerEU: 19
; NumVGPRsForWavesPerEU: 43
; Occupancy: 16
; WaveLimiterHint : 1
; COMPUTE_PGM_RSRC2:SCRATCH_EN: 0
; COMPUTE_PGM_RSRC2:USER_SGPR: 6
; COMPUTE_PGM_RSRC2:TRAP_HANDLER: 0
; COMPUTE_PGM_RSRC2:TGID_X_EN: 1
; COMPUTE_PGM_RSRC2:TGID_Y_EN: 0
; COMPUTE_PGM_RSRC2:TGID_Z_EN: 1
; COMPUTE_PGM_RSRC2:TIDIG_COMP_CNT: 1
	.section	.AMDGPU.gpr_maximums,"",@progbits
	.set amdgpu.max_num_vgpr, 0
	.set amdgpu.max_num_agpr, 0
	.set amdgpu.max_num_sgpr, 0
	.section	.AMDGPU.csdata,"",@progbits
	.type	_ZL11iq2xxs_grid,@object        ; @_ZL11iq2xxs_grid
	.section	.rodata,"a",@progbits
	.p2align	4, 0x0
_ZL11iq2xxs_grid:
	.quad	578721382704613384              ; 0x808080808080808
	.quad	578721382704613419              ; 0x80808080808082b
	.quad	578721382704617753              ; 0x808080808081919
	.quad	578721382704622344              ; 0x808080808082b08
	.quad	578721382704622379              ; 0x808080808082b2b
	.quad	578721382705727513              ; 0x808080808190819
	.quad	578721382705731848              ; 0x808080808191908
	.quad	578721382706907144              ; 0x8080808082b0808
	.quad	578721382706907179              ; 0x8080808082b082b
	.quad	578721382706916104              ; 0x8080808082b2b08
	.quad	578721382706916139              ; 0x8080808082b2b2b
	.quad	578721382989826073              ; 0x808080819080819
	.quad	578721382989830408              ; 0x808080819081908
	.quad	578721382990940168              ; 0x808080819190808
	.quad	578721382990949128              ; 0x808080819192b08
	.quad	578721382992119833              ; 0x8080808192b0819
	.quad	578721382992124168              ; 0x8080808192b1908
	.quad	578721383291815944              ; 0x80808082b080808
	.quad	578721383291815979              ; 0x80808082b08082b
	.quad	578721383291824939              ; 0x80808082b082b2b
	.quad	578721383294109739              ; 0x80808082b2b082b
	.quad	578721455719057433              ; 0x808081908080819
	.quad	578721455719061768              ; 0x808081908081908
	.quad	578721455720171528              ; 0x808081908190808
	.quad	578721455720175897              ; 0x808081908191919
	.quad	578721456004270088              ; 0x808081919080808
	.quad	578721456306264328              ; 0x80808192b081908
	.quad	578721456307383048              ; 0x80808192b192b08
	.quad	578721533028468744              ; 0x808082b08080808
	.quad	578721533028468779              ; 0x808082b0808082b
	.quad	578721533030762539              ; 0x808082b082b082b
	.quad	578721533615671339              ; 0x808082b2b08082b
	.quad	578740074402285593              ; 0x808190808080819
	.quad	578740074402289928              ; 0x808190808081908
	.quad	578740074403399688              ; 0x808190808190808
	.quad	578740074404579353              ; 0x8081908082b0819
	.quad	578740074404583688              ; 0x8081908082b1908
	.quad	578740074687498248              ; 0x808190819080808
	.quad	578740074687498283              ; 0x80819081908082b
	.quad	578740074687507208              ; 0x808190819082b08
	.quad	578740074689792008              ; 0x8081908192b0808
	.quad	578740074989488153              ; 0x80819082b080819
	.quad	578740074989492488              ; 0x80819082b081908
	.quad	578740074990602248              ; 0x80819082b190808
	.quad	578740074991786248              ; 0x80819082b2b1908
	.quad	578740147416729608              ; 0x808191908080808
	.quad	578740147416729643              ; 0x80819190808082b
	.quad	578740147416738568              ; 0x808191908082b08
	.quad	578740147419023368              ; 0x8081919082b0808
	.quad	578740147701946667              ; 0x80819191908192b
	.quad	578740147704245017              ; 0x8081919192b2b19
	.quad	578740148003932168              ; 0x80819192b080808
	.quad	578740148005046297              ; 0x80819192b190819
	.quad	578740224726149913              ; 0x808192b08082b19
	.quad	578740224727255048              ; 0x808192b08190808
	.quad	578740225011353608              ; 0x808192b19080808
	.quad	578740225313347848              ; 0x808192b2b081908
	.quad	578740225315641608              ; 0x808192b2b2b1908
	.quad	578759865611585544              ; 0x8082b0808080808
	.quad	578759865611589913              ; 0x8082b0808081919
	.quad	578759865611594504              ; 0x8082b0808082b08
	.quad	578759865612704008              ; 0x8082b0808191908
	.quad	578759865613888264              ; 0x8082b08082b2b08
	.quad	578759865896798233              ; 0x8082b0819080819
	.quad	578759865896802568              ; 0x8082b0819081908
	.quad	578759865897912328              ; 0x8082b0819190808
	.quad	578759865897912363              ; 0x8082b081919082b
	.quad	578759866198797064              ; 0x8082b082b082b08
	.quad	578759938626033928              ; 0x8082b1908081908
	.quad	578759938911242248              ; 0x8082b1919080808
	.quad	578760015935440939              ; 0x8082b2b0808082b
	.quad	578760015936559368              ; 0x8082b2b08191908
	.quad	583506457308694553              ; 0x819080808080819
	.quad	583506457308698888              ; 0x819080808081908
	.quad	583506457309808648              ; 0x819080808190808
	.quad	583506457310988313              ; 0x8190808082b0819
	.quad	583506457593907208              ; 0x819080819080808
	.quad	583506457596200968              ; 0x8190808192b0808
	.quad	583506457895901448              ; 0x81908082b081908
	.quad	583506457897011208              ; 0x81908082b190808
	.quad	583506457897015577              ; 0x81908082b191919
	.quad	583506530323138568              ; 0x819081908080808
	.quad	583506530323147528              ; 0x819081908082b08
	.quad	583506530325432328              ; 0x8190819082b0808
	.quad	583506530609465352              ; 0x819081919190808
	.quad	583506530609474347              ; 0x819081919192b2b
	.quad	583506530910341128              ; 0x81908192b080808
	.quad	583506607634848008              ; 0x819082b082b1908
	.quad	583506607917766937              ; 0x819082b19081919
	.quad	583525149006366728              ; 0x819190808080808
	.quad	583525149006375688              ; 0x819190808082b08
	.quad	583525149008660488              ; 0x8191908082b0808
	.quad	583525149008664857              ; 0x8191908082b1919
	.quad	583525149291588377              ; 0x819190819082b19
	.quad	583525149593569288              ; 0x81919082b080808
	.quad	583525222021933832              ; 0x819191908192b08
	.quad	583525222308317227              ; 0x8191919192b082b
	.quad	583525299330222088              ; 0x819192b08080808
	.quad	583525299331340587              ; 0x819192b0819192b
	.quad	583544940215666713              ; 0x8192b0808080819
	.quad	583544940215671048              ; 0x8192b0808081908
	.quad	583544940216780808              ; 0x8192b0808190808
	.quad	583544940500879368              ; 0x8192b0819080808
	.quad	583544940802869273              ; 0x8192b082b080819
	.quad	583545013230110728              ; 0x8192b1908080808
	.quad	583545013230115097              ; 0x8192b1908081919
	.quad	583545013819607048              ; 0x8192b192b2b0808
	.quad	583545090825848857              ; 0x8192b2b19190819
	.quad	588573006889486344              ; 0x82b080808080808
	.quad	588573006889486379              ; 0x82b08080808082b
	.quad	588573006889495339              ; 0x82b080808082b2b
	.quad	588573007174703368              ; 0x82b080819081908
	.quad	588573007176992793              ; 0x82b0808192b0819
	.quad	588573007476688904              ; 0x82b08082b080808
	.quad	588573007476688939              ; 0x82b08082b08082b
	.quad	588573079906233113              ; 0x82b0819082b2b19
	.quad	588573080189152008              ; 0x82b081919082b08
	.quad	588573157213341704              ; 0x82b082b08080808
	.quad	588573157213341739              ; 0x82b082b0808082b
	.quad	588591698587158553              ; 0x82b190808080819
	.quad	588591698587162888              ; 0x82b190808081908
	.quad	588591698588272648              ; 0x82b190808190808
	.quad	588591698872371208              ; 0x82b190819080808
	.quad	588591698873489707              ; 0x82b19081919192b
	.quad	588591771601602568              ; 0x82b191908080808
	.quad	588591771886815257              ; 0x82b191919080819
	.quad	588591771889113352              ; 0x82b1919192b1908
	.quad	588591849499330568              ; 0x82b192b2b190808
	.quad	588611489796467464              ; 0x82b2b0808082b08
	.quad	588611489798752264              ; 0x82b2b08082b0808
	.quad	588611490384779528              ; 0x82b2b082b191908
	.quad	588611640405530888              ; 0x82b2b2b19081908
	.quad	1803700481349388313             ; 0x1908080808080819
	.quad	1803700481349392648             ; 0x1908080808081908
	;; [unrolled: 1-line block ×124, first 2 shown]
	.size	_ZL11iq2xxs_grid, 2048

	.type	_ZL12ksigns_iq2xs,@object       ; @_ZL12ksigns_iq2xs
	.p2align	4, 0x0
_ZL12ksigns_iq2xs:
	.ascii	"\000\201\202\003\204\005\006\207\210\t\n\213\f\215\216\017\220\021\022\223\024\225\226\027\030\231\232\033\234\035\036\237\240!\"\243$\245\246'(\251\252+\254-.\2570\261\2623\26456\267\2709:\273<\275\276?\300AB\303D\305\306GH\311\312K\314MN\317P\321\322S\324UV\327\330YZ\333\\\335\336_`\341\342c\344ef\347\350ij\353l\355\356o\360qr\363t\365\366wx\371\372{\374}~\377"
	.size	_ZL12ksigns_iq2xs, 128

	.type	_ZL10iq2xs_grid,@object         ; @_ZL10iq2xs_grid
	.p2align	4, 0x0
_ZL10iq2xs_grid:
	.quad	578721382704613384              ; 0x808080808080808
	.quad	578721382704613419              ; 0x80808080808082b
	;; [unrolled: 1-line block ×254, first 2 shown]
	.quad	1803700481349388313             ; 0x1908080808080819
	.quad	1803700481349392648             ; 0x1908080808081908
	;; [unrolled: 1-line block ×258, first 2 shown]
	.size	_ZL10iq2xs_grid, 4096

	.type	_ZL11iq3xxs_grid,@object        ; @_ZL11iq3xxs_grid
	.p2align	4, 0x0
_ZL11iq3xxs_grid:
	.long	67372036                        ; 0x4040404
	.long	67372052                        ; 0x4040414
	;; [unrolled: 1-line block ×58, first 2 shown]
	.long	201589772                       ; 0xc04040c
	.long	201589788                       ; 0xc04041c
	;; [unrolled: 1-line block ×177, first 2 shown]
	.long	1040450588                      ; 0x3e04041c
	.long	1040450604                      ; 0x3e04042c
	;; [unrolled: 1-line block ×21, first 2 shown]
	.size	_ZL11iq3xxs_grid, 1024

	.type	_ZL13iq1s_grid_gpu,@object      ; @_ZL13iq1s_grid_gpu
	.p2align	4, 0x0
_ZL13iq1s_grid_gpu:
	.quad	0                               ; 0x0
	.quad	2                               ; 0x2
	.quad	257                             ; 0x101
	.quad	512                             ; 0x200
	;; [unrolled: 1-line block ×3, first 2 shown]
	.quad	65537                           ; 0x10001
	.quad	65793                           ; 0x10101
	.quad	131072                          ; 0x20000
	.quad	131074                          ; 0x20002
	;; [unrolled: 1-line block ×4, first 2 shown]
	.quad	16777473                        ; 0x1000101
	.quad	16842753                        ; 0x1010001
	;; [unrolled: 1-line block ×14, first 2 shown]
	.quad	272                             ; 0x110
	.quad	273                             ; 0x111
	.quad	65553                           ; 0x10011
	.quad	65808                           ; 0x10110
	;; [unrolled: 1-line block ×5, first 2 shown]
	.quad	131345                          ; 0x20111
	.quad	16777233                        ; 0x1000011
	.quad	16777490                        ; 0x1000112
	;; [unrolled: 1-line block ×15, first 2 shown]
	.quad	32                              ; 0x20
	.quad	34                              ; 0x22
	.quad	544                             ; 0x220
	.quad	546                             ; 0x222
	.quad	65825                           ; 0x10121
	.quad	131104                          ; 0x20020
	.quad	131106                          ; 0x20022
	;; [unrolled: 1-line block ×4, first 2 shown]
	.quad	16777505                        ; 0x1000121
	.quad	16842785                        ; 0x1010021
	;; [unrolled: 1-line block ×16, first 2 shown]
	.quad	69633                           ; 0x11001
	.quad	69888                           ; 0x11100
	;; [unrolled: 1-line block ×3, first 2 shown]
	.quad	135425                          ; 0x21101
	.quad	16781313                        ; 0x1001001
	.quad	16781825                        ; 0x1001201
	;; [unrolled: 1-line block ×9, first 2 shown]
	.quad	4113                            ; 0x1011
	.quad	4368                            ; 0x1110
	;; [unrolled: 1-line block ×4, first 2 shown]
	.quad	69905                           ; 0x11111
	.quad	70160                           ; 0x11210
	;; [unrolled: 1-line block ×3, first 2 shown]
	.quad	135697                          ; 0x21211
	.quad	16781328                        ; 0x1001010
	.quad	16781585                        ; 0x1001111
	;; [unrolled: 1-line block ×24, first 2 shown]
	.quad	69920                           ; 0x11120
	.quad	70177                           ; 0x11221
	.quad	16781345                        ; 0x1001021
	.quad	16781600                        ; 0x1001120
	;; [unrolled: 1-line block ×14, first 2 shown]
	.quad	8192                            ; 0x2000
	.quad	8194                            ; 0x2002
	;; [unrolled: 1-line block ×4, first 2 shown]
	.quad	73985                           ; 0x12101
	.quad	139264                          ; 0x22000
	.quad	139266                          ; 0x22002
	;; [unrolled: 1-line block ×4, first 2 shown]
	.quad	16785665                        ; 0x1002101
	.quad	16850945                        ; 0x1012001
	;; [unrolled: 1-line block ×13, first 2 shown]
	.quad	8465                            ; 0x2111
	.quad	73745                           ; 0x12011
	.quad	74000                           ; 0x12110
	;; [unrolled: 1-line block ×3, first 2 shown]
	.quad	139536                          ; 0x22110
	.quad	139537                          ; 0x22111
	.quad	16785425                        ; 0x1002011
	.quad	16850960                        ; 0x1012010
	;; [unrolled: 1-line block ×12, first 2 shown]
	.quad	8224                            ; 0x2020
	.quad	8226                            ; 0x2022
	;; [unrolled: 1-line block ×4, first 2 shown]
	.quad	74017                           ; 0x12121
	.quad	139296                          ; 0x22020
	.quad	139298                          ; 0x22022
	;; [unrolled: 1-line block ×4, first 2 shown]
	.quad	16785697                        ; 0x1002121
	.quad	16850977                        ; 0x1012021
	;; [unrolled: 1-line block ×15, first 2 shown]
	.quad	1114112                         ; 0x110000
	.quad	1114113                         ; 0x110001
	;; [unrolled: 1-line block ×6, first 2 shown]
	.quad	17825793                        ; 0x1100001
	.quad	17826048                        ; 0x1100100
	;; [unrolled: 1-line block ×14, first 2 shown]
	.quad	1048593                         ; 0x100011
	.quad	1048848                         ; 0x100110
	.quad	1048850                         ; 0x100112
	.quad	1049105                         ; 0x100211
	.quad	1114128                         ; 0x110010
	.quad	1114130                         ; 0x110012
	.quad	1114385                         ; 0x110111
	.quad	1114640                         ; 0x110210
	.quad	1179665                         ; 0x120011
	.quad	1179920                         ; 0x120110
	.quad	1180177                         ; 0x120211
	.quad	17826065                        ; 0x1100111
	.quad	17826322                        ; 0x1100212
	;; [unrolled: 1-line block ×16, first 2 shown]
	.quad	1114145                         ; 0x110021
	.quad	1114400                         ; 0x110120
	;; [unrolled: 1-line block ×4, first 2 shown]
	.quad	17825824                        ; 0x1100020
	.quad	17826082                        ; 0x1100122
	;; [unrolled: 1-line block ×14, first 2 shown]
	.quad	1052673                         ; 0x101001
	.quad	1052930                         ; 0x101102
	;; [unrolled: 1-line block ×9, first 2 shown]
	.quad	17829889                        ; 0x1101001
	.quad	17830145                        ; 0x1101101
	.quad	17830146                        ; 0x1101102
	.quad	17830400                        ; 0x1101200
	.quad	17830402                        ; 0x1101202
	.quad	17895425                        ; 0x1111001
	.quad	17895680                        ; 0x1111100
	.quad	17895681                        ; 0x1111101
	.quad	17895682                        ; 0x1111102
	.quad	17895937                        ; 0x1111201
	.quad	17960962                        ; 0x1121002
	.quad	17961217                        ; 0x1121101
	.quad	17961472                        ; 0x1121200
	.quad	34607360                        ; 0x2101100
	.quad	34607617                        ; 0x2101201
	.quad	34672640                        ; 0x2111000
	.quad	34672896                        ; 0x2111100
	.quad	34672897                        ; 0x2111101
	.quad	34673152                        ; 0x2111200
	.quad	34673153                        ; 0x2111201
	.quad	34673154                        ; 0x2111202
	.quad	34738177                        ; 0x2121001
	.quad	34738432                        ; 0x2121100
	.quad	34738433                        ; 0x2121101
	.quad	34738689                        ; 0x2121201
	.quad	1052690                         ; 0x101012
	.quad	1052945                         ; 0x101111
	;; [unrolled: 1-line block ×13, first 2 shown]
	.quad	17829905                        ; 0x1101011
	.quad	17830160                        ; 0x1101110
	;; [unrolled: 1-line block ×32, first 2 shown]
	.quad	1052705                         ; 0x101021
	.quad	1052960                         ; 0x101120
	.quad	1052961                         ; 0x101121
	.quad	1052962                         ; 0x101122
	.quad	1118497                         ; 0x111121
	.quad	1118498                         ; 0x111122
	.quad	1118752                         ; 0x111220
	.quad	1118754                         ; 0x111222
	.quad	1183777                         ; 0x121021
	.quad	1184034                         ; 0x121122
	.quad	17829920                        ; 0x1101020
	.quad	17829922                        ; 0x1101022
	;; [unrolled: 1-line block ×23, first 2 shown]
	.quad	1122305                         ; 0x112001
	.quad	1122562                         ; 0x112102
	;; [unrolled: 1-line block ×3, first 2 shown]
	.quad	17833985                        ; 0x1102001
	.quad	17834240                        ; 0x1102100
	.quad	17834242                        ; 0x1102102
	.quad	17834497                        ; 0x1102201
	.quad	17899520                        ; 0x1112000
	.quad	17899777                        ; 0x1112101
	.quad	17900032                        ; 0x1112200
	.quad	17900034                        ; 0x1112202
	.quad	17965056                        ; 0x1122000
	.quad	17965057                        ; 0x1122001
	.quad	17965312                        ; 0x1122100
	.quad	17965314                        ; 0x1122102
	.quad	17965569                        ; 0x1122201
	.quad	34611457                        ; 0x2102101
	.quad	34676737                        ; 0x2112001
	.quad	34676992                        ; 0x2112100
	.quad	34742529                        ; 0x2122101
	.quad	1122320                         ; 0x112010
	.quad	1122322                         ; 0x112012
	;; [unrolled: 1-line block ×6, first 2 shown]
	.quad	17834002                        ; 0x1102012
	.quad	17834256                        ; 0x1102110
	;; [unrolled: 1-line block ×21, first 2 shown]
	.quad	1057313                         ; 0x102221
	.quad	1122594                         ; 0x112122
	.quad	1188128                         ; 0x122120
	.quad	1188130                         ; 0x122122
	.quad	17834272                        ; 0x1102120
	.quad	17834274                        ; 0x1102122
	;; [unrolled: 1-line block ×14, first 2 shown]
	.quad	2097152                         ; 0x200000
	.quad	2097154                         ; 0x200002
	;; [unrolled: 1-line block ×10, first 2 shown]
	.quad	18874625                        ; 0x1200101
	.quad	18939905                        ; 0x1210001
	;; [unrolled: 1-line block ×15, first 2 shown]
	.quad	2097425                         ; 0x200111
	.quad	2162705                         ; 0x210011
	;; [unrolled: 1-line block ×5, first 2 shown]
	.quad	18874386                        ; 0x1200012
	.quad	18874640                        ; 0x1200110
	;; [unrolled: 1-line block ×15, first 2 shown]
	.quad	2097185                         ; 0x200021
	.quad	2097696                         ; 0x200220
	;; [unrolled: 1-line block ×9, first 2 shown]
	.quad	18874657                        ; 0x1200121
	.quad	18939937                        ; 0x1210021
	;; [unrolled: 1-line block ×14, first 2 shown]
	.quad	2101505                         ; 0x201101
	.quad	2167040                         ; 0x211100
	;; [unrolled: 1-line block ×5, first 2 shown]
	.quad	18878720                        ; 0x1201100
	.quad	18878721                        ; 0x1201101
	.quad	18878722                        ; 0x1201102
	.quad	18878977                        ; 0x1201201
	.quad	18944002                        ; 0x1211002
	.quad	18944257                        ; 0x1211101
	.quad	18944512                        ; 0x1211200
	.quad	18944514                        ; 0x1211202
	.quad	19009794                        ; 0x1221102
	.quad	35655937                        ; 0x2201101
	.quad	35721217                        ; 0x2211001
	.quad	35721472                        ; 0x2211100
	.quad	35721729                        ; 0x2211201
	.quad	35786753                        ; 0x2221001
	.quad	35787009                        ; 0x2221101
	.quad	2101777                         ; 0x201211
	.quad	2167057                         ; 0x211111
	;; [unrolled: 1-line block ×4, first 2 shown]
	.quad	18878480                        ; 0x1201010
	.quad	18878737                        ; 0x1201111
	;; [unrolled: 1-line block ×20, first 2 shown]
	.quad	2101537                         ; 0x201121
	.quad	2166816                         ; 0x211020
	;; [unrolled: 1-line block ×5, first 2 shown]
	.quad	18878497                        ; 0x1201021
	.quad	18879009                        ; 0x1201221
	;; [unrolled: 1-line block ×10, first 2 shown]
	.quad	2105344                         ; 0x202000
	.quad	2105346                         ; 0x202002
	;; [unrolled: 1-line block ×9, first 2 shown]
	.quad	18882817                        ; 0x1202101
	.quad	18948097                        ; 0x1212001
	;; [unrolled: 1-line block ×12, first 2 shown]
	.quad	2105873                         ; 0x202211
	.quad	2170897                         ; 0x212011
	;; [unrolled: 1-line block ×5, first 2 shown]
	.quad	18882834                        ; 0x1202112
	.quad	18883089                        ; 0x1202211
	.quad	18948114                        ; 0x1212012
	.quad	18948369                        ; 0x1212111
	.quad	19013649                        ; 0x1222011
	.quad	19013904                        ; 0x1222110
	.quad	19013906                        ; 0x1222112
	.quad	19014161                        ; 0x1222211
	.quad	35660049                        ; 0x2202111
	.quad	35725328                        ; 0x2212010
	.quad	35725586                        ; 0x2212112
	.quad	35725841                        ; 0x2212211
	.quad	35791120                        ; 0x2222110
	.quad	35791121                        ; 0x2222111
	.quad	2105376                         ; 0x202020
	.quad	2105378                         ; 0x202022
	;; [unrolled: 1-line block ×8, first 2 shown]
	.quad	18882849                        ; 0x1202121
	.quad	18948129                        ; 0x1212021
	;; [unrolled: 1-line block ×14, first 2 shown]
	.quad	268435713                       ; 0x10000101
	.quad	268500993                       ; 0x10010001
	.quad	268501250                       ; 0x10010102
	.quad	268566785                       ; 0x10020101
	.quad	285213185                       ; 0x11000201
	.quad	285278210                       ; 0x11010002
	.quad	285278465                       ; 0x11010101
	.quad	285278720                       ; 0x11010200
	.quad	285278722                       ; 0x11010202
	.quad	285343745                       ; 0x11020001
	.quad	285344000                       ; 0x11020100
	.quad	285344002                       ; 0x11020102
	.quad	302055680                       ; 0x12010100
	.quad	302055937                       ; 0x12010201
	.quad	302120961                       ; 0x12020001
	.quad	302121218                       ; 0x12020102
	.quad	268435472                       ; 0x10000010
	.quad	268435473                       ; 0x10000011
	.quad	268435728                       ; 0x10000110
	.quad	268435730                       ; 0x10000112
	.quad	268435985                       ; 0x10000211
	.quad	268501010                       ; 0x10010012
	.quad	268501265                       ; 0x10010111
	.quad	268501266                       ; 0x10010112
	.quad	268501520                       ; 0x10010210
	.quad	268501522                       ; 0x10010212
	.quad	268566545                       ; 0x10020011
	.quad	268566802                       ; 0x10020112
	.quad	268567057                       ; 0x10020211
	.quad	285212945                       ; 0x11000111
	.quad	285213200                       ; 0x11000210
	.quad	285213202                       ; 0x11000212
	.quad	285278225                       ; 0x11010011
	.quad	285278480                       ; 0x11010110
	.quad	285278481                       ; 0x11010111
	.quad	285278482                       ; 0x11010112
	.quad	285278737                       ; 0x11010211
	.quad	285278738                       ; 0x11010212
	.quad	285344017                       ; 0x11020111
	.quad	285344272                       ; 0x11020210
	.quad	285344274                       ; 0x11020212
	.quad	301989905                       ; 0x12000011
	.quad	301990160                       ; 0x12000110
	.quad	301990162                       ; 0x12000112
	.quad	302055440                       ; 0x12010010
	.quad	302055442                       ; 0x12010012
	.quad	302055697                       ; 0x12010111
	.quad	302120976                       ; 0x12020010
	.quad	302120977                       ; 0x12020011
	.quad	302120978                       ; 0x12020012
	.quad	268435745                       ; 0x10000121
	.quad	268501025                       ; 0x10010021
	.quad	268501280                       ; 0x10010120
	.quad	268501282                       ; 0x10010122
	.quad	268566817                       ; 0x10020121
	.quad	285212705                       ; 0x11000021
	.quad	285278242                       ; 0x11010022
	.quad	285278497                       ; 0x11010121
	.quad	285278754                       ; 0x11010222
	.quad	285344032                       ; 0x11020120
	.quad	285344289                       ; 0x11020221
	.quad	301990433                       ; 0x12000221
	.quad	302055712                       ; 0x12010120
	.quad	302121249                       ; 0x12020121
	.quad	268439553                       ; 0x10001001
	.quad	268505345                       ; 0x10011101
	.quad	268505601                       ; 0x10011201
	.quad	268571137                       ; 0x10021201
	.quad	285217025                       ; 0x11001101
	.quad	285217280                       ; 0x11001200
	.quad	285217282                       ; 0x11001202
	.quad	285282305                       ; 0x11011001
	.quad	285282560                       ; 0x11011100
	.quad	285282561                       ; 0x11011101
	.quad	285282562                       ; 0x11011102
	.quad	285347841                       ; 0x11021001
	.quad	285347842                       ; 0x11021002
	.quad	285348097                       ; 0x11021101
	.quad	285348352                       ; 0x11021200
	.quad	285348354                       ; 0x11021202
	.quad	301993985                       ; 0x12001001
	.quad	301994242                       ; 0x12001102
	.quad	301994497                       ; 0x12001201
	.quad	302059520                       ; 0x12011000
	.quad	302059522                       ; 0x12011002
	.quad	302059777                       ; 0x12011101
	.quad	302125056                       ; 0x12021000
	.quad	302125057                       ; 0x12021001
	.quad	302125569                       ; 0x12021201
	.quad	268439569                       ; 0x10001011
	.quad	268439570                       ; 0x10001012
	.quad	268439825                       ; 0x10001111
	.quad	268440082                       ; 0x10001212
	.quad	268505105                       ; 0x10011011
	.quad	268505360                       ; 0x10011110
	.quad	268505361                       ; 0x10011111
	.quad	268505362                       ; 0x10011112
	.quad	268505617                       ; 0x10011211
	.quad	268570640                       ; 0x10021010
	.quad	268570897                       ; 0x10021111
	.quad	268571154                       ; 0x10021212
	.quad	285216785                       ; 0x11001011
	.quad	285217040                       ; 0x11001110
	.quad	285217041                       ; 0x11001111
	.quad	285217042                       ; 0x11001112
	.quad	285217297                       ; 0x11001211
	.quad	285282320                       ; 0x11011010
	.quad	285282321                       ; 0x11011011
	.quad	285282576                       ; 0x11011110
	.quad	285282577                       ; 0x11011111
	.quad	285282578                       ; 0x11011112
	.quad	285282832                       ; 0x11011210
	.quad	285282833                       ; 0x11011211
	.quad	285347857                       ; 0x11021011
	.quad	285348112                       ; 0x11021110
	.quad	285348113                       ; 0x11021111
	.quad	285348114                       ; 0x11021112
	.quad	285348369                       ; 0x11021211
	.quad	301994002                       ; 0x12001012
	.quad	301994256                       ; 0x12001110
	.quad	301994257                       ; 0x12001111
	.quad	301994512                       ; 0x12001210
	.quad	302059537                       ; 0x12011011
	.quad	302059792                       ; 0x12011110
	.quad	302059793                       ; 0x12011111
	.quad	302059794                       ; 0x12011112
	.quad	302060049                       ; 0x12011211
	.quad	302060050                       ; 0x12011212
	.quad	302125329                       ; 0x12021111
	.quad	302125584                       ; 0x12021210
	.quad	302125586                       ; 0x12021212
	.quad	268439585                       ; 0x10001021
	.quad	268439841                       ; 0x10001121
	.quad	268440097                       ; 0x10001221
	.quad	268505376                       ; 0x10011120
	.quad	268505377                       ; 0x10011121
	.quad	268505632                       ; 0x10011220
	.quad	268505634                       ; 0x10011222
	.quad	268570657                       ; 0x10021021
	.quad	268570912                       ; 0x10021120
	.quad	268571169                       ; 0x10021221
	.quad	285216800                       ; 0x11001020
	.quad	285216802                       ; 0x11001022
	.quad	285217057                       ; 0x11001121
	.quad	285217312                       ; 0x11001220
	.quad	285282336                       ; 0x11011020
	.quad	285282337                       ; 0x11011021
	.quad	285282338                       ; 0x11011022
	.quad	285282593                       ; 0x11011121
	.quad	285282594                       ; 0x11011122
	.quad	285282849                       ; 0x11011221
	.quad	285347874                       ; 0x11021022
	.quad	285348129                       ; 0x11021121
	.quad	285348384                       ; 0x11021220
	.quad	301994017                       ; 0x12001021
	.quad	301994273                       ; 0x12001121
	.quad	301994530                       ; 0x12001222
	.quad	302059808                       ; 0x12011120
	.quad	302059809                       ; 0x12011121
	.quad	302125089                       ; 0x12021021
	.quad	302125344                       ; 0x12021120
	.quad	302125346                       ; 0x12021122
	.quad	268443905                       ; 0x10002101
	.quad	268509185                       ; 0x10012001
	.quad	268509441                       ; 0x10012101
	.quad	268509698                       ; 0x10012202
	.quad	268574977                       ; 0x10022101
	.quad	285220866                       ; 0x11002002
	.quad	285221377                       ; 0x11002201
	.quad	285286400                       ; 0x11012000
	.quad	285286657                       ; 0x11012101
	.quad	285286912                       ; 0x11012200
	.quad	285351937                       ; 0x11022001
	.quad	285352192                       ; 0x11022100
	.quad	285352194                       ; 0x11022102
	.quad	285352449                       ; 0x11022201
	.quad	301998337                       ; 0x12002101
	.quad	302063617                       ; 0x12012001
	.quad	302063872                       ; 0x12012100
	.quad	302063874                       ; 0x12012102
	.quad	302064129                       ; 0x12012201
	.quad	302129409                       ; 0x12022101
	.quad	268443665                       ; 0x10002011
	.quad	268443921                       ; 0x10002111
	.quad	268443922                       ; 0x10002112
	.quad	268444178                       ; 0x10002212
	.quad	268509200                       ; 0x10012010
	.quad	268509456                       ; 0x10012110
	.quad	268509457                       ; 0x10012111
	.quad	268509712                       ; 0x10012210
	.quad	268574737                       ; 0x10022011
	.quad	268574992                       ; 0x10022110
	.quad	268574994                       ; 0x10022112
	.quad	285220880                       ; 0x11002010
	.quad	285221137                       ; 0x11002111
	.quad	285221394                       ; 0x11002212
	.quad	285286417                       ; 0x11012011
	.quad	285286418                       ; 0x11012012
	.quad	285286672                       ; 0x11012110
	.quad	285286673                       ; 0x11012111
	.quad	285286674                       ; 0x11012112
	.quad	285286929                       ; 0x11012211
	.quad	285351952                       ; 0x11022010
	.quad	285351954                       ; 0x11022012
	.quad	285352209                       ; 0x11022111
	.quad	285352210                       ; 0x11022112
	.quad	285352466                       ; 0x11022212
	.quad	301998354                       ; 0x12002112
	.quad	301998609                       ; 0x12002211
	.quad	302063634                       ; 0x12012012
	.quad	302063889                       ; 0x12012111
	.quad	302063890                       ; 0x12012112
	.quad	302064144                       ; 0x12012210
	.quad	302129169                       ; 0x12022011
	.quad	302129424                       ; 0x12022110
	.quad	302129426                       ; 0x12022112
	.quad	302129681                       ; 0x12022211
	.quad	268509474                       ; 0x10012122
	.quad	285221152                       ; 0x11002120
	.quad	285221154                       ; 0x11002122
	.quad	285221409                       ; 0x11002221
	.quad	285286689                       ; 0x11012121
	.quad	285286944                       ; 0x11012220
	.quad	285286946                       ; 0x11012222
	.quad	285352224                       ; 0x11022120
	.quad	285352481                       ; 0x11022221
	.quad	302063904                       ; 0x12012120
	.quad	302129441                       ; 0x12022121
	.quad	269484033                       ; 0x10100001
	.quad	269484288                       ; 0x10100100
	.quad	269484289                       ; 0x10100101
	.quad	269484290                       ; 0x10100102
	.quad	269484545                       ; 0x10100201
	.quad	269549570                       ; 0x10110002
	.quad	269549825                       ; 0x10110101
	.quad	269550082                       ; 0x10110202
	.quad	269615105                       ; 0x10120001
	.quad	269615360                       ; 0x10120100
	.quad	269615617                       ; 0x10120201
	.quad	286261248                       ; 0x11100000
	.quad	286261505                       ; 0x11100101
	.quad	286261760                       ; 0x11100200
	.quad	286326785                       ; 0x11110001
	.quad	286327040                       ; 0x11110100
	.quad	286327041                       ; 0x11110101
	.quad	286327042                       ; 0x11110102
	.quad	286327297                       ; 0x11110201
	.quad	286392577                       ; 0x11120101
	.quad	286392832                       ; 0x11120200
	.quad	303038722                       ; 0x12100102
	.quad	303038977                       ; 0x12100201
	.quad	303104257                       ; 0x12110101
	.quad	303104512                       ; 0x12110200
	.quad	303169536                       ; 0x12120000
	.quad	303169537                       ; 0x12120001
	.quad	303169794                       ; 0x12120102
	.quad	303170049                       ; 0x12120201
	.quad	269484305                       ; 0x10100111
	.quad	269484560                       ; 0x10100210
	.quad	269484561                       ; 0x10100211
	.quad	269484562                       ; 0x10100212
	.quad	269549585                       ; 0x10110011
	.quad	269549840                       ; 0x10110110
	.quad	269549841                       ; 0x10110111
	.quad	269549842                       ; 0x10110112
	.quad	269550096                       ; 0x10110210
	.quad	269550097                       ; 0x10110211
	.quad	269615120                       ; 0x10120010
	.quad	269615377                       ; 0x10120111
	.quad	269615378                       ; 0x10120112
	.quad	269615632                       ; 0x10120210
	.quad	269615634                       ; 0x10120212
	.quad	286261265                       ; 0x11100011
	.quad	286261520                       ; 0x11100110
	.quad	286261521                       ; 0x11100111
	.quad	286261522                       ; 0x11100112
	.quad	286261777                       ; 0x11100211
	.quad	286326800                       ; 0x11110010
	.quad	286326801                       ; 0x11110011
	.quad	286326802                       ; 0x11110012
	.quad	286327056                       ; 0x11110110
	.quad	286327057                       ; 0x11110111
	.quad	286327058                       ; 0x11110112
	.quad	286327312                       ; 0x11110210
	.quad	286327313                       ; 0x11110211
	.quad	286327314                       ; 0x11110212
	.quad	286392337                       ; 0x11120011
	.quad	286392592                       ; 0x11120110
	.quad	286392593                       ; 0x11120111
	.quad	286392594                       ; 0x11120112
	.quad	286392849                       ; 0x11120211
	.quad	303038482                       ; 0x12100012
	.quad	303038737                       ; 0x12100111
	.quad	303104017                       ; 0x12110011
	.quad	303104272                       ; 0x12110110
	.quad	303104273                       ; 0x12110111
	.quad	303104274                       ; 0x12110112
	.quad	303104529                       ; 0x12110211
	.quad	303169552                       ; 0x12120010
	.quad	303169809                       ; 0x12120111
	.quad	303170066                       ; 0x12120212
	.quad	269484065                       ; 0x10100021
	.quad	269484322                       ; 0x10100122
	.quad	269549602                       ; 0x10110022
	.quad	269549857                       ; 0x10110121
	.quad	269550114                       ; 0x10110222
	.quad	269615137                       ; 0x10120021
	.quad	269615392                       ; 0x10120120
	.quad	286261282                       ; 0x11100022
	.quad	286261537                       ; 0x11100121
	.quad	286261794                       ; 0x11100222
	.quad	286326817                       ; 0x11110021
	.quad	286327072                       ; 0x11110120
	.quad	286327073                       ; 0x11110121
	.quad	286327074                       ; 0x11110122
	.quad	286327329                       ; 0x11110221
	.quad	286392354                       ; 0x11120022
	.quad	286392609                       ; 0x11120121
	.quad	303038753                       ; 0x12100121
	.quad	303104032                       ; 0x12110020
	.quad	303104034                       ; 0x12110022
	.quad	303104289                       ; 0x12110121
	.quad	303104545                       ; 0x12110221
	.quad	303104546                       ; 0x12110222
	.quad	303169824                       ; 0x12120120
	.quad	269488384                       ; 0x10101100
	.quad	269488385                       ; 0x10101101
	.quad	269553665                       ; 0x10111001
	.quad	269553920                       ; 0x10111100
	.quad	269553921                       ; 0x10111101
	.quad	269553922                       ; 0x10111102
	.quad	269554176                       ; 0x10111200
	.quad	269554177                       ; 0x10111201
	.quad	269619201                       ; 0x10121001
	.quad	269619457                       ; 0x10121101
	.quad	269619712                       ; 0x10121200
	.quad	269619714                       ; 0x10121202
	.quad	286265345                       ; 0x11101001
	.quad	286265600                       ; 0x11101100
	.quad	286265601                       ; 0x11101101
	.quad	286265602                       ; 0x11101102
	.quad	286265857                       ; 0x11101201
	.quad	286265858                       ; 0x11101202
	.quad	286330880                       ; 0x11111000
	.quad	286330881                       ; 0x11111001
	.quad	286331136                       ; 0x11111100
	.quad	286331137                       ; 0x11111101
	.quad	286331138                       ; 0x11111102
	.quad	286331392                       ; 0x11111200
	.quad	286331393                       ; 0x11111201
	.quad	286331394                       ; 0x11111202
	.quad	286396417                       ; 0x11121001
	.quad	286396418                       ; 0x11121002
	.quad	286396672                       ; 0x11121100
	.quad	286396673                       ; 0x11121101
	.quad	286396674                       ; 0x11121102
	.quad	286396929                       ; 0x11121201
	.quad	303042560                       ; 0x12101000
	.quad	303043072                       ; 0x12101200
	.quad	303043074                       ; 0x12101202
	.quad	303108097                       ; 0x12111001
	.quad	303108352                       ; 0x12111100
	.quad	303108353                       ; 0x12111101
	.quad	303108354                       ; 0x12111102
	.quad	303108609                       ; 0x12111201
	.quad	303173633                       ; 0x12121001
	.quad	303173888                       ; 0x12121100
	.quad	303173889                       ; 0x12121101
	.quad	303174146                       ; 0x12121202
	.quad	269488145                       ; 0x10101011
	.quad	269488146                       ; 0x10101012
	.quad	269488400                       ; 0x10101110
	.quad	269488401                       ; 0x10101111
	.quad	269488402                       ; 0x10101112
	.quad	269488657                       ; 0x10101211
	.quad	269553680                       ; 0x10111010
	.quad	269553681                       ; 0x10111011
	.quad	269553682                       ; 0x10111012
	.quad	269553936                       ; 0x10111110
	.quad	269553937                       ; 0x10111111
	.quad	269553938                       ; 0x10111112
	.quad	269554193                       ; 0x10111211
	.quad	269554194                       ; 0x10111212
	.quad	269619217                       ; 0x10121011
	.quad	269619472                       ; 0x10121110
	.quad	269619473                       ; 0x10121111
	.quad	269619474                       ; 0x10121112
	.quad	269619729                       ; 0x10121211
	.quad	286265360                       ; 0x11101010
	.quad	286265361                       ; 0x11101011
	.quad	286265362                       ; 0x11101012
	.quad	286265616                       ; 0x11101110
	.quad	286265617                       ; 0x11101111
	.quad	286265618                       ; 0x11101112
	.quad	286265872                       ; 0x11101210
	.quad	286265873                       ; 0x11101211
	.quad	286330896                       ; 0x11111010
	.quad	286330897                       ; 0x11111011
	.quad	286330898                       ; 0x11111012
	.quad	286331152                       ; 0x11111110
	.quad	286331153                       ; 0x11111111
	.quad	286331154                       ; 0x11111112
	.quad	286331408                       ; 0x11111210
	.quad	286331409                       ; 0x11111211
	.quad	286331410                       ; 0x11111212
	.quad	286396432                       ; 0x11121010
	.quad	286396433                       ; 0x11121011
	.quad	286396688                       ; 0x11121110
	.quad	286396689                       ; 0x11121111
	.quad	286396690                       ; 0x11121112
	.quad	286396944                       ; 0x11121210
	.quad	286396945                       ; 0x11121211
	.quad	286396946                       ; 0x11121212
	.quad	303042577                       ; 0x12101011
	.quad	303042832                       ; 0x12101110
	.quad	303042833                       ; 0x12101111
	.quad	303043089                       ; 0x12101211
	.quad	303043090                       ; 0x12101212
	.quad	303108112                       ; 0x12111010
	.quad	303108113                       ; 0x12111011
	.quad	303108368                       ; 0x12111110
	.quad	303108369                       ; 0x12111111
	.quad	303108370                       ; 0x12111112
	.quad	303108624                       ; 0x12111210
	.quad	303108625                       ; 0x12111211
	.quad	303173649                       ; 0x12121011
	.quad	303173904                       ; 0x12121110
	.quad	303173905                       ; 0x12121111
	.quad	303173906                       ; 0x12121112
	.quad	303174161                       ; 0x12121211
	.quad	269488160                       ; 0x10101020
	.quad	269488161                       ; 0x10101021
	.quad	269488162                       ; 0x10101022
	.quad	269488416                       ; 0x10101120
	.quad	269488418                       ; 0x10101122
	.quad	269488672                       ; 0x10101220
	.quad	269488673                       ; 0x10101221
	.quad	269553697                       ; 0x10111021
	.quad	269553952                       ; 0x10111120
	.quad	269553953                       ; 0x10111121
	.quad	269554208                       ; 0x10111220
	.quad	269554209                       ; 0x10111221
	.quad	269619232                       ; 0x10121020
	.quad	269619233                       ; 0x10121021
	.quad	269619234                       ; 0x10121022
	.quad	269619488                       ; 0x10121120
	.quad	269619489                       ; 0x10121121
	.quad	269619490                       ; 0x10121122
	.quad	269619744                       ; 0x10121220
	.quad	269619745                       ; 0x10121221
	.quad	286265377                       ; 0x11101021
	.quad	286265633                       ; 0x11101121
	.quad	286265634                       ; 0x11101122
	.quad	286265888                       ; 0x11101220
	.quad	286265889                       ; 0x11101221
	.quad	286265890                       ; 0x11101222
	.quad	286330912                       ; 0x11111020
	.quad	286330913                       ; 0x11111021
	.quad	286330914                       ; 0x11111022
	.quad	286331168                       ; 0x11111120
	.quad	286331169                       ; 0x11111121
	.quad	286331170                       ; 0x11111122
	.quad	286331424                       ; 0x11111220
	.quad	286331425                       ; 0x11111221
	.quad	286331426                       ; 0x11111222
	.quad	286396449                       ; 0x11121021
	.quad	286396704                       ; 0x11121120
	.quad	286396705                       ; 0x11121121
	.quad	286396961                       ; 0x11121221
	.quad	303042594                       ; 0x12101022
	.quad	303042849                       ; 0x12101121
	.quad	303042850                       ; 0x12101122
	.quad	303043104                       ; 0x12101220
	.quad	303043105                       ; 0x12101221
	.quad	303043106                       ; 0x12101222
	.quad	303108129                       ; 0x12111021
	.quad	303108385                       ; 0x12111121
	.quad	303108642                       ; 0x12111222
	.quad	303173666                       ; 0x12121022
	.quad	303173921                       ; 0x12121121
	.quad	303173922                       ; 0x12121122
	.quad	303174176                       ; 0x12121220
	.quad	303174177                       ; 0x12121221
	.quad	269492480                       ; 0x10102100
	.quad	269492481                       ; 0x10102101
	.quad	269492482                       ; 0x10102102
	.quad	269492737                       ; 0x10102201
	.quad	269557760                       ; 0x10112000
	.quad	269558017                       ; 0x10112101
	.quad	269558272                       ; 0x10112200
	.quad	269623297                       ; 0x10122001
	.quad	269623810                       ; 0x10122202
	.quad	286269697                       ; 0x11102101
	.quad	286269952                       ; 0x11102200
	.quad	286269954                       ; 0x11102202
	.quad	286334977                       ; 0x11112001
	.quad	286335232                       ; 0x11112100
	.quad	286335233                       ; 0x11112101
	.quad	286335234                       ; 0x11112102
	.quad	286335488                       ; 0x11112200
	.quad	286335489                       ; 0x11112201
	.quad	286400512                       ; 0x11122000
	.quad	286400514                       ; 0x11122002
	.quad	286400768                       ; 0x11122100
	.quad	286400769                       ; 0x11122101
	.quad	303046658                       ; 0x12102002
	.quad	303047169                       ; 0x12102201
	.quad	303112192                       ; 0x12112000
	.quad	303112194                       ; 0x12112002
	.quad	303112449                       ; 0x12112101
	.quad	303112704                       ; 0x12112200
	.quad	303177729                       ; 0x12122001
	.quad	303178241                       ; 0x12122201
	.quad	269492241                       ; 0x10102011
	.quad	269492242                       ; 0x10102012
	.quad	269492497                       ; 0x10102111
	.quad	269492754                       ; 0x10102212
	.quad	269557777                       ; 0x10112011
	.quad	269558032                       ; 0x10112110
	.quad	269558033                       ; 0x10112111
	.quad	269558034                       ; 0x10112112
	.quad	269558289                       ; 0x10112211
	.quad	269623569                       ; 0x10122111
	.quad	286269457                       ; 0x11102011
	.quad	286269712                       ; 0x11102110
	.quad	286269713                       ; 0x11102111
	.quad	286269714                       ; 0x11102112
	.quad	286269969                       ; 0x11102211
	.quad	286334992                       ; 0x11112010
	.quad	286334993                       ; 0x11112011
	.quad	286334994                       ; 0x11112012
	.quad	286335248                       ; 0x11112110
	.quad	286335249                       ; 0x11112111
	.quad	286335250                       ; 0x11112112
	.quad	286335504                       ; 0x11112210
	.quad	286335505                       ; 0x11112211
	.quad	286335506                       ; 0x11112212
	.quad	286400529                       ; 0x11122011
	.quad	286400784                       ; 0x11122110
	.quad	286400785                       ; 0x11122111
	.quad	286400786                       ; 0x11122112
	.quad	286401041                       ; 0x11122211
	.quad	303046673                       ; 0x12102011
	.quad	303046929                       ; 0x12102111
	.quad	303047185                       ; 0x12102211
	.quad	303112209                       ; 0x12112011
	.quad	303112464                       ; 0x12112110
	.quad	303112465                       ; 0x12112111
	.quad	303112466                       ; 0x12112112
	.quad	303112720                       ; 0x12112210
	.quad	303112721                       ; 0x12112211
	.quad	303178001                       ; 0x12122111
	.quad	269492512                       ; 0x10102120
	.quad	269492768                       ; 0x10102220
	.quad	269558049                       ; 0x10112121
	.quad	269558306                       ; 0x10112222
	.quad	269623328                       ; 0x10122020
	.quad	269623585                       ; 0x10122121
	.quad	269623586                       ; 0x10122122
	.quad	269623841                       ; 0x10122221
	.quad	286269729                       ; 0x11102121
	.quad	286269984                       ; 0x11102220
	.quad	286269985                       ; 0x11102221
	.quad	286335009                       ; 0x11112021
	.quad	286335265                       ; 0x11112121
	.quad	286335266                       ; 0x11112122
	.quad	286335520                       ; 0x11112220
	.quad	286335521                       ; 0x11112221
	.quad	286400546                       ; 0x11122022
	.quad	286400801                       ; 0x11122121
	.quad	286401056                       ; 0x11122220
	.quad	286401058                       ; 0x11122222
	.quad	303046689                       ; 0x12102021
	.quad	303047202                       ; 0x12102222
	.quad	303112226                       ; 0x12112022
	.quad	303112481                       ; 0x12112121
	.quad	303112482                       ; 0x12112122
	.quad	303112736                       ; 0x12112220
	.quad	303112738                       ; 0x12112222
	.quad	303177761                       ; 0x12122021
	.quad	270532865                       ; 0x10200101
	.quad	270598400                       ; 0x10210100
	.quad	270598402                       ; 0x10210102
	.quad	270598657                       ; 0x10210201
	.quad	270663937                       ; 0x10220101
	.quad	287310080                       ; 0x11200100
	.quad	287375360                       ; 0x11210000
	.quad	287375617                       ; 0x11210101
	.quad	287375618                       ; 0x11210102
	.quad	287375872                       ; 0x11210200
	.quad	287375874                       ; 0x11210202
	.quad	287440897                       ; 0x11220001
	.quad	287441152                       ; 0x11220100
	.quad	287441154                       ; 0x11220102
	.quad	287441409                       ; 0x11220201
	.quad	304087041                       ; 0x12200001
	.quad	304152834                       ; 0x12210102
	.quad	304218369                       ; 0x12220101
	.quad	270532625                       ; 0x10200011
	.quad	270532880                       ; 0x10200110
	.quad	270532882                       ; 0x10200112
	.quad	270533137                       ; 0x10200211
	.quad	270598162                       ; 0x10210012
	.quad	270598417                       ; 0x10210111
	.quad	270663697                       ; 0x10220011
	.quad	270663698                       ; 0x10220012
	.quad	270663954                       ; 0x10220112
	.quad	270664209                       ; 0x10220211
	.quad	287310097                       ; 0x11200111
	.quad	287310353                       ; 0x11200211
	.quad	287375377                       ; 0x11210011
	.quad	287375633                       ; 0x11210111
	.quad	287375634                       ; 0x11210112
	.quad	287375889                       ; 0x11210211
	.quad	287441169                       ; 0x11220111
	.quad	287441170                       ; 0x11220112
	.quad	287441426                       ; 0x11220212
	.quad	304087312                       ; 0x12200110
	.quad	304087570                       ; 0x12200212
	.quad	304152594                       ; 0x12210012
	.quad	304152849                       ; 0x12210111
	.quad	304218129                       ; 0x12220011
	.quad	304218386                       ; 0x12220112
	.quad	304218641                       ; 0x12220211
	.quad	270598177                       ; 0x10210021
	.quad	270598434                       ; 0x10210122
	.quad	270598689                       ; 0x10210221
	.quad	287309856                       ; 0x11200020
	.quad	287309857                       ; 0x11200021
	.quad	287310114                       ; 0x11200122
	.quad	287375649                       ; 0x11210121
	.quad	287375650                       ; 0x11210122
	.quad	287375904                       ; 0x11210220
	.quad	287440928                       ; 0x11220020
	.quad	304087329                       ; 0x12200121
	.quad	304152609                       ; 0x12210021
	.quad	304152866                       ; 0x12210122
	.quad	304218401                       ; 0x12220121
	.quad	270602241                       ; 0x10211001
	.quad	270602242                       ; 0x10211002
	.quad	270602497                       ; 0x10211101
	.quad	270602498                       ; 0x10211102
	.quad	270602754                       ; 0x10211202
	.quad	270667777                       ; 0x10221001
	.quad	270668034                       ; 0x10221102
	.quad	270668289                       ; 0x10221201
	.quad	287313920                       ; 0x11201000
	.quad	287313922                       ; 0x11201002
	.quad	287314177                       ; 0x11201101
	.quad	287314432                       ; 0x11201200
	.quad	287314434                       ; 0x11201202
	.quad	287379457                       ; 0x11211001
	.quad	287379712                       ; 0x11211100
	.quad	287379713                       ; 0x11211101
	.quad	287379714                       ; 0x11211102
	.quad	287379969                       ; 0x11211201
	.quad	287379970                       ; 0x11211202
	.quad	287444992                       ; 0x11221000
	.quad	287444994                       ; 0x11221002
	.quad	287445249                       ; 0x11221101
	.quad	304091392                       ; 0x12201100
	.quad	304091393                       ; 0x12201101
	.quad	304091649                       ; 0x12201201
	.quad	304156672                       ; 0x12211000
	.quad	304156674                       ; 0x12211002
	.quad	304156928                       ; 0x12211100
	.quad	304156929                       ; 0x12211101
	.quad	304156930                       ; 0x12211102
	.quad	304157184                       ; 0x12211200
	.quad	304157186                       ; 0x12211202
	.quad	304222209                       ; 0x12221001
	.quad	304222464                       ; 0x12221100
	.quad	304222721                       ; 0x12221201
	.quad	270536977                       ; 0x10201111
	.quad	270537232                       ; 0x10201210
	.quad	270537234                       ; 0x10201212
	.quad	270602257                       ; 0x10211011
	.quad	270602513                       ; 0x10211111
	.quad	270602514                       ; 0x10211112
	.quad	270602769                       ; 0x10211211
	.quad	287314192                       ; 0x11201110
	.quad	287314193                       ; 0x11201111
	.quad	287314194                       ; 0x11201112
	.quad	287314449                       ; 0x11201211
	.quad	287379472                       ; 0x11211010
	.quad	287379473                       ; 0x11211011
	.quad	287379728                       ; 0x11211110
	.quad	287379729                       ; 0x11211111
	.quad	287379730                       ; 0x11211112
	.quad	287379985                       ; 0x11211211
	.quad	287445009                       ; 0x11221011
	.quad	287445264                       ; 0x11221110
	.quad	287445265                       ; 0x11221111
	.quad	287445266                       ; 0x11221112
	.quad	287445521                       ; 0x11221211
	.quad	304091410                       ; 0x12201112
	.quad	304091665                       ; 0x12201211
	.quad	304091666                       ; 0x12201212
	.quad	304156689                       ; 0x12211011
	.quad	304156945                       ; 0x12211111
	.quad	304156946                       ; 0x12211112
	.quad	304157201                       ; 0x12211211
	.quad	304157202                       ; 0x12211212
	.quad	304222226                       ; 0x12221012
	.quad	304222481                       ; 0x12221111
	.quad	304222482                       ; 0x12221112
	.quad	304222736                       ; 0x12221210
	.quad	270536738                       ; 0x10201022
	.quad	270537249                       ; 0x10201221
	.quad	270602529                       ; 0x10211121
	.quad	270667808                       ; 0x10221020
	.quad	270668066                       ; 0x10221122
	.quad	270668320                       ; 0x10221220
	.quad	270668321                       ; 0x10221221
	.quad	287313952                       ; 0x11201020
	.quad	287314209                       ; 0x11201121
	.quad	287314464                       ; 0x11201220
	.quad	287314466                       ; 0x11201222
	.quad	287379489                       ; 0x11211021
	.quad	287379744                       ; 0x11211120
	.quad	287379745                       ; 0x11211121
	.quad	287379746                       ; 0x11211122
	.quad	287380000                       ; 0x11211220
	.quad	287380002                       ; 0x11211222
	.quad	287445024                       ; 0x11221020
	.quad	287445281                       ; 0x11221121
	.quad	287445536                       ; 0x11221220
	.quad	304091168                       ; 0x12201020
	.quad	304091170                       ; 0x12201022
	.quad	304091425                       ; 0x12201121
	.quad	304091682                       ; 0x12201222
	.quad	304156960                       ; 0x12211120
	.quad	304156962                       ; 0x12211122
	.quad	304157216                       ; 0x12211220
	.quad	304157217                       ; 0x12211221
	.quad	304222240                       ; 0x12221020
	.quad	304222496                       ; 0x12221120
	.quad	304222498                       ; 0x12221122
	.quad	304222754                       ; 0x12221222
	.quad	270606594                       ; 0x10212102
	.quad	270606849                       ; 0x10212201
	.quad	270672129                       ; 0x10222101
	.quad	287318017                       ; 0x11202001
	.quad	287383554                       ; 0x11212002
	.quad	287383809                       ; 0x11212101
	.quad	287384066                       ; 0x11212202
	.quad	287449089                       ; 0x11222001
	.quad	287449601                       ; 0x11222201
	.quad	304095489                       ; 0x12202101
	.quad	304160769                       ; 0x12212001
	.quad	304161280                       ; 0x12212200
	.quad	304226562                       ; 0x12222102
	.quad	270540817                       ; 0x10202011
	.quad	270541072                       ; 0x10202110
	.quad	270606352                       ; 0x10212010
	.quad	270606609                       ; 0x10212111
	.quad	270671889                       ; 0x10222011
	.quad	270672144                       ; 0x10222110
	.quad	270672146                       ; 0x10222112
	.quad	270672401                       ; 0x10222211
	.quad	287318032                       ; 0x11202010
	.quad	287318033                       ; 0x11202011
	.quad	287318289                       ; 0x11202111
	.quad	287318290                       ; 0x11202112
	.quad	287318544                       ; 0x11202210
	.quad	287383569                       ; 0x11212011
	.quad	287383824                       ; 0x11212110
	.quad	287383825                       ; 0x11212111
	.quad	287383826                       ; 0x11212112
	.quad	287384081                       ; 0x11212211
	.quad	287449104                       ; 0x11222010
	.quad	287449361                       ; 0x11222111
	.quad	287449618                       ; 0x11222212
	.quad	304095250                       ; 0x12202012
	.quad	304095504                       ; 0x12202110
	.quad	304095762                       ; 0x12202212
	.quad	304161041                       ; 0x12212111
	.quad	304226321                       ; 0x12222011
	.quad	304226576                       ; 0x12222110
	.quad	304226577                       ; 0x12222111
	.quad	304226833                       ; 0x12222211
	.quad	270606369                       ; 0x10212021
	.quad	270606626                       ; 0x10212122
	.quad	270606880                       ; 0x10212220
	.quad	287318049                       ; 0x11202021
	.quad	287318304                       ; 0x11202120
	.quad	287318561                       ; 0x11202221
	.quad	287383584                       ; 0x11212020
	.quad	287383841                       ; 0x11212121
	.quad	287384096                       ; 0x11212220
	.quad	287384098                       ; 0x11212222
	.quad	287449376                       ; 0x11222120
	.quad	287449377                       ; 0x11222121
	.quad	287449633                       ; 0x11222221
	.quad	304095522                       ; 0x12202122
	.quad	304161056                       ; 0x12212120
	.quad	304161312                       ; 0x12212220
	.quad	304161314                       ; 0x12212222
	.quad	304226594                       ; 0x12222122
	.quad	536870912                       ; 0x20000000
	.quad	536870914                       ; 0x20000002
	.quad	536871424                       ; 0x20000200
	.quad	536871426                       ; 0x20000202
	.quad	537001984                       ; 0x20020000
	.quad	537001986                       ; 0x20020002
	.quad	537002496                       ; 0x20020200
	.quad	537002498                       ; 0x20020202
	.quad	553648385                       ; 0x21000101
	.quad	553713664                       ; 0x21010000
	.quad	553713665                       ; 0x21010001
	.quad	553713920                       ; 0x21010100
	.quad	553713922                       ; 0x21010102
	.quad	553714177                       ; 0x21010201
	.quad	553779457                       ; 0x21020101
	.quad	570425344                       ; 0x22000000
	.quad	570425346                       ; 0x22000002
	.quad	570425856                       ; 0x22000200
	.quad	570425858                       ; 0x22000202
	.quad	570491137                       ; 0x22010101
	.quad	570556416                       ; 0x22020000
	.quad	570556418                       ; 0x22020002
	.quad	570556928                       ; 0x22020200
	.quad	570556930                       ; 0x22020202
	.quad	536871185                       ; 0x20000111
	.quad	536936465                       ; 0x20010011
	.quad	536936720                       ; 0x20010110
	.quad	536936722                       ; 0x20010112
	.quad	536936977                       ; 0x20010211
	.quad	537002257                       ; 0x20020111
	.quad	553648145                       ; 0x21000011
	.quad	553648400                       ; 0x21000110
	.quad	553648657                       ; 0x21000211
	.quad	553713680                       ; 0x21010010
	.quad	553713682                       ; 0x21010012
	.quad	553713937                       ; 0x21010111
	.quad	553713938                       ; 0x21010112
	.quad	553714192                       ; 0x21010210
	.quad	553714193                       ; 0x21010211
	.quad	553779472                       ; 0x21020110
	.quad	553779474                       ; 0x21020112
	.quad	553779729                       ; 0x21020211
	.quad	570425617                       ; 0x22000111
	.quad	570425873                       ; 0x22000211
	.quad	570491152                       ; 0x22010110
	.quad	570491154                       ; 0x22010112
	.quad	570491409                       ; 0x22010211
	.quad	570556689                       ; 0x22020111
	.quad	536870944                       ; 0x20000020
	.quad	536870946                       ; 0x20000022
	.quad	536871456                       ; 0x20000220
	.quad	536871458                       ; 0x20000222
	.quad	536936737                       ; 0x20010121
	.quad	537002016                       ; 0x20020020
	.quad	537002018                       ; 0x20020022
	.quad	537002528                       ; 0x20020220
	.quad	537002530                       ; 0x20020222
	.quad	553713697                       ; 0x21010021
	.quad	553713952                       ; 0x21010120
	.quad	553714209                       ; 0x21010221
	.quad	553779489                       ; 0x21020121
	.quad	570425376                       ; 0x22000020
	.quad	570425378                       ; 0x22000022
	.quad	570425888                       ; 0x22000220
	.quad	570425890                       ; 0x22000222
	.quad	570491169                       ; 0x22010121
	.quad	570556448                       ; 0x22020020
	.quad	570556450                       ; 0x22020022
	.quad	570556960                       ; 0x22020220
	.quad	570556962                       ; 0x22020222
	.quad	536940800                       ; 0x20011100
	.quad	536941057                       ; 0x20011201
	.quad	553652225                       ; 0x21001001
	.quad	553652480                       ; 0x21001100
	.quad	553717761                       ; 0x21011001
	.quad	553718017                       ; 0x21011101
	.quad	553718274                       ; 0x21011202
	.quad	553783297                       ; 0x21021001
	.quad	553783552                       ; 0x21021100
	.quad	553783809                       ; 0x21021201
	.quad	570495232                       ; 0x22011100
	.quad	570495489                       ; 0x22011201
	.quad	536875025                       ; 0x20001011
	.quad	536875537                       ; 0x20001211
	.quad	536940562                       ; 0x20011012
	.quad	536940817                       ; 0x20011111
	.quad	536941074                       ; 0x20011212
	.quad	537006354                       ; 0x20021112
	.quad	537006609                       ; 0x20021211
	.quad	553652240                       ; 0x21001010
	.quad	553652241                       ; 0x21001011
	.quad	553652497                       ; 0x21001111
	.quad	553652752                       ; 0x21001210
	.quad	553717777                       ; 0x21011011
	.quad	553718032                       ; 0x21011110
	.quad	553718033                       ; 0x21011111
	.quad	553718034                       ; 0x21011112
	.quad	553718289                       ; 0x21011211
	.quad	553718290                       ; 0x21011212
	.quad	553783569                       ; 0x21021111
	.quad	553783570                       ; 0x21021112
	.quad	553783824                       ; 0x21021210
	.quad	553783826                       ; 0x21021212
	.quad	570429457                       ; 0x22001011
	.quad	570429712                       ; 0x22001110
	.quad	570429714                       ; 0x22001112
	.quad	570429969                       ; 0x22001211
	.quad	570494992                       ; 0x22011010
	.quad	570494994                       ; 0x22011012
	.quad	570495249                       ; 0x22011111
	.quad	570495504                       ; 0x22011210
	.quad	570560786                       ; 0x22021112
	.quad	536940577                       ; 0x20011021
	.quad	536940834                       ; 0x20011122
	.quad	536941089                       ; 0x20011221
	.quad	537006369                       ; 0x20021121
	.quad	553652257                       ; 0x21001021
	.quad	553652512                       ; 0x21001120
	.quad	553652769                       ; 0x21001221
	.quad	553652770                       ; 0x21001222
	.quad	553717792                       ; 0x21011020
	.quad	553718049                       ; 0x21011121
	.quad	553718305                       ; 0x21011221
	.quad	553718306                       ; 0x21011222
	.quad	553783329                       ; 0x21021021
	.quad	553783586                       ; 0x21021122
	.quad	553783842                       ; 0x21021222
	.quad	570429729                       ; 0x22001121
	.quad	570495009                       ; 0x22011021
	.quad	570495522                       ; 0x22011222
	.quad	570560800                       ; 0x22021120
	.quad	536879104                       ; 0x20002000
	.quad	536879106                       ; 0x20002002
	.quad	536879616                       ; 0x20002200
	.quad	536879618                       ; 0x20002202
	.quad	536944897                       ; 0x20012101
	.quad	537010176                       ; 0x20022000
	.quad	537010178                       ; 0x20022002
	.quad	537010688                       ; 0x20022200
	.quad	537010690                       ; 0x20022202
	.quad	553656321                       ; 0x21002001
	.quad	553656577                       ; 0x21002101
	.quad	553721857                       ; 0x21012001
	.quad	553722112                       ; 0x21012100
	.quad	553722369                       ; 0x21012201
	.quad	553787649                       ; 0x21022101
	.quad	553787905                       ; 0x21022201
	.quad	570433536                       ; 0x22002000
	.quad	570433538                       ; 0x22002002
	.quad	570434048                       ; 0x22002200
	.quad	570434050                       ; 0x22002202
	.quad	570499329                       ; 0x22012101
	.quad	570564608                       ; 0x22022000
	.quad	570564610                       ; 0x22022002
	.quad	570565120                       ; 0x22022200
	.quad	570565122                       ; 0x22022202
	.quad	536879377                       ; 0x20002111
	.quad	536879378                       ; 0x20002112
	.quad	536944657                       ; 0x20012011
	.quad	536944912                       ; 0x20012110
	.quad	536944914                       ; 0x20012112
	.quad	537010449                       ; 0x20022111
	.quad	553656337                       ; 0x21002011
	.quad	553656592                       ; 0x21002110
	.quad	553656594                       ; 0x21002112
	.quad	553656849                       ; 0x21002211
	.quad	553721872                       ; 0x21012010
	.quad	553721874                       ; 0x21012012
	.quad	553722129                       ; 0x21012111
	.quad	553722386                       ; 0x21012212
	.quad	553787409                       ; 0x21022011
	.quad	553787664                       ; 0x21022110
	.quad	570433809                       ; 0x22002111
	.quad	570499346                       ; 0x22012112
	.quad	570499601                       ; 0x22012211
	.quad	570564881                       ; 0x22022111
	.quad	536879136                       ; 0x20002020
	.quad	536879138                       ; 0x20002022
	.quad	536879648                       ; 0x20002220
	.quad	536879650                       ; 0x20002222
	.quad	536944929                       ; 0x20012121
	.quad	537010208                       ; 0x20022020
	.quad	537010210                       ; 0x20022022
	.quad	537010720                       ; 0x20022220
	.quad	537010722                       ; 0x20022222
	.quad	553656609                       ; 0x21002121
	.quad	553721889                       ; 0x21012021
	.quad	553722144                       ; 0x21012120
	.quad	553722146                       ; 0x21012122
	.quad	570433568                       ; 0x22002020
	.quad	570433570                       ; 0x22002022
	.quad	570434080                       ; 0x22002220
	.quad	570434082                       ; 0x22002222
	.quad	570499361                       ; 0x22012121
	.quad	570564640                       ; 0x22022020
	.quad	570564642                       ; 0x22022022
	.quad	570565152                       ; 0x22022220
	.quad	570565154                       ; 0x22022222
	.quad	537919745                       ; 0x20100101
	.quad	537985025                       ; 0x20110001
	.quad	537985282                       ; 0x20110102
	.quad	537985536                       ; 0x20110200
	.quad	537985537                       ; 0x20110201
	.quad	538050817                       ; 0x20120101
	.quad	554696705                       ; 0x21100001
	.quad	554696962                       ; 0x21100102
	.quad	554697217                       ; 0x21100201
	.quad	554762497                       ; 0x21110101
	.quad	554762752                       ; 0x21110200
	.quad	554762754                       ; 0x21110202
	.quad	554828289                       ; 0x21120201
	.quad	554828290                       ; 0x21120202
	.quad	571474177                       ; 0x22100101
	.quad	571539457                       ; 0x22110001
	.quad	571539712                       ; 0x22110100
	.quad	571539714                       ; 0x22110102
	.quad	571539969                       ; 0x22110201
	.quad	571605249                       ; 0x22120101
	.quad	537919505                       ; 0x20100011
	.quad	537919760                       ; 0x20100110
	.quad	537919762                       ; 0x20100112
	.quad	537920017                       ; 0x20100211
	.quad	537985040                       ; 0x20110010
	.quad	537985297                       ; 0x20110111
	.quad	537985552                       ; 0x20110210
	.quad	537985554                       ; 0x20110212
	.quad	538050577                       ; 0x20120011
	.quad	538050832                       ; 0x20120110
	.quad	538050834                       ; 0x20120112
	.quad	538051089                       ; 0x20120211
	.quad	554696720                       ; 0x21100010
	.quad	554696977                       ; 0x21100111
	.quad	554762256                       ; 0x21110010
	.quad	554762257                       ; 0x21110011
	.quad	554762512                       ; 0x21110110
	.quad	554762513                       ; 0x21110111
	.quad	554762514                       ; 0x21110112
	.quad	554762769                       ; 0x21110211
	.quad	554827794                       ; 0x21120012
	.quad	554828049                       ; 0x21120111
	.quad	571474192                       ; 0x22100110
	.quad	571474194                       ; 0x22100112
	.quad	571539474                       ; 0x22110012
	.quad	571539729                       ; 0x22110111
	.quad	571539984                       ; 0x22110210
	.quad	571605009                       ; 0x22120011
	.quad	571605264                       ; 0x22120110
	.quad	571605266                       ; 0x22120112
	.quad	571605521                       ; 0x22120211
	.quad	537919777                       ; 0x20100121
	.quad	537985057                       ; 0x20110021
	.quad	537985312                       ; 0x20110120
	.quad	537985569                       ; 0x20110221
	.quad	538050849                       ; 0x20120121
	.quad	554696992                       ; 0x21100120
	.quad	554696994                       ; 0x21100122
	.quad	554697249                       ; 0x21100221
	.quad	554762272                       ; 0x21110020
	.quad	554762274                       ; 0x21110022
	.quad	554762529                       ; 0x21110121
	.quad	554762784                       ; 0x21110220
	.quad	554828066                       ; 0x21120122
	.quad	554828321                       ; 0x21120221
	.quad	571474209                       ; 0x22100121
	.quad	571539744                       ; 0x22110120
	.quad	571539746                       ; 0x22110122
	.quad	571605537                       ; 0x22120221
	.quad	537923585                       ; 0x20101001
	.quad	537923840                       ; 0x20101100
	.quad	537923842                       ; 0x20101102
	.quad	537989120                       ; 0x20111000
	.quad	537989377                       ; 0x20111101
	.quad	537989632                       ; 0x20111200
	.quad	538054914                       ; 0x20121102
	.quad	554700800                       ; 0x21101000
	.quad	554701314                       ; 0x21101202
	.quad	554766337                       ; 0x21111001
	.quad	554766592                       ; 0x21111100
	.quad	554766593                       ; 0x21111101
	.quad	554766594                       ; 0x21111102
	.quad	554766848                       ; 0x21111200
	.quad	554766849                       ; 0x21111201
	.quad	554831872                       ; 0x21121000
	.quad	554831873                       ; 0x21121001
	.quad	554831874                       ; 0x21121002
	.quad	554832129                       ; 0x21121101
	.quad	571478272                       ; 0x22101100
	.quad	571478274                       ; 0x22101102
	.quad	571543554                       ; 0x22111002
	.quad	571543808                       ; 0x22111100
	.quad	571543809                       ; 0x22111101
	.quad	571544064                       ; 0x22111200
	.quad	571609089                       ; 0x22121001
	.quad	571609601                       ; 0x22121201
	.quad	537923600                       ; 0x20101010
	.quad	537923857                       ; 0x20101111
	.quad	537924112                       ; 0x20101210
	.quad	537924114                       ; 0x20101212
	.quad	537989136                       ; 0x20111010
	.quad	537989137                       ; 0x20111011
	.quad	537989392                       ; 0x20111110
	.quad	537989393                       ; 0x20111111
	.quad	537989394                       ; 0x20111112
	.quad	537989649                       ; 0x20111211
	.quad	538054673                       ; 0x20121011
	.quad	538054929                       ; 0x20121111
	.quad	538055185                       ; 0x20121211
	.quad	538055186                       ; 0x20121212
	.quad	554700817                       ; 0x21101011
	.quad	554701072                       ; 0x21101110
	.quad	554701073                       ; 0x21101111
	.quad	554701074                       ; 0x21101112
	.quad	554701329                       ; 0x21101211
	.quad	554766352                       ; 0x21111010
	.quad	554766353                       ; 0x21111011
	.quad	554766354                       ; 0x21111012
	.quad	554766608                       ; 0x21111110
	.quad	554766609                       ; 0x21111111
	.quad	554766610                       ; 0x21111112
	.quad	554766864                       ; 0x21111210
	.quad	554766865                       ; 0x21111211
	.quad	554766866                       ; 0x21111212
	.quad	554831889                       ; 0x21121011
	.quad	554832144                       ; 0x21121110
	.quad	554832145                       ; 0x21121111
	.quad	554832146                       ; 0x21121112
	.quad	554832401                       ; 0x21121211
	.quad	571478033                       ; 0x22101011
	.quad	571478289                       ; 0x22101111
	.quad	571478544                       ; 0x22101210
	.quad	571543569                       ; 0x22111011
	.quad	571543570                       ; 0x22111012
	.quad	571543824                       ; 0x22111110
	.quad	571543825                       ; 0x22111111
	.quad	571543826                       ; 0x22111112
	.quad	571544081                       ; 0x22111211
	.quad	571544082                       ; 0x22111212
	.quad	571609104                       ; 0x22121010
	.quad	571609106                       ; 0x22121012
	.quad	571609361                       ; 0x22121111
	.quad	571609616                       ; 0x22121210
	.quad	571609618                       ; 0x22121212
	.quad	537923617                       ; 0x20101021
	.quad	537923872                       ; 0x20101120
	.quad	537989152                       ; 0x20111020
	.quad	537989409                       ; 0x20111121
	.quad	537989665                       ; 0x20111221
	.quad	538054688                       ; 0x20121020
	.quad	538054946                       ; 0x20121122
	.quad	538055201                       ; 0x20121221
	.quad	554701089                       ; 0x21101121
	.quad	554701344                       ; 0x21101220
	.quad	554701345                       ; 0x21101221
	.quad	554766369                       ; 0x21111021
	.quad	554766370                       ; 0x21111022
	.quad	554766625                       ; 0x21111121
	.quad	554766626                       ; 0x21111122
	.quad	554766881                       ; 0x21111221
	.quad	554832161                       ; 0x21121121
	.quad	554832416                       ; 0x21121220
	.quad	571478050                       ; 0x22101022
	.quad	571478304                       ; 0x22101120
	.quad	571478561                       ; 0x22101221
	.quad	571478562                       ; 0x22101222
	.quad	571543586                       ; 0x22111022
	.quad	571543840                       ; 0x22111120
	.quad	571543841                       ; 0x22111121
	.quad	571609376                       ; 0x22121120
	.quad	571609378                       ; 0x22121122
	.quad	571609633                       ; 0x22121221
	.quad	537927937                       ; 0x20102101
	.quad	537993474                       ; 0x20112102
	.quad	537993729                       ; 0x20112201
	.quad	538059009                       ; 0x20122101
	.quad	554704897                       ; 0x21102001
	.quad	554705154                       ; 0x21102102
	.quad	554770432                       ; 0x21112000
	.quad	554770434                       ; 0x21112002
	.quad	554770689                       ; 0x21112101
	.quad	554770690                       ; 0x21112102
	.quad	554770946                       ; 0x21112202
	.quad	554836224                       ; 0x21122100
	.quad	554836225                       ; 0x21122101
	.quad	571482369                       ; 0x22102101
	.quad	571547649                       ; 0x22112001
	.quad	571547906                       ; 0x22112102
	.quad	571548161                       ; 0x22112201
	.quad	571613441                       ; 0x22122101
	.quad	537927952                       ; 0x20102110
	.quad	537927954                       ; 0x20102112
	.quad	537928209                       ; 0x20102211
	.quad	537993232                       ; 0x20112010
	.quad	537993234                       ; 0x20112012
	.quad	537993489                       ; 0x20112111
	.quad	537993744                       ; 0x20112210
	.quad	537993746                       ; 0x20112212
	.quad	538058768                       ; 0x20122010
	.quad	538058769                       ; 0x20122011
	.quad	538059024                       ; 0x20122110
	.quad	538059026                       ; 0x20122112
	.quad	554704912                       ; 0x21102010
	.quad	554704914                       ; 0x21102012
	.quad	554705169                       ; 0x21102111
	.quad	554705424                       ; 0x21102210
	.quad	554705426                       ; 0x21102212
	.quad	554770449                       ; 0x21112011
	.quad	554770704                       ; 0x21112110
	.quad	554770705                       ; 0x21112111
	.quad	554770706                       ; 0x21112112
	.quad	554770961                       ; 0x21112211
	.quad	554835986                       ; 0x21122012
	.quad	554836241                       ; 0x21122111
	.quad	554836242                       ; 0x21122112
	.quad	554836498                       ; 0x21122212
	.quad	571482129                       ; 0x22102011
	.quad	571482384                       ; 0x22102110
	.quad	571547664                       ; 0x22112010
	.quad	571547666                       ; 0x22112012
	.quad	571547921                       ; 0x22112111
	.quad	571548178                       ; 0x22112212
	.quad	571613201                       ; 0x22122011
	.quad	571613458                       ; 0x22122112
	.quad	537927969                       ; 0x20102121
	.quad	537993505                       ; 0x20112121
	.quad	538059041                       ; 0x20122121
	.quad	554705184                       ; 0x21102120
	.quad	554705186                       ; 0x21102122
	.quad	554705441                       ; 0x21102221
	.quad	554770464                       ; 0x21112020
	.quad	554770721                       ; 0x21112121
	.quad	554770976                       ; 0x21112220
	.quad	554836001                       ; 0x21122021
	.quad	571482401                       ; 0x22102121
	.quad	571547681                       ; 0x22112021
	.quad	571547936                       ; 0x22112120
	.quad	571547937                       ; 0x22112121
	.quad	571547938                       ; 0x22112122
	.quad	538968064                       ; 0x20200000
	.quad	538968066                       ; 0x20200002
	.quad	538968576                       ; 0x20200200
	.quad	538968578                       ; 0x20200202
	.quad	539033857                       ; 0x20210101
	.quad	539099136                       ; 0x20220000
	.quad	539099138                       ; 0x20220002
	.quad	539099648                       ; 0x20220200
	.quad	539099650                       ; 0x20220202
	.quad	555745537                       ; 0x21200101
	.quad	555810817                       ; 0x21210001
	.quad	555811072                       ; 0x21210100
	.quad	555811074                       ; 0x21210102
	.quad	555811329                       ; 0x21210201
	.quad	572522496                       ; 0x22200000
	.quad	572522498                       ; 0x22200002
	.quad	572523008                       ; 0x22200200
	.quad	572523010                       ; 0x22200202
	.quad	572588289                       ; 0x22210101
	.quad	572653568                       ; 0x22220000
	.quad	572653570                       ; 0x22220002
	.quad	572654080                       ; 0x22220200
	.quad	572654082                       ; 0x22220202
	.quad	538968337                       ; 0x20200111
	.quad	538968593                       ; 0x20200211
	.quad	539033617                       ; 0x20210011
	.quad	539033872                       ; 0x20210110
	.quad	539033874                       ; 0x20210112
	.quad	539034129                       ; 0x20210211
	.quad	539034130                       ; 0x20210212
	.quad	555745554                       ; 0x21200112
	.quad	555745809                       ; 0x21200211
	.quad	555810833                       ; 0x21210011
	.quad	555811089                       ; 0x21210111
	.quad	555811344                       ; 0x21210210
	.quad	555811346                       ; 0x21210212
	.quad	555876369                       ; 0x21220011
	.quad	555876624                       ; 0x21220110
	.quad	572522769                       ; 0x22200111
	.quad	572588048                       ; 0x22210010
	.quad	572588050                       ; 0x22210012
	.quad	572588306                       ; 0x22210112
	.quad	572588561                       ; 0x22210211
	.quad	538968098                       ; 0x20200022
	.quad	538968608                       ; 0x20200220
	.quad	538968610                       ; 0x20200222
	.quad	539033632                       ; 0x20210020
	.quad	539034145                       ; 0x20210221
	.quad	539099170                       ; 0x20220022
	.quad	539099680                       ; 0x20220220
	.quad	539099682                       ; 0x20220222
	.quad	555745569                       ; 0x21200121
	.quad	555810849                       ; 0x21210021
	.quad	555811106                       ; 0x21210122
	.quad	555811361                       ; 0x21210221
	.quad	555876641                       ; 0x21220121
	.quad	572522528                       ; 0x22200020
	.quad	572522530                       ; 0x22200022
	.quad	572523040                       ; 0x22200220
	.quad	572523042                       ; 0x22200222
	.quad	572588321                       ; 0x22210121
	.quad	572653600                       ; 0x22220020
	.quad	572653602                       ; 0x22220022
	.quad	572654112                       ; 0x22220220
	.quad	572654114                       ; 0x22220222
	.quad	539038209                       ; 0x20211201
	.quad	539103489                       ; 0x20221101
	.quad	555749377                       ; 0x21201001
	.quad	555749632                       ; 0x21201100
	.quad	555814912                       ; 0x21211000
	.quad	555815168                       ; 0x21211100
	.quad	555815169                       ; 0x21211101
	.quad	555815424                       ; 0x21211200
	.quad	555815426                       ; 0x21211202
	.quad	555880449                       ; 0x21221001
	.quad	555880705                       ; 0x21221101
	.quad	555880706                       ; 0x21221102
	.quad	555880960                       ; 0x21221200
	.quad	555880961                       ; 0x21221201
	.quad	572526849                       ; 0x22201101
	.quad	538972434                       ; 0x20201112
	.quad	538972689                       ; 0x20201211
	.quad	539037712                       ; 0x20211010
	.quad	539037714                       ; 0x20211012
	.quad	539037969                       ; 0x20211111
	.quad	539038224                       ; 0x20211210
	.quad	539103506                       ; 0x20221112
	.quad	539103761                       ; 0x20221211
	.quad	555749394                       ; 0x21201012
	.quad	555749649                       ; 0x21201111
	.quad	555814929                       ; 0x21211011
	.quad	555815184                       ; 0x21211110
	.quad	555815185                       ; 0x21211111
	.quad	555815186                       ; 0x21211112
	.quad	555815441                       ; 0x21211211
	.quad	555880721                       ; 0x21221111
	.quad	555880978                       ; 0x21221212
	.quad	572526609                       ; 0x22201011
	.quad	572526864                       ; 0x22201110
	.quad	572526865                       ; 0x22201111
	.quad	572526866                       ; 0x22201112
	.quad	572527121                       ; 0x22201211
	.quad	572592146                       ; 0x22211012
	.quad	572592401                       ; 0x22211111
	.quad	572592656                       ; 0x22211210
	.quad	538972449                       ; 0x20201121
	.quad	539037729                       ; 0x20211021
	.quad	539037986                       ; 0x20211122
	.quad	539038242                       ; 0x20211222
	.quad	539103265                       ; 0x20221021
	.quad	539103521                       ; 0x20221121
	.quad	555749664                       ; 0x21201120
	.quad	555749666                       ; 0x21201122
	.quad	555749922                       ; 0x21201222
	.quad	555814946                       ; 0x21211022
	.quad	555815201                       ; 0x21211121
	.quad	555815202                       ; 0x21211122
	.quad	555815456                       ; 0x21211220
	.quad	555880480                       ; 0x21221020
	.quad	555880482                       ; 0x21221022
	.quad	572526882                       ; 0x22201122
	.quad	572592160                       ; 0x22211020
	.quad	572592417                       ; 0x22211121
	.quad	572592418                       ; 0x22211122
	.quad	572592673                       ; 0x22211221
	.quad	572657697                       ; 0x22221021
	.quad	572657952                       ; 0x22221120
	.quad	572657954                       ; 0x22221122
	.quad	538976256                       ; 0x20202000
	.quad	538976258                       ; 0x20202002
	.quad	538976768                       ; 0x20202200
	.quad	538976770                       ; 0x20202202
	.quad	539107328                       ; 0x20222000
	.quad	539107330                       ; 0x20222002
	.quad	539107840                       ; 0x20222200
	.quad	539107842                       ; 0x20222202
	.quad	555819009                       ; 0x21212001
	.quad	555819264                       ; 0x21212100
	.quad	555819266                       ; 0x21212102
	.quad	555819521                       ; 0x21212201
	.quad	572530688                       ; 0x22202000
	.quad	572530690                       ; 0x22202002
	.quad	572531200                       ; 0x22202200
	.quad	572531202                       ; 0x22202202
	.quad	572596481                       ; 0x22212101
	.quad	572661760                       ; 0x22222000
	.quad	572661762                       ; 0x22222002
	.quad	572662272                       ; 0x22222200
	.quad	572662274                       ; 0x22222202
	.quad	538976529                       ; 0x20202111
	.quad	539042064                       ; 0x20212110
	.quad	539042321                       ; 0x20212211
	.quad	539107345                       ; 0x20222011
	.quad	539107601                       ; 0x20222111
	.quad	555753489                       ; 0x21202011
	.quad	555819024                       ; 0x21212010
	.quad	555819281                       ; 0x21212111
	.quad	555819538                       ; 0x21212212
	.quad	555884561                       ; 0x21222011
	.quad	555884818                       ; 0x21222112
	.quad	555885073                       ; 0x21222211
	.quad	572596240                       ; 0x22212010
	.quad	572596498                       ; 0x22212112
	.quad	538976288                       ; 0x20202020
	.quad	538976290                       ; 0x20202022
	.quad	538976800                       ; 0x20202220
	.quad	538976802                       ; 0x20202222
	.quad	539107360                       ; 0x20222020
	.quad	539107362                       ; 0x20222022
	.quad	539107872                       ; 0x20222220
	.quad	539107874                       ; 0x20222222
	.quad	555819041                       ; 0x21212021
	.quad	555819296                       ; 0x21212120
	.quad	555819298                       ; 0x21212122
	.quad	572530720                       ; 0x22202020
	.quad	572530722                       ; 0x22202022
	.quad	572531232                       ; 0x22202220
	.quad	572531234                       ; 0x22202222
	.quad	572596513                       ; 0x22212121
	.quad	572661792                       ; 0x22222020
	.quad	572661794                       ; 0x22222022
	.quad	572662304                       ; 0x22222220
	.quad	572662306                       ; 0x22222222
	.size	_ZL13iq1s_grid_gpu, 16384

	.type	_ZL13kvalues_iq4nl,@object      ; @_ZL13kvalues_iq4nl
	.section	.rodata.cst16,"aM",@progbits,16
	.p2align	4, 0x0
_ZL13kvalues_iq4nl:
	.ascii	"\201\230\255\277\317\335\352\366\001\r\031&5EYq"
	.size	_ZL13kvalues_iq4nl, 16

	.type	_ZL10iq3xs_grid,@object         ; @_ZL10iq3xs_grid
	.section	.rodata,"a",@progbits
	.p2align	4, 0x0
_ZL10iq3xs_grid:
	.long	67372036                        ; 0x4040404
	.long	67372044                        ; 0x404040c
	;; [unrolled: 1-line block ×109, first 2 shown]
	.long	201589764                       ; 0xc040404
	.long	201589772                       ; 0xc04040c
	;; [unrolled: 1-line block ×368, first 2 shown]
	.long	1040450564                      ; 0x3e040404
	.long	1040450596                      ; 0x3e040424
	;; [unrolled: 1-line block ×35, first 2 shown]
	.size	_ZL10iq3xs_grid, 2048

	.type	_ZL9iq2s_grid,@object           ; @_ZL9iq2s_grid
	.p2align	4, 0x0
_ZL9iq2s_grid:
	.quad	578721382704613384              ; 0x808080808080808
	.quad	578721382704613419              ; 0x80808080808082b
	.quad	578721382704617753              ; 0x808080808081919
	.quad	578721382704622344              ; 0x808080808082b08
	.quad	578721382704622379              ; 0x808080808082b2b
	.quad	578721382705727513              ; 0x808080808190819
	.quad	578721382705731848              ; 0x808080808191908
	.quad	578721382705731883              ; 0x80808080819192b
	.quad	578721382705736473              ; 0x808080808192b19
	.quad	578721382706907144              ; 0x8080808082b0808
	.quad	578721382706907179              ; 0x8080808082b082b
	.quad	578721382706911513              ; 0x8080808082b1919
	.quad	578721382706916104              ; 0x8080808082b2b08
	.quad	578721382989826073              ; 0x808080819080819
	.quad	578721382989830408              ; 0x808080819081908
	.quad	578721382989830443              ; 0x80808081908192b
	.quad	578721382989835033              ; 0x808080819082b19
	.quad	578721382990940168              ; 0x808080819190808
	.quad	578721382990940203              ; 0x80808081919082b
	.quad	578721382990944537              ; 0x808080819191919
	.quad	578721382990949128              ; 0x808080819192b08
	.quad	578721382992119833              ; 0x8080808192b0819
	.quad	578721382992124168              ; 0x8080808192b1908
	.quad	578721382992124203              ; 0x8080808192b192b
	.quad	578721382992128793              ; 0x8080808192b2b19
	.quad	578721383291815944              ; 0x80808082b080808
	.quad	578721383291815979              ; 0x80808082b08082b
	.quad	578721383291820313              ; 0x80808082b081919
	.quad	578721383291824904              ; 0x80808082b082b08
	.quad	578721383292930073              ; 0x80808082b190819
	.quad	578721383292934408              ; 0x80808082b191908
	.quad	578721383294109704              ; 0x80808082b2b0808
	.quad	578721383294114073              ; 0x80808082b2b1919
	.quad	578721383294118699              ; 0x80808082b2b2b2b
	.quad	578721455719057433              ; 0x808081908080819
	.quad	578721455719061768              ; 0x808081908081908
	.quad	578721455719061803              ; 0x80808190808192b
	.quad	578721455719066393              ; 0x808081908082b19
	.quad	578721455720171528              ; 0x808081908190808
	.quad	578721455720171563              ; 0x80808190819082b
	.quad	578721455720175897              ; 0x808081908191919
	.quad	578721455720180488              ; 0x808081908192b08
	.quad	578721455721351193              ; 0x8080819082b0819
	.quad	578721455721355528              ; 0x8080819082b1908
	.quad	578721456004270088              ; 0x808081919080808
	.quad	578721456004270123              ; 0x80808191908082b
	.quad	578721456004274457              ; 0x808081919081919
	.quad	578721456004279048              ; 0x808081919082b08
	.quad	578721456005384217              ; 0x808081919190819
	.quad	578721456005388552              ; 0x808081919191908
	.quad	578721456005388587              ; 0x80808191919192b
	.quad	578721456005393177              ; 0x808081919192b19
	.quad	578721456006563848              ; 0x8080819192b0808
	.quad	578721456006568217              ; 0x8080819192b1919
	.quad	578721456006572808              ; 0x8080819192b2b08
	.quad	578721456306259993              ; 0x80808192b080819
	.quad	578721456306264328              ; 0x80808192b081908
	.quad	578721456307374088              ; 0x80808192b190808
	.quad	578721456307374123              ; 0x80808192b19082b
	.quad	578721456307378457              ; 0x80808192b191919
	.quad	578721456308553753              ; 0x80808192b2b0819
	.quad	578721456308558088              ; 0x80808192b2b1908
	.quad	578721533028468744              ; 0x808082b08080808
	.quad	578721533028468779              ; 0x808082b0808082b
	.quad	578721533028473113              ; 0x808082b08081919
	.quad	578721533028477704              ; 0x808082b08082b08
	.quad	578721533029582873              ; 0x808082b08190819
	.quad	578721533029587208              ; 0x808082b08191908
	.quad	578721533030762504              ; 0x808082b082b0808
	.quad	578721533030771499              ; 0x808082b082b2b2b
	.quad	578721533313681433              ; 0x808082b19080819
	.quad	578721533313685768              ; 0x808082b19081908
	.quad	578721533313685803              ; 0x808082b1908192b
	.quad	578721533313690393              ; 0x808082b19082b19
	.quad	578721533314795528              ; 0x808082b19190808
	.quad	578721533314799897              ; 0x808082b19191919
	.quad	578721533615671304              ; 0x808082b2b080808
	.quad	578721533615675673              ; 0x808082b2b081919
	.quad	578721533615680299              ; 0x808082b2b082b2b
	.quad	578721533616789768              ; 0x808082b2b191908
	.quad	578721533617965099              ; 0x808082b2b2b082b
	.quad	578740074402285593              ; 0x808190808080819
	.quad	578740074402289928              ; 0x808190808081908
	.quad	578740074402289963              ; 0x80819080808192b
	.quad	578740074402294553              ; 0x808190808082b19
	.quad	578740074403399688              ; 0x808190808190808
	.quad	578740074403399723              ; 0x80819080819082b
	.quad	578740074403404057              ; 0x808190808191919
	.quad	578740074403408648              ; 0x808190808192b08
	.quad	578740074404579353              ; 0x8081908082b0819
	.quad	578740074404583688              ; 0x8081908082b1908
	.quad	578740074404583723              ; 0x8081908082b192b
	.quad	578740074404588313              ; 0x8081908082b2b19
	.quad	578740074687498248              ; 0x808190819080808
	.quad	578740074687498283              ; 0x80819081908082b
	.quad	578740074687502617              ; 0x808190819081919
	.quad	578740074687507208              ; 0x808190819082b08
	.quad	578740074687507243              ; 0x808190819082b2b
	.quad	578740074688612377              ; 0x808190819190819
	.quad	578740074688616712              ; 0x808190819191908
	.quad	578740074688616747              ; 0x80819081919192b
	.quad	578740074688621337              ; 0x808190819192b19
	.quad	578740074689792008              ; 0x8081908192b0808
	.quad	578740074689792043              ; 0x8081908192b082b
	.quad	578740074689796377              ; 0x8081908192b1919
	.quad	578740074989488153              ; 0x80819082b080819
	.quad	578740074989492488              ; 0x80819082b081908
	.quad	578740074989492523              ; 0x80819082b08192b
	.quad	578740074989497113              ; 0x80819082b082b19
	.quad	578740074990602248              ; 0x80819082b190808
	.quad	578740074990606617              ; 0x80819082b191919
	.quad	578740074990611208              ; 0x80819082b192b08
	.quad	578740074991781913              ; 0x80819082b2b0819
	.quad	578740074991786248              ; 0x80819082b2b1908
	.quad	578740147416729608              ; 0x808191908080808
	.quad	578740147416729643              ; 0x80819190808082b
	.quad	578740147416733977              ; 0x808191908081919
	.quad	578740147416738568              ; 0x808191908082b08
	.quad	578740147416738603              ; 0x808191908082b2b
	.quad	578740147417843737              ; 0x808191908190819
	.quad	578740147417848072              ; 0x808191908191908
	.quad	578740147417848107              ; 0x80819190819192b
	.quad	578740147417852697              ; 0x808191908192b19
	.quad	578740147419023368              ; 0x8081919082b0808
	.quad	578740147419027737              ; 0x8081919082b1919
	.quad	578740147419032328              ; 0x8081919082b2b08
	.quad	578740147701942297              ; 0x808191919080819
	.quad	578740147701946632              ; 0x808191919081908
	.quad	578740147701946667              ; 0x80819191908192b
	.quad	578740147701951257              ; 0x808191919082b19
	.quad	578740147703056392              ; 0x808191919190808
	.quad	578740147703056427              ; 0x80819191919082b
	.quad	578740147703060761              ; 0x808191919191919
	.quad	578740147703065352              ; 0x808191919192b08
	.quad	578740147704236057              ; 0x8081919192b0819
	.quad	578740147704240392              ; 0x8081919192b1908
	.quad	578740148003932168              ; 0x80819192b080808
	.quad	578740148003932203              ; 0x80819192b08082b
	.quad	578740148003936537              ; 0x80819192b081919
	.quad	578740148003941128              ; 0x80819192b082b08
	.quad	578740148005046297              ; 0x80819192b190819
	.quad	578740148005050632              ; 0x80819192b191908
	.quad	578740148006225928              ; 0x80819192b2b0808
	.quad	578740224726140953              ; 0x808192b08080819
	.quad	578740224726145288              ; 0x808192b08081908
	.quad	578740224726145323              ; 0x808192b0808192b
	.quad	578740224726149913              ; 0x808192b08082b19
	.quad	578740224727255048              ; 0x808192b08190808
	.quad	578740224727259417              ; 0x808192b08191919
	.quad	578740225011353608              ; 0x808192b19080808
	.quad	578740225011357977              ; 0x808192b19081919
	.quad	578740225011362568              ; 0x808192b19082b08
	.quad	578740225012467737              ; 0x808192b19190819
	.quad	578740225012472072              ; 0x808192b19191908
	.quad	578740225013647368              ; 0x808192b192b0808
	.quad	578740225313343513              ; 0x808192b2b080819
	.quad	578740225313347848              ; 0x808192b2b081908
	.quad	578740225314457608              ; 0x808192b2b190808
	.quad	578759865611585544              ; 0x8082b0808080808
	.quad	578759865611585579              ; 0x8082b080808082b
	.quad	578759865611589913              ; 0x8082b0808081919
	.quad	578759865611594504              ; 0x8082b0808082b08
	.quad	578759865612699673              ; 0x8082b0808190819
	.quad	578759865612704008              ; 0x8082b0808191908
	.quad	578759865612704043              ; 0x8082b080819192b
	.quad	578759865612708633              ; 0x8082b0808192b19
	.quad	578759865613879304              ; 0x8082b08082b0808
	.quad	578759865613883673              ; 0x8082b08082b1919
	.quad	578759865613888299              ; 0x8082b08082b2b2b
	.quad	578759865896798233              ; 0x8082b0819080819
	.quad	578759865896802568              ; 0x8082b0819081908
	.quad	578759865896802603              ; 0x8082b081908192b
	.quad	578759865896807193              ; 0x8082b0819082b19
	.quad	578759865897912328              ; 0x8082b0819190808
	.quad	578759865897912363              ; 0x8082b081919082b
	.quad	578759865897916697              ; 0x8082b0819191919
	.quad	578759865897921288              ; 0x8082b0819192b08
	.quad	578759865899091993              ; 0x8082b08192b0819
	.quad	578759865899096328              ; 0x8082b08192b1908
	.quad	578759866198788104              ; 0x8082b082b080808
	.quad	578759866198792473              ; 0x8082b082b081919
	.quad	578759866199906568              ; 0x8082b082b191908
	.quad	578759866201090859              ; 0x8082b082b2b2b2b
	.quad	578759938626029593              ; 0x8082b1908080819
	.quad	578759938626033928              ; 0x8082b1908081908
	.quad	578759938627143688              ; 0x8082b1908190808
	.quad	578759938627143723              ; 0x8082b190819082b
	.quad	578759938627148057              ; 0x8082b1908191919
	.quad	578759938627152648              ; 0x8082b1908192b08
	.quad	578759938628323353              ; 0x8082b19082b0819
	.quad	578759938911242248              ; 0x8082b1919080808
	.quad	578759938911246617              ; 0x8082b1919081919
	.quad	578759938911251208              ; 0x8082b1919082b08
	.quad	578759938912356377              ; 0x8082b1919190819
	.quad	578759938912360712              ; 0x8082b1919191908
	.quad	578759938913536008              ; 0x8082b19192b0808
	.quad	578759939213232153              ; 0x8082b192b080819
	.quad	578759939214346248              ; 0x8082b192b190808
	.quad	578760015935440904              ; 0x8082b2b08080808
	.quad	578760015936555033              ; 0x8082b2b08190819
	.quad	578760015936559368              ; 0x8082b2b08191908
	.quad	578760015937734699              ; 0x8082b2b082b082b
	.quad	578760015937743624              ; 0x8082b2b082b2b08
	.quad	578760015937743659              ; 0x8082b2b082b2b2b
	.quad	578760016221767688              ; 0x8082b2b19190808
	.quad	578760016523766553              ; 0x8082b2b2b192b19
	.quad	583506457308694553              ; 0x819080808080819
	.quad	583506457308698888              ; 0x819080808081908
	.quad	583506457308698923              ; 0x81908080808192b
	.quad	583506457308703513              ; 0x819080808082b19
	.quad	583506457309808648              ; 0x819080808190808
	.quad	583506457309808683              ; 0x81908080819082b
	.quad	583506457309813017              ; 0x819080808191919
	.quad	583506457309817608              ; 0x819080808192b08
	.quad	583506457310988313              ; 0x8190808082b0819
	.quad	583506457310992648              ; 0x8190808082b1908
	.quad	583506457310992683              ; 0x8190808082b192b
	.quad	583506457593907208              ; 0x819080819080808
	.quad	583506457593907243              ; 0x81908081908082b
	.quad	583506457593911577              ; 0x819080819081919
	.quad	583506457593916168              ; 0x819080819082b08
	.quad	583506457595021337              ; 0x819080819190819
	.quad	583506457595025672              ; 0x819080819191908
	.quad	583506457595025707              ; 0x81908081919192b
	.quad	583506457595030297              ; 0x819080819192b19
	.quad	583506457596200968              ; 0x8190808192b0808
	.quad	583506457596201003              ; 0x8190808192b082b
	.quad	583506457596205337              ; 0x8190808192b1919
	.quad	583506457596209928              ; 0x8190808192b2b08
	.quad	583506457895897113              ; 0x81908082b080819
	.quad	583506457895901448              ; 0x81908082b081908
	.quad	583506457895901483              ; 0x81908082b08192b
	.quad	583506457897011208              ; 0x81908082b190808
	.quad	583506457897015577              ; 0x81908082b191919
	.quad	583506457897020168              ; 0x81908082b192b08
	.quad	583506457898190873              ; 0x81908082b2b0819
	.quad	583506457898195208              ; 0x81908082b2b1908
	.quad	583506530323138568              ; 0x819081908080808
	.quad	583506530323138603              ; 0x81908190808082b
	.quad	583506530323142937              ; 0x819081908081919
	.quad	583506530323147528              ; 0x819081908082b08
	.quad	583506530323147563              ; 0x819081908082b2b
	.quad	583506530324252697              ; 0x819081908190819
	.quad	583506530324257032              ; 0x819081908191908
	.quad	583506530324257067              ; 0x81908190819192b
	.quad	583506530324261657              ; 0x819081908192b19
	.quad	583506530325432328              ; 0x8190819082b0808
	.quad	583506530325432363              ; 0x8190819082b082b
	.quad	583506530325436697              ; 0x8190819082b1919
	.quad	583506530325441288              ; 0x8190819082b2b08
	.quad	583506530608351257              ; 0x819081919080819
	.quad	583506530608355592              ; 0x819081919081908
	.quad	583506530608355627              ; 0x81908191908192b
	.quad	583506530608360217              ; 0x819081919082b19
	.quad	583506530609465352              ; 0x819081919190808
	.quad	583506530609465387              ; 0x81908191919082b
	.quad	583506530609469721              ; 0x819081919191919
	.quad	583506530609474312              ; 0x819081919192b08
	.quad	583506530610645017              ; 0x8190819192b0819
	.quad	583506530610649352              ; 0x8190819192b1908
	.quad	583506530910341128              ; 0x81908192b080808
	.quad	583506530910341163              ; 0x81908192b08082b
	.quad	583506530910345497              ; 0x81908192b081919
	.quad	583506530910350088              ; 0x81908192b082b08
	.quad	583506530911455257              ; 0x81908192b190819
	.quad	583506530911459592              ; 0x81908192b191908
	.quad	583506607632549913              ; 0x819082b08080819
	.quad	583506607632554248              ; 0x819082b08081908
	.quad	583506607632558873              ; 0x819082b08082b19
	.quad	583506607633664008              ; 0x819082b08190808
	.quad	583506607633668377              ; 0x819082b08191919
	.quad	583506607634843673              ; 0x819082b082b0819
	.quad	583506607634848008              ; 0x819082b082b1908
	.quad	583506607917762568              ; 0x819082b19080808
	.quad	583506607917766937              ; 0x819082b19081919
	.quad	583506607918876697              ; 0x819082b19190819
	.quad	583506607918881032              ; 0x819082b19191908
	.quad	583506608219752473              ; 0x819082b2b080819
	.quad	583506608219756808              ; 0x819082b2b081908
	.quad	583506608220866568              ; 0x819082b2b190808
	.quad	583525149006366728              ; 0x819190808080808
	.quad	583525149006366763              ; 0x81919080808082b
	.quad	583525149006371097              ; 0x819190808081919
	.quad	583525149006375688              ; 0x819190808082b08
	.quad	583525149007480857              ; 0x819190808190819
	.quad	583525149007485192              ; 0x819190808191908
	.quad	583525149007485227              ; 0x81919080819192b
	.quad	583525149007489817              ; 0x819190808192b19
	.quad	583525149008660488              ; 0x8191908082b0808
	.quad	583525149008664857              ; 0x8191908082b1919
	.quad	583525149008669448              ; 0x8191908082b2b08
	.quad	583525149291579417              ; 0x819190819080819
	.quad	583525149291583752              ; 0x819190819081908
	.quad	583525149291583787              ; 0x81919081908192b
	.quad	583525149291588377              ; 0x819190819082b19
	.quad	583525149292693512              ; 0x819190819190808
	.quad	583525149292693547              ; 0x81919081919082b
	.quad	583525149292697881              ; 0x819190819191919
	.quad	583525149292702472              ; 0x819190819192b08
	.quad	583525149293873177              ; 0x8191908192b0819
	.quad	583525149293877512              ; 0x8191908192b1908
	.quad	583525149593569288              ; 0x81919082b080808
	.quad	583525149593569323              ; 0x81919082b08082b
	.quad	583525149593573657              ; 0x81919082b081919
	.quad	583525149593578248              ; 0x81919082b082b08
	.quad	583525149594683417              ; 0x81919082b190819
	.quad	583525149594687752              ; 0x81919082b191908
	.quad	583525149595863048              ; 0x81919082b2b0808
	.quad	583525222020810777              ; 0x819191908080819
	.quad	583525222020815112              ; 0x819191908081908
	.quad	583525222020815147              ; 0x81919190808192b
	.quad	583525222020819737              ; 0x819191908082b19
	.quad	583525222021924872              ; 0x819191908190808
	.quad	583525222021924907              ; 0x81919190819082b
	.quad	583525222021929241              ; 0x819191908191919
	.quad	583525222021933832              ; 0x819191908192b08
	.quad	583525222023104537              ; 0x8191919082b0819
	.quad	583525222023108872              ; 0x8191919082b1908
	.quad	583525222306023432              ; 0x819191919080808
	.quad	583525222306023467              ; 0x81919191908082b
	.quad	583525222306027801              ; 0x819191919081919
	.quad	583525222306032392              ; 0x819191919082b08
	.quad	583525222307137561              ; 0x819191919190819
	.quad	583525222307141896              ; 0x819191919191908
	.quad	583525222308317192              ; 0x8191919192b0808
	.quad	583525222608013337              ; 0x81919192b080819
	.quad	583525222608017672              ; 0x81919192b081908
	.quad	583525222609127432              ; 0x81919192b190808
	.quad	583525299330222088              ; 0x819192b08080808
	.quad	583525299330226457              ; 0x819192b08081919
	.quad	583525299330231048              ; 0x819192b08082b08
	.quad	583525299331336217              ; 0x819192b08190819
	.quad	583525299331340552              ; 0x819192b08191908
	.quad	583525299332515848              ; 0x819192b082b0808
	.quad	583525299615434777              ; 0x819192b19080819
	.quad	583525299615439112              ; 0x819192b19081908
	.quad	583525299616548872              ; 0x819192b19190808
	.quad	583525299917424648              ; 0x819192b2b080808
	.quad	583525299919727403              ; 0x819192b2b2b2b2b
	.quad	583544940215666713              ; 0x8192b0808080819
	.quad	583544940215671048              ; 0x8192b0808081908
	.quad	583544940215671083              ; 0x8192b080808192b
	.quad	583544940215675673              ; 0x8192b0808082b19
	.quad	583544940216780808              ; 0x8192b0808190808
	.quad	583544940216785177              ; 0x8192b0808191919
	.quad	583544940216789768              ; 0x8192b0808192b08
	.quad	583544940217960473              ; 0x8192b08082b0819
	.quad	583544940500879368              ; 0x8192b0819080808
	.quad	583544940500879403              ; 0x8192b081908082b
	.quad	583544940500883737              ; 0x8192b0819081919
	.quad	583544940500888328              ; 0x8192b0819082b08
	.quad	583544940501993497              ; 0x8192b0819190819
	.quad	583544940501997832              ; 0x8192b0819191908
	.quad	583544940503173128              ; 0x8192b08192b0808
	.quad	583544940802869273              ; 0x8192b082b080819
	.quad	583544940802873608              ; 0x8192b082b081908
	.quad	583545013230110728              ; 0x8192b1908080808
	.quad	583545013230110763              ; 0x8192b190808082b
	.quad	583545013230115097              ; 0x8192b1908081919
	.quad	583545013230119688              ; 0x8192b1908082b08
	.quad	583545013231224857              ; 0x8192b1908190819
	.quad	583545013231229192              ; 0x8192b1908191908
	.quad	583545013232404488              ; 0x8192b19082b0808
	.quad	583545013515323417              ; 0x8192b1919080819
	.quad	583545013515327752              ; 0x8192b1919081908
	.quad	583545013516437512              ; 0x8192b1919190808
	.quad	583545013517626137              ; 0x8192b19192b2b19
	.quad	583545013819607083              ; 0x8192b192b2b082b
	.quad	583545090539526408              ; 0x8192b2b08081908
	.quad	583545090540636168              ; 0x8192b2b08190808
	.quad	583545090824734728              ; 0x8192b2b19080808
	.quad	583545090825853227              ; 0x8192b2b1919192b
	.quad	588573006889486344              ; 0x82b080808080808
	.quad	588573006889486379              ; 0x82b08080808082b
	.quad	588573006889490713              ; 0x82b080808081919
	.quad	588573006889495304              ; 0x82b080808082b08
	.quad	588573006890600473              ; 0x82b080808190819
	.quad	588573006890604808              ; 0x82b080808191908
	.quad	588573006890604843              ; 0x82b08080819192b
	.quad	588573006890609433              ; 0x82b080808192b19
	.quad	588573006891780104              ; 0x82b0808082b0808
	.quad	588573006891784473              ; 0x82b0808082b1919
	.quad	588573006891789099              ; 0x82b0808082b2b2b
	.quad	588573007174699033              ; 0x82b080819080819
	.quad	588573007174703368              ; 0x82b080819081908
	.quad	588573007175813128              ; 0x82b080819190808
	.quad	588573007175813163              ; 0x82b08081919082b
	.quad	588573007175817497              ; 0x82b080819191919
	.quad	588573007176997128              ; 0x82b0808192b1908
	.quad	588573007476688904              ; 0x82b08082b080808
	.quad	588573007476697899              ; 0x82b08082b082b2b
	.quad	588573007477807368              ; 0x82b08082b191908
	.quad	588573007478991659              ; 0x82b08082b2b2b2b
	.quad	588573079903930393              ; 0x82b081908080819
	.quad	588573079903934728              ; 0x82b081908081908
	.quad	588573079905044488              ; 0x82b081908190808
	.quad	588573079905044523              ; 0x82b08190819082b
	.quad	588573079905048857              ; 0x82b081908191919
	.quad	588573079906224153              ; 0x82b0819082b0819
	.quad	588573080189143048              ; 0x82b081919080808
	.quad	588573080189143083              ; 0x82b08191908082b
	.quad	588573080189147417              ; 0x82b081919081919
	.quad	588573080190257177              ; 0x82b081919190819
	.quad	588573080190261512              ; 0x82b081919191908
	.quad	588573080191436808              ; 0x82b0819192b0808
	.quad	588573080491132953              ; 0x82b08192b080819
	.quad	588573080491137288              ; 0x82b08192b081908
	.quad	588573080492247048              ; 0x82b08192b190808
	.quad	588573157213341704              ; 0x82b082b08080808
	.quad	588573157213350699              ; 0x82b082b08082b2b
	.quad	588573157215635499              ; 0x82b082b082b082b
	.quad	588573157215644424              ; 0x82b082b082b2b08
	.quad	588573157215644459              ; 0x82b082b082b2b2b
	.quad	588573157498558728              ; 0x82b082b19081908
	.quad	588573157499668488              ; 0x82b082b19190808
	.quad	588573157800553224              ; 0x82b082b2b082b08
	.quad	588573157800553259              ; 0x82b082b2b082b2b
	.quad	588573157802846984              ; 0x82b082b2b2b2b08
	.quad	588591698587158553              ; 0x82b190808080819
	.quad	588591698587162888              ; 0x82b190808081908
	.quad	588591698587162923              ; 0x82b19080808192b
	.quad	588591698587167513              ; 0x82b190808082b19
	.quad	588591698588272648              ; 0x82b190808190808
	.quad	588591698588277017              ; 0x82b190808191919
	.quad	588591698588281608              ; 0x82b190808192b08
	.quad	588591698589452313              ; 0x82b1908082b0819
	.quad	588591698589456648              ; 0x82b1908082b1908
	.quad	588591698872371208              ; 0x82b190819080808
	.quad	588591698872371243              ; 0x82b19081908082b
	.quad	588591698872375577              ; 0x82b190819081919
	.quad	588591698872380168              ; 0x82b190819082b08
	.quad	588591698873485337              ; 0x82b190819190819
	.quad	588591698873489672              ; 0x82b190819191908
	.quad	588591698874664968              ; 0x82b1908192b0808
	.quad	588591699174361113              ; 0x82b19082b080819
	.quad	588591699174365448              ; 0x82b19082b081908
	.quad	588591699175475208              ; 0x82b19082b190808
	.quad	588591771601602568              ; 0x82b191908080808
	.quad	588591771601606937              ; 0x82b191908081919
	.quad	588591771601611528              ; 0x82b191908082b08
	.quad	588591771602716697              ; 0x82b191908190819
	.quad	588591771602721032              ; 0x82b191908191908
	.quad	588591771603896328              ; 0x82b1919082b0808
	.quad	588591771886815257              ; 0x82b191919080819
	.quad	588591771886819592              ; 0x82b191919081908
	.quad	588591771887929352              ; 0x82b191919190808
	.quad	588591771889113387              ; 0x82b1919192b192b
	.quad	588591772188805128              ; 0x82b19192b080808
	.quad	588591848911013913              ; 0x82b192b08080819
	.quad	588591848911018248              ; 0x82b192b08081908
	.quad	588591848912128008              ; 0x82b192b08190808
	.quad	588591849196226568              ; 0x82b192b19080808
	.quad	588591849197349657              ; 0x82b192b19192b19
	.quad	588611489796458504              ; 0x82b2b0808080808
	.quad	588611489796462873              ; 0x82b2b0808081919
	.quad	588611489797572633              ; 0x82b2b0808190819
	.quad	588611489797576968              ; 0x82b2b0808191908
	.quad	588611490081671193              ; 0x82b2b0819080819
	.quad	588611490081675528              ; 0x82b2b0819081908
	.quad	588611490082785288              ; 0x82b2b0819190808
	.quad	588611490383670059              ; 0x82b2b082b082b2b
	.quad	588611490385963819              ; 0x82b2b082b2b2b2b
	.quad	588611562810902553              ; 0x82b2b1908080819
	.quad	588611562810906888              ; 0x82b2b1908081908
	.quad	588611562812016648              ; 0x82b2b1908190808
	.quad	588611563399223577              ; 0x82b2b192b191919
	.quad	588611640120322859              ; 0x82b2b2b08082b2b
	.quad	588611640122607659              ; 0x82b2b2b082b082b
	.quad	588611640407824648              ; 0x82b2b2b192b1908
	.quad	588611640707525384              ; 0x82b2b2b2b082b08
	.quad	588611640707525419              ; 0x82b2b2b2b082b2b
	.quad	1803700481349388313             ; 0x1908080808080819
	.quad	1803700481349392648             ; 0x1908080808081908
	;; [unrolled: 1-line block ×553, first 2 shown]
	.size	_ZL9iq2s_grid, 8192

	.type	_ZL8ksigns64,@object            ; @_ZL8ksigns64
	.p2align	4, 0x0
_ZL8ksigns64:
	.quad	0                               ; 0x0
	.quad	-72057594037927681              ; 0xff000000000000ff
	.quad	-72057594037862656              ; 0xff0000000000ff00
	.quad	65535                           ; 0xffff
	.quad	-72057594021216256              ; 0xff00000000ff0000
	.quad	16711935                        ; 0xff00ff
	.quad	16776960                        ; 0xffff00
	.quad	-72057594021150721              ; 0xff00000000ffffff
	.quad	-72057589759737856              ; 0xff000000ff000000
	.quad	4278190335                      ; 0xff0000ff
	.quad	4278255360                      ; 0xff00ff00
	.quad	-72057589759672321              ; 0xff000000ff00ffff
	.quad	4294901760                      ; 0xffff0000
	.quad	-72057589743025921              ; 0xff000000ffff00ff
	.quad	-72057589742960896              ; 0xff000000ffffff00
	.quad	4294967295                      ; 0xffffffff
	.quad	-72056498821267456              ; 0xff0000ff00000000
	.quad	1095216660735                   ; 0xff000000ff
	.quad	1095216725760                   ; 0xff0000ff00
	.quad	-72056498821201921              ; 0xff0000ff0000ffff
	.quad	1095233372160                   ; 0xff00ff0000
	.quad	-72056498804555521              ; 0xff0000ff00ff00ff
	.quad	-72056498804490496              ; 0xff0000ff00ffff00
	.quad	1095233437695                   ; 0xff00ffffff
	.quad	1099494850560                   ; 0xffff000000
	.quad	-72056494543077121              ; 0xff0000ffff0000ff
	.quad	-72056494543012096              ; 0xff0000ffff00ff00
	.quad	1099494916095                   ; 0xffff00ffff
	.quad	-72056494526365696              ; 0xff0000ffffff0000
	.quad	1099511562495                   ; 0xffffff00ff
	.quad	1099511627520                   ; 0xffffffff00
	.quad	-72056494526300161              ; 0xff0000ffffffffff
	.quad	-71777218572845056              ; 0xff00ff0000000000
	.quad	280375465083135                 ; 0xff00000000ff
	.quad	280375465148160                 ; 0xff000000ff00
	.quad	-71777218572779521              ; 0xff00ff000000ffff
	.quad	280375481794560                 ; 0xff0000ff0000
	.quad	-71777218556133121              ; 0xff00ff0000ff00ff
	.quad	-71777218556068096              ; 0xff00ff0000ffff00
	.quad	280375481860095                 ; 0xff0000ffffff
	.quad	280379743272960                 ; 0xff00ff000000
	.quad	-71777214294654721              ; 0xff00ff00ff0000ff
	.quad	-71777214294589696              ; 0xff00ff00ff00ff00
	.quad	280379743338495                 ; 0xff00ff00ffff
	.quad	-71777214277943296              ; 0xff00ff00ffff0000
	.quad	280379759984895                 ; 0xff00ffff00ff
	.quad	280379760049920                 ; 0xff00ffffff00
	.quad	-71777214277877761              ; 0xff00ff00ffffffff
	.quad	281470681743360                 ; 0xffff00000000
	.quad	-71776123356184321              ; 0xff00ffff000000ff
	.quad	-71776123356119296              ; 0xff00ffff0000ff00
	.quad	281470681808895                 ; 0xffff0000ffff
	.quad	-71776123339472896              ; 0xff00ffff00ff0000
	.quad	281470698455295                 ; 0xffff00ff00ff
	.quad	281470698520320                 ; 0xffff00ffff00
	.quad	-71776123339407361              ; 0xff00ffff00ffffff
	.quad	-71776119077994496              ; 0xff00ffffff000000
	.quad	281474959933695                 ; 0xffffff0000ff
	.quad	281474959998720                 ; 0xffffff00ff00
	.quad	-71776119077928961              ; 0xff00ffffff00ffff
	.quad	281474976645120                 ; 0xffffffff0000
	.quad	-71776119061282561              ; 0xff00ffffffff00ff
	.quad	-71776119061217536              ; 0xff00ffffffffff00
	.quad	281474976710655                 ; 0xffffffffffff
	.quad	-281474976710656                ; 0xffff000000000000
	.quad	71776119061217535               ; 0xff0000000000ff
	.quad	71776119061282560               ; 0xff00000000ff00
	.quad	-281474976645121                ; 0xffff00000000ffff
	.quad	71776119077928960               ; 0xff000000ff0000
	.quad	-281474959998721                ; 0xffff000000ff00ff
	.quad	-281474959933696                ; 0xffff000000ffff00
	.quad	71776119077994495               ; 0xff000000ffffff
	.quad	71776123339407360               ; 0xff0000ff000000
	.quad	-281470698520321                ; 0xffff0000ff0000ff
	.quad	-281470698455296                ; 0xffff0000ff00ff00
	.quad	71776123339472895               ; 0xff0000ff00ffff
	.quad	-281470681808896                ; 0xffff0000ffff0000
	.quad	71776123356119295               ; 0xff0000ffff00ff
	.quad	71776123356184320               ; 0xff0000ffffff00
	.quad	-281470681743361                ; 0xffff0000ffffffff
	.quad	71777214277877760               ; 0xff00ff00000000
	.quad	-280379760049921                ; 0xffff00ff000000ff
	.quad	-280379759984896                ; 0xffff00ff0000ff00
	.quad	71777214277943295               ; 0xff00ff0000ffff
	.quad	-280379743338496                ; 0xffff00ff00ff0000
	.quad	71777214294589695               ; 0xff00ff00ff00ff
	.quad	71777214294654720               ; 0xff00ff00ffff00
	.quad	-280379743272961                ; 0xffff00ff00ffffff
	.quad	-280375481860096                ; 0xffff00ffff000000
	.quad	71777218556068095               ; 0xff00ffff0000ff
	.quad	71777218556133120               ; 0xff00ffff00ff00
	.quad	-280375481794561                ; 0xffff00ffff00ffff
	.quad	71777218572779520               ; 0xff00ffffff0000
	.quad	-280375465148161                ; 0xffff00ffffff00ff
	.quad	-280375465083136                ; 0xffff00ffffffff00
	.quad	71777218572845055               ; 0xff00ffffffffff
	.quad	72056494526300160               ; 0xffff0000000000
	.quad	-1099511627521                  ; 0xffffff00000000ff
	.quad	-1099511562496                  ; 0xffffff000000ff00
	.quad	72056494526365695               ; 0xffff000000ffff
	.quad	-1099494916096                  ; 0xffffff0000ff0000
	.quad	72056494543012095               ; 0xffff0000ff00ff
	.quad	72056494543077120               ; 0xffff0000ffff00
	.quad	-1099494850561                  ; 0xffffff0000ffffff
	.quad	-1095233437696                  ; 0xffffff00ff000000
	.quad	72056498804490495               ; 0xffff00ff0000ff
	.quad	72056498804555520               ; 0xffff00ff00ff00
	.quad	-1095233372161                  ; 0xffffff00ff00ffff
	.quad	72056498821201920               ; 0xffff00ffff0000
	.quad	-1095216725761                  ; 0xffffff00ffff00ff
	.quad	-1095216660736                  ; 0xffffff00ffffff00
	.quad	72056498821267455               ; 0xffff00ffffffff
	.quad	-4294967296                     ; 0xffffffff00000000
	.quad	72057589742960895               ; 0xffffff000000ff
	.quad	72057589743025920               ; 0xffffff0000ff00
	.quad	-4294901761                     ; 0xffffffff0000ffff
	.quad	72057589759672320               ; 0xffffff00ff0000
	.quad	-4278255361                     ; 0xffffffff00ff00ff
	.quad	-4278190336                     ; 0xffffffff00ffff00
	.quad	72057589759737855               ; 0xffffff00ffffff
	.quad	72057594021150720               ; 0xffffffff000000
	.quad	-16776961                       ; 0xffffffffff0000ff
	.quad	-16711936                       ; 0xffffffffff00ff00
	.quad	72057594021216255               ; 0xffffffff00ffff
	.quad	-65536                          ; 0xffffffffffff0000
	.quad	72057594037862655               ; 0xffffffffff00ff
	.quad	72057594037927680               ; 0xffffffffffff00
	.quad	-1                              ; 0xffffffffffffffff
	.size	_ZL8ksigns64, 1024

	.type	__hip_cuid_e590811628e84f15,@object ; @__hip_cuid_e590811628e84f15
	.section	.bss,"aw",@nobits
	.globl	__hip_cuid_e590811628e84f15
__hip_cuid_e590811628e84f15:
	.byte	0                               ; 0x0
	.size	__hip_cuid_e590811628e84f15, 1

	.ident	"AMD clang version 22.0.0git (https://github.com/RadeonOpenCompute/llvm-project roc-7.2.4 26084 f58b06dce1f9c15707c5f808fd002e18c2accf7e)"
	.section	".note.GNU-stack","",@progbits
	.addrsig
	.addrsig_sym __hip_cuid_e590811628e84f15
	.amdgpu_metadata
---
amdhsa.kernels:
  - .args:
      - .actual_access:  read_only
        .address_space:  global
        .offset:         0
        .size:           8
        .value_kind:     global_buffer
      - .actual_access:  write_only
        .address_space:  global
        .offset:         8
        .size:           8
        .value_kind:     global_buffer
      - .offset:         16
        .size:           8
        .value_kind:     by_value
      - .offset:         24
        .size:           4
        .value_kind:     hidden_block_count_x
      - .offset:         28
        .size:           4
        .value_kind:     hidden_block_count_y
      - .offset:         32
        .size:           4
        .value_kind:     hidden_block_count_z
      - .offset:         36
        .size:           2
        .value_kind:     hidden_group_size_x
      - .offset:         38
        .size:           2
        .value_kind:     hidden_group_size_y
      - .offset:         40
        .size:           2
        .value_kind:     hidden_group_size_z
      - .offset:         42
        .size:           2
        .value_kind:     hidden_remainder_x
      - .offset:         44
        .size:           2
        .value_kind:     hidden_remainder_y
      - .offset:         46
        .size:           2
        .value_kind:     hidden_remainder_z
      - .offset:         64
        .size:           8
        .value_kind:     hidden_global_offset_x
      - .offset:         72
        .size:           8
        .value_kind:     hidden_global_offset_y
      - .offset:         80
        .size:           8
        .value_kind:     hidden_global_offset_z
      - .offset:         88
        .size:           2
        .value_kind:     hidden_grid_dims
    .group_segment_fixed_size: 0
    .kernarg_segment_align: 8
    .kernarg_segment_size: 280
    .language:       OpenCL C
    .language_version:
      - 2
      - 0
    .max_flat_workgroup_size: 1024
    .name:           _ZL16dequantize_blockILi32ELi2EXadL_ZL15dequantize_q4_0PKviiR7__half2EEfEvS1_PT2_l
    .private_segment_fixed_size: 0
    .sgpr_count:     9
    .sgpr_spill_count: 0
    .symbol:         _ZL16dequantize_blockILi32ELi2EXadL_ZL15dequantize_q4_0PKviiR7__half2EEfEvS1_PT2_l.kd
    .uniform_work_group_size: 1
    .uses_dynamic_stack: false
    .vgpr_count:     8
    .vgpr_spill_count: 0
    .wavefront_size: 32
    .workgroup_processor_mode: 1
  - .args:
      - .actual_access:  read_only
        .address_space:  global
        .offset:         0
        .size:           8
        .value_kind:     global_buffer
      - .actual_access:  write_only
        .address_space:  global
        .offset:         8
        .size:           8
        .value_kind:     global_buffer
      - .offset:         16
        .size:           8
        .value_kind:     by_value
      - .offset:         24
        .size:           4
        .value_kind:     hidden_block_count_x
      - .offset:         28
        .size:           4
        .value_kind:     hidden_block_count_y
      - .offset:         32
        .size:           4
        .value_kind:     hidden_block_count_z
      - .offset:         36
        .size:           2
        .value_kind:     hidden_group_size_x
      - .offset:         38
        .size:           2
        .value_kind:     hidden_group_size_y
      - .offset:         40
        .size:           2
        .value_kind:     hidden_group_size_z
      - .offset:         42
        .size:           2
        .value_kind:     hidden_remainder_x
      - .offset:         44
        .size:           2
        .value_kind:     hidden_remainder_y
      - .offset:         46
        .size:           2
        .value_kind:     hidden_remainder_z
      - .offset:         64
        .size:           8
        .value_kind:     hidden_global_offset_x
      - .offset:         72
        .size:           8
        .value_kind:     hidden_global_offset_y
      - .offset:         80
        .size:           8
        .value_kind:     hidden_global_offset_z
      - .offset:         88
        .size:           2
        .value_kind:     hidden_grid_dims
    .group_segment_fixed_size: 0
    .kernarg_segment_align: 8
    .kernarg_segment_size: 280
    .language:       OpenCL C
    .language_version:
      - 2
      - 0
    .max_flat_workgroup_size: 1024
    .name:           _ZL16dequantize_blockILi32ELi2EXadL_ZL15dequantize_q4_1PKviiR7__half2EEfEvS1_PT2_l
    .private_segment_fixed_size: 0
    .sgpr_count:     9
    .sgpr_spill_count: 0
    .symbol:         _ZL16dequantize_blockILi32ELi2EXadL_ZL15dequantize_q4_1PKviiR7__half2EEfEvS1_PT2_l.kd
    .uniform_work_group_size: 1
    .uses_dynamic_stack: false
    .vgpr_count:     9
    .vgpr_spill_count: 0
    .wavefront_size: 32
    .workgroup_processor_mode: 1
  - .args:
      - .actual_access:  read_only
        .address_space:  global
        .offset:         0
        .size:           8
        .value_kind:     global_buffer
      - .actual_access:  write_only
        .address_space:  global
        .offset:         8
        .size:           8
        .value_kind:     global_buffer
      - .offset:         16
        .size:           8
        .value_kind:     by_value
      - .offset:         24
        .size:           4
        .value_kind:     hidden_block_count_x
      - .offset:         28
        .size:           4
        .value_kind:     hidden_block_count_y
      - .offset:         32
        .size:           4
        .value_kind:     hidden_block_count_z
      - .offset:         36
        .size:           2
        .value_kind:     hidden_group_size_x
      - .offset:         38
        .size:           2
        .value_kind:     hidden_group_size_y
      - .offset:         40
        .size:           2
        .value_kind:     hidden_group_size_z
      - .offset:         42
        .size:           2
        .value_kind:     hidden_remainder_x
      - .offset:         44
        .size:           2
        .value_kind:     hidden_remainder_y
      - .offset:         46
        .size:           2
        .value_kind:     hidden_remainder_z
      - .offset:         64
        .size:           8
        .value_kind:     hidden_global_offset_x
      - .offset:         72
        .size:           8
        .value_kind:     hidden_global_offset_y
      - .offset:         80
        .size:           8
        .value_kind:     hidden_global_offset_z
      - .offset:         88
        .size:           2
        .value_kind:     hidden_grid_dims
    .group_segment_fixed_size: 0
    .kernarg_segment_align: 8
    .kernarg_segment_size: 280
    .language:       OpenCL C
    .language_version:
      - 2
      - 0
    .max_flat_workgroup_size: 1024
    .name:           _ZL16dequantize_blockILi32ELi2EXadL_ZL15dequantize_q5_0PKviiR7__half2EEfEvS1_PT2_l
    .private_segment_fixed_size: 0
    .sgpr_count:     9
    .sgpr_spill_count: 0
    .symbol:         _ZL16dequantize_blockILi32ELi2EXadL_ZL15dequantize_q5_0PKviiR7__half2EEfEvS1_PT2_l.kd
    .uniform_work_group_size: 1
    .uses_dynamic_stack: false
    .vgpr_count:     8
    .vgpr_spill_count: 0
    .wavefront_size: 32
    .workgroup_processor_mode: 1
  - .args:
      - .actual_access:  read_only
        .address_space:  global
        .offset:         0
        .size:           8
        .value_kind:     global_buffer
      - .actual_access:  write_only
        .address_space:  global
        .offset:         8
        .size:           8
        .value_kind:     global_buffer
      - .offset:         16
        .size:           8
        .value_kind:     by_value
      - .offset:         24
        .size:           4
        .value_kind:     hidden_block_count_x
      - .offset:         28
        .size:           4
        .value_kind:     hidden_block_count_y
      - .offset:         32
        .size:           4
        .value_kind:     hidden_block_count_z
      - .offset:         36
        .size:           2
        .value_kind:     hidden_group_size_x
      - .offset:         38
        .size:           2
        .value_kind:     hidden_group_size_y
      - .offset:         40
        .size:           2
        .value_kind:     hidden_group_size_z
      - .offset:         42
        .size:           2
        .value_kind:     hidden_remainder_x
      - .offset:         44
        .size:           2
        .value_kind:     hidden_remainder_y
      - .offset:         46
        .size:           2
        .value_kind:     hidden_remainder_z
      - .offset:         64
        .size:           8
        .value_kind:     hidden_global_offset_x
      - .offset:         72
        .size:           8
        .value_kind:     hidden_global_offset_y
      - .offset:         80
        .size:           8
        .value_kind:     hidden_global_offset_z
      - .offset:         88
        .size:           2
        .value_kind:     hidden_grid_dims
    .group_segment_fixed_size: 0
    .kernarg_segment_align: 8
    .kernarg_segment_size: 280
    .language:       OpenCL C
    .language_version:
      - 2
      - 0
    .max_flat_workgroup_size: 1024
    .name:           _ZL16dequantize_blockILi32ELi2EXadL_ZL15dequantize_q5_1PKviiR7__half2EEfEvS1_PT2_l
    .private_segment_fixed_size: 0
    .sgpr_count:     9
    .sgpr_spill_count: 0
    .symbol:         _ZL16dequantize_blockILi32ELi2EXadL_ZL15dequantize_q5_1PKviiR7__half2EEfEvS1_PT2_l.kd
    .uniform_work_group_size: 1
    .uses_dynamic_stack: false
    .vgpr_count:     8
    .vgpr_spill_count: 0
    .wavefront_size: 32
    .workgroup_processor_mode: 1
  - .args:
      - .actual_access:  read_only
        .address_space:  global
        .offset:         0
        .size:           8
        .value_kind:     global_buffer
      - .actual_access:  write_only
        .address_space:  global
        .offset:         8
        .size:           8
        .value_kind:     global_buffer
      - .offset:         16
        .size:           8
        .value_kind:     by_value
      - .offset:         24
        .size:           4
        .value_kind:     hidden_block_count_x
      - .offset:         28
        .size:           4
        .value_kind:     hidden_block_count_y
      - .offset:         32
        .size:           4
        .value_kind:     hidden_block_count_z
      - .offset:         36
        .size:           2
        .value_kind:     hidden_group_size_x
      - .offset:         38
        .size:           2
        .value_kind:     hidden_group_size_y
      - .offset:         40
        .size:           2
        .value_kind:     hidden_group_size_z
      - .offset:         42
        .size:           2
        .value_kind:     hidden_remainder_x
      - .offset:         44
        .size:           2
        .value_kind:     hidden_remainder_y
      - .offset:         46
        .size:           2
        .value_kind:     hidden_remainder_z
      - .offset:         64
        .size:           8
        .value_kind:     hidden_global_offset_x
      - .offset:         72
        .size:           8
        .value_kind:     hidden_global_offset_y
      - .offset:         80
        .size:           8
        .value_kind:     hidden_global_offset_z
      - .offset:         88
        .size:           2
        .value_kind:     hidden_grid_dims
    .group_segment_fixed_size: 0
    .kernarg_segment_align: 8
    .kernarg_segment_size: 280
    .language:       OpenCL C
    .language_version:
      - 2
      - 0
    .max_flat_workgroup_size: 1024
    .name:           _ZL16dequantize_blockILi32ELi1EXadL_ZL15dequantize_q8_0PKviiR7__half2EEfEvS1_PT2_l
    .private_segment_fixed_size: 0
    .sgpr_count:     9
    .sgpr_spill_count: 0
    .symbol:         _ZL16dequantize_blockILi32ELi1EXadL_ZL15dequantize_q8_0PKviiR7__half2EEfEvS1_PT2_l.kd
    .uniform_work_group_size: 1
    .uses_dynamic_stack: false
    .vgpr_count:     7
    .vgpr_spill_count: 0
    .wavefront_size: 32
    .workgroup_processor_mode: 1
  - .args:
      - .actual_access:  read_only
        .address_space:  global
        .offset:         0
        .size:           8
        .value_kind:     global_buffer
      - .actual_access:  write_only
        .address_space:  global
        .offset:         8
        .size:           8
        .value_kind:     global_buffer
    .group_segment_fixed_size: 0
    .kernarg_segment_align: 8
    .kernarg_segment_size: 16
    .language:       OpenCL C
    .language_version:
      - 2
      - 0
    .max_flat_workgroup_size: 1024
    .name:           _ZL21dequantize_block_q2_KIfEvPKvPT_
    .private_segment_fixed_size: 0
    .sgpr_count:     9
    .sgpr_spill_count: 0
    .symbol:         _ZL21dequantize_block_q2_KIfEvPKvPT_.kd
    .uniform_work_group_size: 1
    .uses_dynamic_stack: false
    .vgpr_count:     14
    .vgpr_spill_count: 0
    .wavefront_size: 32
    .workgroup_processor_mode: 1
  - .args:
      - .actual_access:  read_only
        .address_space:  global
        .offset:         0
        .size:           8
        .value_kind:     global_buffer
      - .actual_access:  write_only
        .address_space:  global
        .offset:         8
        .size:           8
        .value_kind:     global_buffer
    .group_segment_fixed_size: 0
    .kernarg_segment_align: 8
    .kernarg_segment_size: 16
    .language:       OpenCL C
    .language_version:
      - 2
      - 0
    .max_flat_workgroup_size: 1024
    .name:           _ZL21dequantize_block_q3_KIfEvPKvPT_
    .private_segment_fixed_size: 0
    .sgpr_count:     12
    .sgpr_spill_count: 0
    .symbol:         _ZL21dequantize_block_q3_KIfEvPKvPT_.kd
    .uniform_work_group_size: 1
    .uses_dynamic_stack: false
    .vgpr_count:     16
    .vgpr_spill_count: 0
    .wavefront_size: 32
    .workgroup_processor_mode: 1
  - .args:
      - .actual_access:  read_only
        .address_space:  global
        .offset:         0
        .size:           8
        .value_kind:     global_buffer
      - .actual_access:  write_only
        .address_space:  global
        .offset:         8
        .size:           8
        .value_kind:     global_buffer
    .group_segment_fixed_size: 0
    .kernarg_segment_align: 8
    .kernarg_segment_size: 16
    .language:       OpenCL C
    .language_version:
      - 2
      - 0
    .max_flat_workgroup_size: 1024
    .name:           _ZL21dequantize_block_q4_KIfEvPKvPT_
    .private_segment_fixed_size: 0
    .sgpr_count:     9
    .sgpr_spill_count: 0
    .symbol:         _ZL21dequantize_block_q4_KIfEvPKvPT_.kd
    .uniform_work_group_size: 1
    .uses_dynamic_stack: false
    .vgpr_count:     15
    .vgpr_spill_count: 0
    .wavefront_size: 32
    .workgroup_processor_mode: 1
  - .args:
      - .actual_access:  read_only
        .address_space:  global
        .offset:         0
        .size:           8
        .value_kind:     global_buffer
      - .actual_access:  write_only
        .address_space:  global
        .offset:         8
        .size:           8
        .value_kind:     global_buffer
    .group_segment_fixed_size: 0
    .kernarg_segment_align: 8
    .kernarg_segment_size: 16
    .language:       OpenCL C
    .language_version:
      - 2
      - 0
    .max_flat_workgroup_size: 1024
    .name:           _ZL21dequantize_block_q5_KIfEvPKvPT_
    .private_segment_fixed_size: 0
    .sgpr_count:     9
    .sgpr_spill_count: 0
    .symbol:         _ZL21dequantize_block_q5_KIfEvPKvPT_.kd
    .uniform_work_group_size: 1
    .uses_dynamic_stack: false
    .vgpr_count:     15
    .vgpr_spill_count: 0
    .wavefront_size: 32
    .workgroup_processor_mode: 1
  - .args:
      - .actual_access:  read_only
        .address_space:  global
        .offset:         0
        .size:           8
        .value_kind:     global_buffer
      - .actual_access:  write_only
        .address_space:  global
        .offset:         8
        .size:           8
        .value_kind:     global_buffer
    .group_segment_fixed_size: 0
    .kernarg_segment_align: 8
    .kernarg_segment_size: 16
    .language:       OpenCL C
    .language_version:
      - 2
      - 0
    .max_flat_workgroup_size: 1024
    .name:           _ZL21dequantize_block_q6_KIfEvPKvPT_
    .private_segment_fixed_size: 0
    .sgpr_count:     10
    .sgpr_spill_count: 0
    .symbol:         _ZL21dequantize_block_q6_KIfEvPKvPT_.kd
    .uniform_work_group_size: 1
    .uses_dynamic_stack: false
    .vgpr_count:     16
    .vgpr_spill_count: 0
    .wavefront_size: 32
    .workgroup_processor_mode: 1
  - .args:
      - .actual_access:  read_only
        .address_space:  global
        .offset:         0
        .size:           8
        .value_kind:     global_buffer
      - .actual_access:  write_only
        .address_space:  global
        .offset:         8
        .size:           8
        .value_kind:     global_buffer
    .group_segment_fixed_size: 0
    .kernarg_segment_align: 8
    .kernarg_segment_size: 16
    .language:       OpenCL C
    .language_version:
      - 2
      - 0
    .max_flat_workgroup_size: 1024
    .name:           _ZL24dequantize_block_iq2_xxsIfEvPKvPT_
    .private_segment_fixed_size: 0
    .sgpr_count:     10
    .sgpr_spill_count: 0
    .symbol:         _ZL24dequantize_block_iq2_xxsIfEvPKvPT_.kd
    .uniform_work_group_size: 1
    .uses_dynamic_stack: false
    .vgpr_count:     21
    .vgpr_spill_count: 0
    .wavefront_size: 32
    .workgroup_processor_mode: 1
  - .args:
      - .actual_access:  read_only
        .address_space:  global
        .offset:         0
        .size:           8
        .value_kind:     global_buffer
      - .actual_access:  write_only
        .address_space:  global
        .offset:         8
        .size:           8
        .value_kind:     global_buffer
    .group_segment_fixed_size: 0
    .kernarg_segment_align: 8
    .kernarg_segment_size: 16
    .language:       OpenCL C
    .language_version:
      - 2
      - 0
    .max_flat_workgroup_size: 1024
    .name:           _ZL23dequantize_block_iq2_xsIfEvPKvPT_
    .private_segment_fixed_size: 0
    .sgpr_count:     10
    .sgpr_spill_count: 0
    .symbol:         _ZL23dequantize_block_iq2_xsIfEvPKvPT_.kd
    .uniform_work_group_size: 1
    .uses_dynamic_stack: false
    .vgpr_count:     21
    .vgpr_spill_count: 0
    .wavefront_size: 32
    .workgroup_processor_mode: 1
  - .args:
      - .actual_access:  read_only
        .address_space:  global
        .offset:         0
        .size:           8
        .value_kind:     global_buffer
      - .actual_access:  write_only
        .address_space:  global
        .offset:         8
        .size:           8
        .value_kind:     global_buffer
    .group_segment_fixed_size: 0
    .kernarg_segment_align: 8
    .kernarg_segment_size: 16
    .language:       OpenCL C
    .language_version:
      - 2
      - 0
    .max_flat_workgroup_size: 1024
    .name:           _ZL24dequantize_block_iq3_xxsIfEvPKvPT_
    .private_segment_fixed_size: 0
    .sgpr_count:     10
    .sgpr_spill_count: 0
    .symbol:         _ZL24dequantize_block_iq3_xxsIfEvPKvPT_.kd
    .uniform_work_group_size: 1
    .uses_dynamic_stack: false
    .vgpr_count:     20
    .vgpr_spill_count: 0
    .wavefront_size: 32
    .workgroup_processor_mode: 1
  - .args:
      - .actual_access:  read_only
        .address_space:  global
        .offset:         0
        .size:           8
        .value_kind:     global_buffer
      - .actual_access:  write_only
        .address_space:  global
        .offset:         8
        .size:           8
        .value_kind:     global_buffer
    .group_segment_fixed_size: 0
    .kernarg_segment_align: 8
    .kernarg_segment_size: 16
    .language:       OpenCL C
    .language_version:
      - 2
      - 0
    .max_flat_workgroup_size: 1024
    .name:           _ZL22dequantize_block_iq1_sIfEvPKvPT_
    .private_segment_fixed_size: 0
    .sgpr_count:     10
    .sgpr_spill_count: 0
    .symbol:         _ZL22dequantize_block_iq1_sIfEvPKvPT_.kd
    .uniform_work_group_size: 1
    .uses_dynamic_stack: false
    .vgpr_count:     14
    .vgpr_spill_count: 0
    .wavefront_size: 32
    .workgroup_processor_mode: 1
  - .args:
      - .actual_access:  read_only
        .address_space:  global
        .offset:         0
        .size:           8
        .value_kind:     global_buffer
      - .actual_access:  write_only
        .address_space:  global
        .offset:         8
        .size:           8
        .value_kind:     global_buffer
    .group_segment_fixed_size: 0
    .kernarg_segment_align: 8
    .kernarg_segment_size: 16
    .language:       OpenCL C
    .language_version:
      - 2
      - 0
    .max_flat_workgroup_size: 1024
    .name:           _ZL23dequantize_block_iq4_nlIfEvPKvPT_
    .private_segment_fixed_size: 0
    .sgpr_count:     9
    .sgpr_spill_count: 0
    .symbol:         _ZL23dequantize_block_iq4_nlIfEvPKvPT_.kd
    .uniform_work_group_size: 1
    .uses_dynamic_stack: false
    .vgpr_count:     16
    .vgpr_spill_count: 0
    .wavefront_size: 32
    .workgroup_processor_mode: 1
  - .args:
      - .actual_access:  read_only
        .address_space:  global
        .offset:         0
        .size:           8
        .value_kind:     global_buffer
      - .actual_access:  write_only
        .address_space:  global
        .offset:         8
        .size:           8
        .value_kind:     global_buffer
    .group_segment_fixed_size: 0
    .kernarg_segment_align: 8
    .kernarg_segment_size: 16
    .language:       OpenCL C
    .language_version:
      - 2
      - 0
    .max_flat_workgroup_size: 1024
    .name:           _ZL22dequantize_block_iq3_sIfEvPKvPT_
    .private_segment_fixed_size: 0
    .sgpr_count:     10
    .sgpr_spill_count: 0
    .symbol:         _ZL22dequantize_block_iq3_sIfEvPKvPT_.kd
    .uniform_work_group_size: 1
    .uses_dynamic_stack: false
    .vgpr_count:     21
    .vgpr_spill_count: 0
    .wavefront_size: 32
    .workgroup_processor_mode: 1
  - .args:
      - .actual_access:  read_only
        .address_space:  global
        .offset:         0
        .size:           8
        .value_kind:     global_buffer
      - .actual_access:  write_only
        .address_space:  global
        .offset:         8
        .size:           8
        .value_kind:     global_buffer
    .group_segment_fixed_size: 0
    .kernarg_segment_align: 8
    .kernarg_segment_size: 16
    .language:       OpenCL C
    .language_version:
      - 2
      - 0
    .max_flat_workgroup_size: 1024
    .name:           _ZL22dequantize_block_iq2_sIfEvPKvPT_
    .private_segment_fixed_size: 0
    .sgpr_count:     10
    .sgpr_spill_count: 0
    .symbol:         _ZL22dequantize_block_iq2_sIfEvPKvPT_.kd
    .uniform_work_group_size: 1
    .uses_dynamic_stack: false
    .vgpr_count:     21
    .vgpr_spill_count: 0
    .wavefront_size: 32
    .workgroup_processor_mode: 1
  - .args:
      - .actual_access:  read_only
        .address_space:  global
        .offset:         0
        .size:           8
        .value_kind:     global_buffer
      - .actual_access:  write_only
        .address_space:  global
        .offset:         8
        .size:           8
        .value_kind:     global_buffer
    .group_segment_fixed_size: 0
    .kernarg_segment_align: 8
    .kernarg_segment_size: 16
    .language:       OpenCL C
    .language_version:
      - 2
      - 0
    .max_flat_workgroup_size: 1024
    .name:           _ZL23dequantize_block_iq4_xsIfEvPKvPT_
    .private_segment_fixed_size: 0
    .sgpr_count:     10
    .sgpr_spill_count: 0
    .symbol:         _ZL23dequantize_block_iq4_xsIfEvPKvPT_.kd
    .uniform_work_group_size: 1
    .uses_dynamic_stack: false
    .vgpr_count:     15
    .vgpr_spill_count: 0
    .wavefront_size: 32
    .workgroup_processor_mode: 1
  - .args:
      - .actual_access:  read_only
        .address_space:  global
        .offset:         0
        .size:           8
        .value_kind:     global_buffer
      - .actual_access:  write_only
        .address_space:  global
        .offset:         8
        .size:           8
        .value_kind:     global_buffer
    .group_segment_fixed_size: 0
    .kernarg_segment_align: 8
    .kernarg_segment_size: 16
    .language:       OpenCL C
    .language_version:
      - 2
      - 0
    .max_flat_workgroup_size: 1024
    .name:           _ZL22dequantize_block_iq1_mIfEvPKvPT_
    .private_segment_fixed_size: 0
    .sgpr_count:     10
    .sgpr_spill_count: 0
    .symbol:         _ZL22dequantize_block_iq1_mIfEvPKvPT_.kd
    .uniform_work_group_size: 1
    .uses_dynamic_stack: false
    .vgpr_count:     14
    .vgpr_spill_count: 0
    .wavefront_size: 32
    .workgroup_processor_mode: 1
  - .args:
      - .actual_access:  read_only
        .address_space:  global
        .offset:         0
        .size:           8
        .value_kind:     global_buffer
      - .actual_access:  write_only
        .address_space:  global
        .offset:         8
        .size:           8
        .value_kind:     global_buffer
      - .offset:         16
        .size:           8
        .value_kind:     by_value
      - .offset:         24
        .size:           4
        .value_kind:     hidden_block_count_x
      - .offset:         28
        .size:           4
        .value_kind:     hidden_block_count_y
      - .offset:         32
        .size:           4
        .value_kind:     hidden_block_count_z
      - .offset:         36
        .size:           2
        .value_kind:     hidden_group_size_x
      - .offset:         38
        .size:           2
        .value_kind:     hidden_group_size_y
      - .offset:         40
        .size:           2
        .value_kind:     hidden_group_size_z
      - .offset:         42
        .size:           2
        .value_kind:     hidden_remainder_x
      - .offset:         44
        .size:           2
        .value_kind:     hidden_remainder_y
      - .offset:         46
        .size:           2
        .value_kind:     hidden_remainder_z
      - .offset:         64
        .size:           8
        .value_kind:     hidden_global_offset_x
      - .offset:         72
        .size:           8
        .value_kind:     hidden_global_offset_y
      - .offset:         80
        .size:           8
        .value_kind:     hidden_global_offset_z
      - .offset:         88
        .size:           2
        .value_kind:     hidden_grid_dims
    .group_segment_fixed_size: 0
    .kernarg_segment_align: 8
    .kernarg_segment_size: 280
    .language:       OpenCL C
    .language_version:
      - 2
      - 0
    .max_flat_workgroup_size: 1024
    .name:           _ZL16dequantize_blockILi32ELi2EXadL_ZL15dequantize_q4_0PKviiR7__half2EEN3c104HalfEEvS1_PT2_l
    .private_segment_fixed_size: 0
    .sgpr_count:     9
    .sgpr_spill_count: 0
    .symbol:         _ZL16dequantize_blockILi32ELi2EXadL_ZL15dequantize_q4_0PKviiR7__half2EEN3c104HalfEEvS1_PT2_l.kd
    .uniform_work_group_size: 1
    .uses_dynamic_stack: false
    .vgpr_count:     8
    .vgpr_spill_count: 0
    .wavefront_size: 32
    .workgroup_processor_mode: 1
  - .args:
      - .actual_access:  read_only
        .address_space:  global
        .offset:         0
        .size:           8
        .value_kind:     global_buffer
      - .actual_access:  write_only
        .address_space:  global
        .offset:         8
        .size:           8
        .value_kind:     global_buffer
      - .offset:         16
        .size:           8
        .value_kind:     by_value
      - .offset:         24
        .size:           4
        .value_kind:     hidden_block_count_x
      - .offset:         28
        .size:           4
        .value_kind:     hidden_block_count_y
      - .offset:         32
        .size:           4
        .value_kind:     hidden_block_count_z
      - .offset:         36
        .size:           2
        .value_kind:     hidden_group_size_x
      - .offset:         38
        .size:           2
        .value_kind:     hidden_group_size_y
      - .offset:         40
        .size:           2
        .value_kind:     hidden_group_size_z
      - .offset:         42
        .size:           2
        .value_kind:     hidden_remainder_x
      - .offset:         44
        .size:           2
        .value_kind:     hidden_remainder_y
      - .offset:         46
        .size:           2
        .value_kind:     hidden_remainder_z
      - .offset:         64
        .size:           8
        .value_kind:     hidden_global_offset_x
      - .offset:         72
        .size:           8
        .value_kind:     hidden_global_offset_y
      - .offset:         80
        .size:           8
        .value_kind:     hidden_global_offset_z
      - .offset:         88
        .size:           2
        .value_kind:     hidden_grid_dims
    .group_segment_fixed_size: 0
    .kernarg_segment_align: 8
    .kernarg_segment_size: 280
    .language:       OpenCL C
    .language_version:
      - 2
      - 0
    .max_flat_workgroup_size: 1024
    .name:           _ZL16dequantize_blockILi32ELi2EXadL_ZL15dequantize_q4_1PKviiR7__half2EEN3c104HalfEEvS1_PT2_l
    .private_segment_fixed_size: 0
    .sgpr_count:     9
    .sgpr_spill_count: 0
    .symbol:         _ZL16dequantize_blockILi32ELi2EXadL_ZL15dequantize_q4_1PKviiR7__half2EEN3c104HalfEEvS1_PT2_l.kd
    .uniform_work_group_size: 1
    .uses_dynamic_stack: false
    .vgpr_count:     8
    .vgpr_spill_count: 0
    .wavefront_size: 32
    .workgroup_processor_mode: 1
  - .args:
      - .actual_access:  read_only
        .address_space:  global
        .offset:         0
        .size:           8
        .value_kind:     global_buffer
      - .actual_access:  write_only
        .address_space:  global
        .offset:         8
        .size:           8
        .value_kind:     global_buffer
      - .offset:         16
        .size:           8
        .value_kind:     by_value
      - .offset:         24
        .size:           4
        .value_kind:     hidden_block_count_x
      - .offset:         28
        .size:           4
        .value_kind:     hidden_block_count_y
      - .offset:         32
        .size:           4
        .value_kind:     hidden_block_count_z
      - .offset:         36
        .size:           2
        .value_kind:     hidden_group_size_x
      - .offset:         38
        .size:           2
        .value_kind:     hidden_group_size_y
      - .offset:         40
        .size:           2
        .value_kind:     hidden_group_size_z
      - .offset:         42
        .size:           2
        .value_kind:     hidden_remainder_x
      - .offset:         44
        .size:           2
        .value_kind:     hidden_remainder_y
      - .offset:         46
        .size:           2
        .value_kind:     hidden_remainder_z
      - .offset:         64
        .size:           8
        .value_kind:     hidden_global_offset_x
      - .offset:         72
        .size:           8
        .value_kind:     hidden_global_offset_y
      - .offset:         80
        .size:           8
        .value_kind:     hidden_global_offset_z
      - .offset:         88
        .size:           2
        .value_kind:     hidden_grid_dims
    .group_segment_fixed_size: 0
    .kernarg_segment_align: 8
    .kernarg_segment_size: 280
    .language:       OpenCL C
    .language_version:
      - 2
      - 0
    .max_flat_workgroup_size: 1024
    .name:           _ZL16dequantize_blockILi32ELi2EXadL_ZL15dequantize_q5_0PKviiR7__half2EEN3c104HalfEEvS1_PT2_l
    .private_segment_fixed_size: 0
    .sgpr_count:     9
    .sgpr_spill_count: 0
    .symbol:         _ZL16dequantize_blockILi32ELi2EXadL_ZL15dequantize_q5_0PKviiR7__half2EEN3c104HalfEEvS1_PT2_l.kd
    .uniform_work_group_size: 1
    .uses_dynamic_stack: false
    .vgpr_count:     8
    .vgpr_spill_count: 0
    .wavefront_size: 32
    .workgroup_processor_mode: 1
  - .args:
      - .actual_access:  read_only
        .address_space:  global
        .offset:         0
        .size:           8
        .value_kind:     global_buffer
      - .actual_access:  write_only
        .address_space:  global
        .offset:         8
        .size:           8
        .value_kind:     global_buffer
      - .offset:         16
        .size:           8
        .value_kind:     by_value
      - .offset:         24
        .size:           4
        .value_kind:     hidden_block_count_x
      - .offset:         28
        .size:           4
        .value_kind:     hidden_block_count_y
      - .offset:         32
        .size:           4
        .value_kind:     hidden_block_count_z
      - .offset:         36
        .size:           2
        .value_kind:     hidden_group_size_x
      - .offset:         38
        .size:           2
        .value_kind:     hidden_group_size_y
      - .offset:         40
        .size:           2
        .value_kind:     hidden_group_size_z
      - .offset:         42
        .size:           2
        .value_kind:     hidden_remainder_x
      - .offset:         44
        .size:           2
        .value_kind:     hidden_remainder_y
      - .offset:         46
        .size:           2
        .value_kind:     hidden_remainder_z
      - .offset:         64
        .size:           8
        .value_kind:     hidden_global_offset_x
      - .offset:         72
        .size:           8
        .value_kind:     hidden_global_offset_y
      - .offset:         80
        .size:           8
        .value_kind:     hidden_global_offset_z
      - .offset:         88
        .size:           2
        .value_kind:     hidden_grid_dims
    .group_segment_fixed_size: 0
    .kernarg_segment_align: 8
    .kernarg_segment_size: 280
    .language:       OpenCL C
    .language_version:
      - 2
      - 0
    .max_flat_workgroup_size: 1024
    .name:           _ZL16dequantize_blockILi32ELi2EXadL_ZL15dequantize_q5_1PKviiR7__half2EEN3c104HalfEEvS1_PT2_l
    .private_segment_fixed_size: 0
    .sgpr_count:     9
    .sgpr_spill_count: 0
    .symbol:         _ZL16dequantize_blockILi32ELi2EXadL_ZL15dequantize_q5_1PKviiR7__half2EEN3c104HalfEEvS1_PT2_l.kd
    .uniform_work_group_size: 1
    .uses_dynamic_stack: false
    .vgpr_count:     7
    .vgpr_spill_count: 0
    .wavefront_size: 32
    .workgroup_processor_mode: 1
  - .args:
      - .actual_access:  read_only
        .address_space:  global
        .offset:         0
        .size:           8
        .value_kind:     global_buffer
      - .actual_access:  write_only
        .address_space:  global
        .offset:         8
        .size:           8
        .value_kind:     global_buffer
      - .offset:         16
        .size:           8
        .value_kind:     by_value
      - .offset:         24
        .size:           4
        .value_kind:     hidden_block_count_x
      - .offset:         28
        .size:           4
        .value_kind:     hidden_block_count_y
      - .offset:         32
        .size:           4
        .value_kind:     hidden_block_count_z
      - .offset:         36
        .size:           2
        .value_kind:     hidden_group_size_x
      - .offset:         38
        .size:           2
        .value_kind:     hidden_group_size_y
      - .offset:         40
        .size:           2
        .value_kind:     hidden_group_size_z
      - .offset:         42
        .size:           2
        .value_kind:     hidden_remainder_x
      - .offset:         44
        .size:           2
        .value_kind:     hidden_remainder_y
      - .offset:         46
        .size:           2
        .value_kind:     hidden_remainder_z
      - .offset:         64
        .size:           8
        .value_kind:     hidden_global_offset_x
      - .offset:         72
        .size:           8
        .value_kind:     hidden_global_offset_y
      - .offset:         80
        .size:           8
        .value_kind:     hidden_global_offset_z
      - .offset:         88
        .size:           2
        .value_kind:     hidden_grid_dims
    .group_segment_fixed_size: 0
    .kernarg_segment_align: 8
    .kernarg_segment_size: 280
    .language:       OpenCL C
    .language_version:
      - 2
      - 0
    .max_flat_workgroup_size: 1024
    .name:           _ZL16dequantize_blockILi32ELi1EXadL_ZL15dequantize_q8_0PKviiR7__half2EEN3c104HalfEEvS1_PT2_l
    .private_segment_fixed_size: 0
    .sgpr_count:     9
    .sgpr_spill_count: 0
    .symbol:         _ZL16dequantize_blockILi32ELi1EXadL_ZL15dequantize_q8_0PKviiR7__half2EEN3c104HalfEEvS1_PT2_l.kd
    .uniform_work_group_size: 1
    .uses_dynamic_stack: false
    .vgpr_count:     7
    .vgpr_spill_count: 0
    .wavefront_size: 32
    .workgroup_processor_mode: 1
  - .args:
      - .actual_access:  read_only
        .address_space:  global
        .offset:         0
        .size:           8
        .value_kind:     global_buffer
      - .actual_access:  write_only
        .address_space:  global
        .offset:         8
        .size:           8
        .value_kind:     global_buffer
    .group_segment_fixed_size: 0
    .kernarg_segment_align: 8
    .kernarg_segment_size: 16
    .language:       OpenCL C
    .language_version:
      - 2
      - 0
    .max_flat_workgroup_size: 1024
    .name:           _ZL21dequantize_block_q2_KIN3c104HalfEEvPKvPT_
    .private_segment_fixed_size: 0
    .sgpr_count:     9
    .sgpr_spill_count: 0
    .symbol:         _ZL21dequantize_block_q2_KIN3c104HalfEEvPKvPT_.kd
    .uniform_work_group_size: 1
    .uses_dynamic_stack: false
    .vgpr_count:     15
    .vgpr_spill_count: 0
    .wavefront_size: 32
    .workgroup_processor_mode: 1
  - .args:
      - .actual_access:  read_only
        .address_space:  global
        .offset:         0
        .size:           8
        .value_kind:     global_buffer
      - .actual_access:  write_only
        .address_space:  global
        .offset:         8
        .size:           8
        .value_kind:     global_buffer
    .group_segment_fixed_size: 0
    .kernarg_segment_align: 8
    .kernarg_segment_size: 16
    .language:       OpenCL C
    .language_version:
      - 2
      - 0
    .max_flat_workgroup_size: 1024
    .name:           _ZL21dequantize_block_q3_KIN3c104HalfEEvPKvPT_
    .private_segment_fixed_size: 0
    .sgpr_count:     12
    .sgpr_spill_count: 0
    .symbol:         _ZL21dequantize_block_q3_KIN3c104HalfEEvPKvPT_.kd
    .uniform_work_group_size: 1
    .uses_dynamic_stack: false
    .vgpr_count:     16
    .vgpr_spill_count: 0
    .wavefront_size: 32
    .workgroup_processor_mode: 1
  - .args:
      - .actual_access:  read_only
        .address_space:  global
        .offset:         0
        .size:           8
        .value_kind:     global_buffer
      - .actual_access:  write_only
        .address_space:  global
        .offset:         8
        .size:           8
        .value_kind:     global_buffer
    .group_segment_fixed_size: 0
    .kernarg_segment_align: 8
    .kernarg_segment_size: 16
    .language:       OpenCL C
    .language_version:
      - 2
      - 0
    .max_flat_workgroup_size: 1024
    .name:           _ZL21dequantize_block_q4_KIN3c104HalfEEvPKvPT_
    .private_segment_fixed_size: 0
    .sgpr_count:     9
    .sgpr_spill_count: 0
    .symbol:         _ZL21dequantize_block_q4_KIN3c104HalfEEvPKvPT_.kd
    .uniform_work_group_size: 1
    .uses_dynamic_stack: false
    .vgpr_count:     15
    .vgpr_spill_count: 0
    .wavefront_size: 32
    .workgroup_processor_mode: 1
  - .args:
      - .actual_access:  read_only
        .address_space:  global
        .offset:         0
        .size:           8
        .value_kind:     global_buffer
      - .actual_access:  write_only
        .address_space:  global
        .offset:         8
        .size:           8
        .value_kind:     global_buffer
    .group_segment_fixed_size: 0
    .kernarg_segment_align: 8
    .kernarg_segment_size: 16
    .language:       OpenCL C
    .language_version:
      - 2
      - 0
    .max_flat_workgroup_size: 1024
    .name:           _ZL21dequantize_block_q5_KIN3c104HalfEEvPKvPT_
    .private_segment_fixed_size: 0
    .sgpr_count:     9
    .sgpr_spill_count: 0
    .symbol:         _ZL21dequantize_block_q5_KIN3c104HalfEEvPKvPT_.kd
    .uniform_work_group_size: 1
    .uses_dynamic_stack: false
    .vgpr_count:     15
    .vgpr_spill_count: 0
    .wavefront_size: 32
    .workgroup_processor_mode: 1
  - .args:
      - .actual_access:  read_only
        .address_space:  global
        .offset:         0
        .size:           8
        .value_kind:     global_buffer
      - .actual_access:  write_only
        .address_space:  global
        .offset:         8
        .size:           8
        .value_kind:     global_buffer
    .group_segment_fixed_size: 0
    .kernarg_segment_align: 8
    .kernarg_segment_size: 16
    .language:       OpenCL C
    .language_version:
      - 2
      - 0
    .max_flat_workgroup_size: 1024
    .name:           _ZL21dequantize_block_q6_KIN3c104HalfEEvPKvPT_
    .private_segment_fixed_size: 0
    .sgpr_count:     10
    .sgpr_spill_count: 0
    .symbol:         _ZL21dequantize_block_q6_KIN3c104HalfEEvPKvPT_.kd
    .uniform_work_group_size: 1
    .uses_dynamic_stack: false
    .vgpr_count:     16
    .vgpr_spill_count: 0
    .wavefront_size: 32
    .workgroup_processor_mode: 1
  - .args:
      - .actual_access:  read_only
        .address_space:  global
        .offset:         0
        .size:           8
        .value_kind:     global_buffer
      - .actual_access:  write_only
        .address_space:  global
        .offset:         8
        .size:           8
        .value_kind:     global_buffer
    .group_segment_fixed_size: 0
    .kernarg_segment_align: 8
    .kernarg_segment_size: 16
    .language:       OpenCL C
    .language_version:
      - 2
      - 0
    .max_flat_workgroup_size: 1024
    .name:           _ZL24dequantize_block_iq2_xxsIN3c104HalfEEvPKvPT_
    .private_segment_fixed_size: 0
    .sgpr_count:     10
    .sgpr_spill_count: 0
    .symbol:         _ZL24dequantize_block_iq2_xxsIN3c104HalfEEvPKvPT_.kd
    .uniform_work_group_size: 1
    .uses_dynamic_stack: false
    .vgpr_count:     20
    .vgpr_spill_count: 0
    .wavefront_size: 32
    .workgroup_processor_mode: 1
  - .args:
      - .actual_access:  read_only
        .address_space:  global
        .offset:         0
        .size:           8
        .value_kind:     global_buffer
      - .actual_access:  write_only
        .address_space:  global
        .offset:         8
        .size:           8
        .value_kind:     global_buffer
    .group_segment_fixed_size: 0
    .kernarg_segment_align: 8
    .kernarg_segment_size: 16
    .language:       OpenCL C
    .language_version:
      - 2
      - 0
    .max_flat_workgroup_size: 1024
    .name:           _ZL23dequantize_block_iq2_xsIN3c104HalfEEvPKvPT_
    .private_segment_fixed_size: 0
    .sgpr_count:     10
    .sgpr_spill_count: 0
    .symbol:         _ZL23dequantize_block_iq2_xsIN3c104HalfEEvPKvPT_.kd
    .uniform_work_group_size: 1
    .uses_dynamic_stack: false
    .vgpr_count:     20
    .vgpr_spill_count: 0
    .wavefront_size: 32
    .workgroup_processor_mode: 1
  - .args:
      - .actual_access:  read_only
        .address_space:  global
        .offset:         0
        .size:           8
        .value_kind:     global_buffer
      - .actual_access:  write_only
        .address_space:  global
        .offset:         8
        .size:           8
        .value_kind:     global_buffer
    .group_segment_fixed_size: 0
    .kernarg_segment_align: 8
    .kernarg_segment_size: 16
    .language:       OpenCL C
    .language_version:
      - 2
      - 0
    .max_flat_workgroup_size: 1024
    .name:           _ZL24dequantize_block_iq3_xxsIN3c104HalfEEvPKvPT_
    .private_segment_fixed_size: 0
    .sgpr_count:     10
    .sgpr_spill_count: 0
    .symbol:         _ZL24dequantize_block_iq3_xxsIN3c104HalfEEvPKvPT_.kd
    .uniform_work_group_size: 1
    .uses_dynamic_stack: false
    .vgpr_count:     20
    .vgpr_spill_count: 0
    .wavefront_size: 32
    .workgroup_processor_mode: 1
  - .args:
      - .actual_access:  read_only
        .address_space:  global
        .offset:         0
        .size:           8
        .value_kind:     global_buffer
      - .actual_access:  write_only
        .address_space:  global
        .offset:         8
        .size:           8
        .value_kind:     global_buffer
    .group_segment_fixed_size: 0
    .kernarg_segment_align: 8
    .kernarg_segment_size: 16
    .language:       OpenCL C
    .language_version:
      - 2
      - 0
    .max_flat_workgroup_size: 1024
    .name:           _ZL22dequantize_block_iq1_sIN3c104HalfEEvPKvPT_
    .private_segment_fixed_size: 0
    .sgpr_count:     10
    .sgpr_spill_count: 0
    .symbol:         _ZL22dequantize_block_iq1_sIN3c104HalfEEvPKvPT_.kd
    .uniform_work_group_size: 1
    .uses_dynamic_stack: false
    .vgpr_count:     15
    .vgpr_spill_count: 0
    .wavefront_size: 32
    .workgroup_processor_mode: 1
  - .args:
      - .actual_access:  read_only
        .address_space:  global
        .offset:         0
        .size:           8
        .value_kind:     global_buffer
      - .actual_access:  write_only
        .address_space:  global
        .offset:         8
        .size:           8
        .value_kind:     global_buffer
    .group_segment_fixed_size: 0
    .kernarg_segment_align: 8
    .kernarg_segment_size: 16
    .language:       OpenCL C
    .language_version:
      - 2
      - 0
    .max_flat_workgroup_size: 1024
    .name:           _ZL23dequantize_block_iq4_nlIN3c104HalfEEvPKvPT_
    .private_segment_fixed_size: 0
    .sgpr_count:     9
    .sgpr_spill_count: 0
    .symbol:         _ZL23dequantize_block_iq4_nlIN3c104HalfEEvPKvPT_.kd
    .uniform_work_group_size: 1
    .uses_dynamic_stack: false
    .vgpr_count:     14
    .vgpr_spill_count: 0
    .wavefront_size: 32
    .workgroup_processor_mode: 1
  - .args:
      - .actual_access:  read_only
        .address_space:  global
        .offset:         0
        .size:           8
        .value_kind:     global_buffer
      - .actual_access:  write_only
        .address_space:  global
        .offset:         8
        .size:           8
        .value_kind:     global_buffer
    .group_segment_fixed_size: 0
    .kernarg_segment_align: 8
    .kernarg_segment_size: 16
    .language:       OpenCL C
    .language_version:
      - 2
      - 0
    .max_flat_workgroup_size: 1024
    .name:           _ZL22dequantize_block_iq3_sIN3c104HalfEEvPKvPT_
    .private_segment_fixed_size: 0
    .sgpr_count:     10
    .sgpr_spill_count: 0
    .symbol:         _ZL22dequantize_block_iq3_sIN3c104HalfEEvPKvPT_.kd
    .uniform_work_group_size: 1
    .uses_dynamic_stack: false
    .vgpr_count:     20
    .vgpr_spill_count: 0
    .wavefront_size: 32
    .workgroup_processor_mode: 1
  - .args:
      - .actual_access:  read_only
        .address_space:  global
        .offset:         0
        .size:           8
        .value_kind:     global_buffer
      - .actual_access:  write_only
        .address_space:  global
        .offset:         8
        .size:           8
        .value_kind:     global_buffer
    .group_segment_fixed_size: 0
    .kernarg_segment_align: 8
    .kernarg_segment_size: 16
    .language:       OpenCL C
    .language_version:
      - 2
      - 0
    .max_flat_workgroup_size: 1024
    .name:           _ZL22dequantize_block_iq2_sIN3c104HalfEEvPKvPT_
    .private_segment_fixed_size: 0
    .sgpr_count:     10
    .sgpr_spill_count: 0
    .symbol:         _ZL22dequantize_block_iq2_sIN3c104HalfEEvPKvPT_.kd
    .uniform_work_group_size: 1
    .uses_dynamic_stack: false
    .vgpr_count:     20
    .vgpr_spill_count: 0
    .wavefront_size: 32
    .workgroup_processor_mode: 1
  - .args:
      - .actual_access:  read_only
        .address_space:  global
        .offset:         0
        .size:           8
        .value_kind:     global_buffer
      - .actual_access:  write_only
        .address_space:  global
        .offset:         8
        .size:           8
        .value_kind:     global_buffer
    .group_segment_fixed_size: 0
    .kernarg_segment_align: 8
    .kernarg_segment_size: 16
    .language:       OpenCL C
    .language_version:
      - 2
      - 0
    .max_flat_workgroup_size: 1024
    .name:           _ZL23dequantize_block_iq4_xsIN3c104HalfEEvPKvPT_
    .private_segment_fixed_size: 0
    .sgpr_count:     10
    .sgpr_spill_count: 0
    .symbol:         _ZL23dequantize_block_iq4_xsIN3c104HalfEEvPKvPT_.kd
    .uniform_work_group_size: 1
    .uses_dynamic_stack: false
    .vgpr_count:     15
    .vgpr_spill_count: 0
    .wavefront_size: 32
    .workgroup_processor_mode: 1
  - .args:
      - .actual_access:  read_only
        .address_space:  global
        .offset:         0
        .size:           8
        .value_kind:     global_buffer
      - .actual_access:  write_only
        .address_space:  global
        .offset:         8
        .size:           8
        .value_kind:     global_buffer
    .group_segment_fixed_size: 0
    .kernarg_segment_align: 8
    .kernarg_segment_size: 16
    .language:       OpenCL C
    .language_version:
      - 2
      - 0
    .max_flat_workgroup_size: 1024
    .name:           _ZL22dequantize_block_iq1_mIN3c104HalfEEvPKvPT_
    .private_segment_fixed_size: 0
    .sgpr_count:     10
    .sgpr_spill_count: 0
    .symbol:         _ZL22dequantize_block_iq1_mIN3c104HalfEEvPKvPT_.kd
    .uniform_work_group_size: 1
    .uses_dynamic_stack: false
    .vgpr_count:     14
    .vgpr_spill_count: 0
    .wavefront_size: 32
    .workgroup_processor_mode: 1
  - .args:
      - .actual_access:  read_only
        .address_space:  global
        .offset:         0
        .size:           8
        .value_kind:     global_buffer
      - .actual_access:  write_only
        .address_space:  global
        .offset:         8
        .size:           8
        .value_kind:     global_buffer
      - .offset:         16
        .size:           8
        .value_kind:     by_value
      - .offset:         24
        .size:           4
        .value_kind:     hidden_block_count_x
      - .offset:         28
        .size:           4
        .value_kind:     hidden_block_count_y
      - .offset:         32
        .size:           4
        .value_kind:     hidden_block_count_z
      - .offset:         36
        .size:           2
        .value_kind:     hidden_group_size_x
      - .offset:         38
        .size:           2
        .value_kind:     hidden_group_size_y
      - .offset:         40
        .size:           2
        .value_kind:     hidden_group_size_z
      - .offset:         42
        .size:           2
        .value_kind:     hidden_remainder_x
      - .offset:         44
        .size:           2
        .value_kind:     hidden_remainder_y
      - .offset:         46
        .size:           2
        .value_kind:     hidden_remainder_z
      - .offset:         64
        .size:           8
        .value_kind:     hidden_global_offset_x
      - .offset:         72
        .size:           8
        .value_kind:     hidden_global_offset_y
      - .offset:         80
        .size:           8
        .value_kind:     hidden_global_offset_z
      - .offset:         88
        .size:           2
        .value_kind:     hidden_grid_dims
    .group_segment_fixed_size: 0
    .kernarg_segment_align: 8
    .kernarg_segment_size: 280
    .language:       OpenCL C
    .language_version:
      - 2
      - 0
    .max_flat_workgroup_size: 1024
    .name:           _ZL16dequantize_blockILi32ELi2EXadL_ZL15dequantize_q4_0PKviiR7__half2EEN3c108BFloat16EEvS1_PT2_l
    .private_segment_fixed_size: 0
    .sgpr_count:     9
    .sgpr_spill_count: 0
    .symbol:         _ZL16dequantize_blockILi32ELi2EXadL_ZL15dequantize_q4_0PKviiR7__half2EEN3c108BFloat16EEvS1_PT2_l.kd
    .uniform_work_group_size: 1
    .uses_dynamic_stack: false
    .vgpr_count:     8
    .vgpr_spill_count: 0
    .wavefront_size: 32
    .workgroup_processor_mode: 1
  - .args:
      - .actual_access:  read_only
        .address_space:  global
        .offset:         0
        .size:           8
        .value_kind:     global_buffer
      - .actual_access:  write_only
        .address_space:  global
        .offset:         8
        .size:           8
        .value_kind:     global_buffer
      - .offset:         16
        .size:           8
        .value_kind:     by_value
      - .offset:         24
        .size:           4
        .value_kind:     hidden_block_count_x
      - .offset:         28
        .size:           4
        .value_kind:     hidden_block_count_y
      - .offset:         32
        .size:           4
        .value_kind:     hidden_block_count_z
      - .offset:         36
        .size:           2
        .value_kind:     hidden_group_size_x
      - .offset:         38
        .size:           2
        .value_kind:     hidden_group_size_y
      - .offset:         40
        .size:           2
        .value_kind:     hidden_group_size_z
      - .offset:         42
        .size:           2
        .value_kind:     hidden_remainder_x
      - .offset:         44
        .size:           2
        .value_kind:     hidden_remainder_y
      - .offset:         46
        .size:           2
        .value_kind:     hidden_remainder_z
      - .offset:         64
        .size:           8
        .value_kind:     hidden_global_offset_x
      - .offset:         72
        .size:           8
        .value_kind:     hidden_global_offset_y
      - .offset:         80
        .size:           8
        .value_kind:     hidden_global_offset_z
      - .offset:         88
        .size:           2
        .value_kind:     hidden_grid_dims
    .group_segment_fixed_size: 0
    .kernarg_segment_align: 8
    .kernarg_segment_size: 280
    .language:       OpenCL C
    .language_version:
      - 2
      - 0
    .max_flat_workgroup_size: 1024
    .name:           _ZL16dequantize_blockILi32ELi2EXadL_ZL15dequantize_q4_1PKviiR7__half2EEN3c108BFloat16EEvS1_PT2_l
    .private_segment_fixed_size: 0
    .sgpr_count:     9
    .sgpr_spill_count: 0
    .symbol:         _ZL16dequantize_blockILi32ELi2EXadL_ZL15dequantize_q4_1PKviiR7__half2EEN3c108BFloat16EEvS1_PT2_l.kd
    .uniform_work_group_size: 1
    .uses_dynamic_stack: false
    .vgpr_count:     8
    .vgpr_spill_count: 0
    .wavefront_size: 32
    .workgroup_processor_mode: 1
  - .args:
      - .actual_access:  read_only
        .address_space:  global
        .offset:         0
        .size:           8
        .value_kind:     global_buffer
      - .actual_access:  write_only
        .address_space:  global
        .offset:         8
        .size:           8
        .value_kind:     global_buffer
      - .offset:         16
        .size:           8
        .value_kind:     by_value
      - .offset:         24
        .size:           4
        .value_kind:     hidden_block_count_x
      - .offset:         28
        .size:           4
        .value_kind:     hidden_block_count_y
      - .offset:         32
        .size:           4
        .value_kind:     hidden_block_count_z
      - .offset:         36
        .size:           2
        .value_kind:     hidden_group_size_x
      - .offset:         38
        .size:           2
        .value_kind:     hidden_group_size_y
      - .offset:         40
        .size:           2
        .value_kind:     hidden_group_size_z
      - .offset:         42
        .size:           2
        .value_kind:     hidden_remainder_x
      - .offset:         44
        .size:           2
        .value_kind:     hidden_remainder_y
      - .offset:         46
        .size:           2
        .value_kind:     hidden_remainder_z
      - .offset:         64
        .size:           8
        .value_kind:     hidden_global_offset_x
      - .offset:         72
        .size:           8
        .value_kind:     hidden_global_offset_y
      - .offset:         80
        .size:           8
        .value_kind:     hidden_global_offset_z
      - .offset:         88
        .size:           2
        .value_kind:     hidden_grid_dims
    .group_segment_fixed_size: 0
    .kernarg_segment_align: 8
    .kernarg_segment_size: 280
    .language:       OpenCL C
    .language_version:
      - 2
      - 0
    .max_flat_workgroup_size: 1024
    .name:           _ZL16dequantize_blockILi32ELi2EXadL_ZL15dequantize_q5_0PKviiR7__half2EEN3c108BFloat16EEvS1_PT2_l
    .private_segment_fixed_size: 0
    .sgpr_count:     9
    .sgpr_spill_count: 0
    .symbol:         _ZL16dequantize_blockILi32ELi2EXadL_ZL15dequantize_q5_0PKviiR7__half2EEN3c108BFloat16EEvS1_PT2_l.kd
    .uniform_work_group_size: 1
    .uses_dynamic_stack: false
    .vgpr_count:     8
    .vgpr_spill_count: 0
    .wavefront_size: 32
    .workgroup_processor_mode: 1
  - .args:
      - .actual_access:  read_only
        .address_space:  global
        .offset:         0
        .size:           8
        .value_kind:     global_buffer
      - .actual_access:  write_only
        .address_space:  global
        .offset:         8
        .size:           8
        .value_kind:     global_buffer
      - .offset:         16
        .size:           8
        .value_kind:     by_value
      - .offset:         24
        .size:           4
        .value_kind:     hidden_block_count_x
      - .offset:         28
        .size:           4
        .value_kind:     hidden_block_count_y
      - .offset:         32
        .size:           4
        .value_kind:     hidden_block_count_z
      - .offset:         36
        .size:           2
        .value_kind:     hidden_group_size_x
      - .offset:         38
        .size:           2
        .value_kind:     hidden_group_size_y
      - .offset:         40
        .size:           2
        .value_kind:     hidden_group_size_z
      - .offset:         42
        .size:           2
        .value_kind:     hidden_remainder_x
      - .offset:         44
        .size:           2
        .value_kind:     hidden_remainder_y
      - .offset:         46
        .size:           2
        .value_kind:     hidden_remainder_z
      - .offset:         64
        .size:           8
        .value_kind:     hidden_global_offset_x
      - .offset:         72
        .size:           8
        .value_kind:     hidden_global_offset_y
      - .offset:         80
        .size:           8
        .value_kind:     hidden_global_offset_z
      - .offset:         88
        .size:           2
        .value_kind:     hidden_grid_dims
    .group_segment_fixed_size: 0
    .kernarg_segment_align: 8
    .kernarg_segment_size: 280
    .language:       OpenCL C
    .language_version:
      - 2
      - 0
    .max_flat_workgroup_size: 1024
    .name:           _ZL16dequantize_blockILi32ELi2EXadL_ZL15dequantize_q5_1PKviiR7__half2EEN3c108BFloat16EEvS1_PT2_l
    .private_segment_fixed_size: 0
    .sgpr_count:     9
    .sgpr_spill_count: 0
    .symbol:         _ZL16dequantize_blockILi32ELi2EXadL_ZL15dequantize_q5_1PKviiR7__half2EEN3c108BFloat16EEvS1_PT2_l.kd
    .uniform_work_group_size: 1
    .uses_dynamic_stack: false
    .vgpr_count:     7
    .vgpr_spill_count: 0
    .wavefront_size: 32
    .workgroup_processor_mode: 1
  - .args:
      - .actual_access:  read_only
        .address_space:  global
        .offset:         0
        .size:           8
        .value_kind:     global_buffer
      - .actual_access:  write_only
        .address_space:  global
        .offset:         8
        .size:           8
        .value_kind:     global_buffer
      - .offset:         16
        .size:           8
        .value_kind:     by_value
      - .offset:         24
        .size:           4
        .value_kind:     hidden_block_count_x
      - .offset:         28
        .size:           4
        .value_kind:     hidden_block_count_y
      - .offset:         32
        .size:           4
        .value_kind:     hidden_block_count_z
      - .offset:         36
        .size:           2
        .value_kind:     hidden_group_size_x
      - .offset:         38
        .size:           2
        .value_kind:     hidden_group_size_y
      - .offset:         40
        .size:           2
        .value_kind:     hidden_group_size_z
      - .offset:         42
        .size:           2
        .value_kind:     hidden_remainder_x
      - .offset:         44
        .size:           2
        .value_kind:     hidden_remainder_y
      - .offset:         46
        .size:           2
        .value_kind:     hidden_remainder_z
      - .offset:         64
        .size:           8
        .value_kind:     hidden_global_offset_x
      - .offset:         72
        .size:           8
        .value_kind:     hidden_global_offset_y
      - .offset:         80
        .size:           8
        .value_kind:     hidden_global_offset_z
      - .offset:         88
        .size:           2
        .value_kind:     hidden_grid_dims
    .group_segment_fixed_size: 0
    .kernarg_segment_align: 8
    .kernarg_segment_size: 280
    .language:       OpenCL C
    .language_version:
      - 2
      - 0
    .max_flat_workgroup_size: 1024
    .name:           _ZL16dequantize_blockILi32ELi1EXadL_ZL15dequantize_q8_0PKviiR7__half2EEN3c108BFloat16EEvS1_PT2_l
    .private_segment_fixed_size: 0
    .sgpr_count:     9
    .sgpr_spill_count: 0
    .symbol:         _ZL16dequantize_blockILi32ELi1EXadL_ZL15dequantize_q8_0PKviiR7__half2EEN3c108BFloat16EEvS1_PT2_l.kd
    .uniform_work_group_size: 1
    .uses_dynamic_stack: false
    .vgpr_count:     9
    .vgpr_spill_count: 0
    .wavefront_size: 32
    .workgroup_processor_mode: 1
  - .args:
      - .actual_access:  read_only
        .address_space:  global
        .offset:         0
        .size:           8
        .value_kind:     global_buffer
      - .actual_access:  write_only
        .address_space:  global
        .offset:         8
        .size:           8
        .value_kind:     global_buffer
    .group_segment_fixed_size: 0
    .kernarg_segment_align: 8
    .kernarg_segment_size: 16
    .language:       OpenCL C
    .language_version:
      - 2
      - 0
    .max_flat_workgroup_size: 1024
    .name:           _ZL21dequantize_block_q2_KIN3c108BFloat16EEvPKvPT_
    .private_segment_fixed_size: 0
    .sgpr_count:     9
    .sgpr_spill_count: 0
    .symbol:         _ZL21dequantize_block_q2_KIN3c108BFloat16EEvPKvPT_.kd
    .uniform_work_group_size: 1
    .uses_dynamic_stack: false
    .vgpr_count:     15
    .vgpr_spill_count: 0
    .wavefront_size: 32
    .workgroup_processor_mode: 1
  - .args:
      - .actual_access:  read_only
        .address_space:  global
        .offset:         0
        .size:           8
        .value_kind:     global_buffer
      - .actual_access:  write_only
        .address_space:  global
        .offset:         8
        .size:           8
        .value_kind:     global_buffer
    .group_segment_fixed_size: 0
    .kernarg_segment_align: 8
    .kernarg_segment_size: 16
    .language:       OpenCL C
    .language_version:
      - 2
      - 0
    .max_flat_workgroup_size: 1024
    .name:           _ZL21dequantize_block_q3_KIN3c108BFloat16EEvPKvPT_
    .private_segment_fixed_size: 0
    .sgpr_count:     12
    .sgpr_spill_count: 0
    .symbol:         _ZL21dequantize_block_q3_KIN3c108BFloat16EEvPKvPT_.kd
    .uniform_work_group_size: 1
    .uses_dynamic_stack: false
    .vgpr_count:     16
    .vgpr_spill_count: 0
    .wavefront_size: 32
    .workgroup_processor_mode: 1
  - .args:
      - .actual_access:  read_only
        .address_space:  global
        .offset:         0
        .size:           8
        .value_kind:     global_buffer
      - .actual_access:  write_only
        .address_space:  global
        .offset:         8
        .size:           8
        .value_kind:     global_buffer
    .group_segment_fixed_size: 0
    .kernarg_segment_align: 8
    .kernarg_segment_size: 16
    .language:       OpenCL C
    .language_version:
      - 2
      - 0
    .max_flat_workgroup_size: 1024
    .name:           _ZL21dequantize_block_q4_KIN3c108BFloat16EEvPKvPT_
    .private_segment_fixed_size: 0
    .sgpr_count:     9
    .sgpr_spill_count: 0
    .symbol:         _ZL21dequantize_block_q4_KIN3c108BFloat16EEvPKvPT_.kd
    .uniform_work_group_size: 1
    .uses_dynamic_stack: false
    .vgpr_count:     22
    .vgpr_spill_count: 0
    .wavefront_size: 32
    .workgroup_processor_mode: 1
  - .args:
      - .actual_access:  read_only
        .address_space:  global
        .offset:         0
        .size:           8
        .value_kind:     global_buffer
      - .actual_access:  write_only
        .address_space:  global
        .offset:         8
        .size:           8
        .value_kind:     global_buffer
    .group_segment_fixed_size: 0
    .kernarg_segment_align: 8
    .kernarg_segment_size: 16
    .language:       OpenCL C
    .language_version:
      - 2
      - 0
    .max_flat_workgroup_size: 1024
    .name:           _ZL21dequantize_block_q5_KIN3c108BFloat16EEvPKvPT_
    .private_segment_fixed_size: 0
    .sgpr_count:     9
    .sgpr_spill_count: 0
    .symbol:         _ZL21dequantize_block_q5_KIN3c108BFloat16EEvPKvPT_.kd
    .uniform_work_group_size: 1
    .uses_dynamic_stack: false
    .vgpr_count:     15
    .vgpr_spill_count: 0
    .wavefront_size: 32
    .workgroup_processor_mode: 1
  - .args:
      - .actual_access:  read_only
        .address_space:  global
        .offset:         0
        .size:           8
        .value_kind:     global_buffer
      - .actual_access:  write_only
        .address_space:  global
        .offset:         8
        .size:           8
        .value_kind:     global_buffer
    .group_segment_fixed_size: 0
    .kernarg_segment_align: 8
    .kernarg_segment_size: 16
    .language:       OpenCL C
    .language_version:
      - 2
      - 0
    .max_flat_workgroup_size: 1024
    .name:           _ZL21dequantize_block_q6_KIN3c108BFloat16EEvPKvPT_
    .private_segment_fixed_size: 0
    .sgpr_count:     10
    .sgpr_spill_count: 0
    .symbol:         _ZL21dequantize_block_q6_KIN3c108BFloat16EEvPKvPT_.kd
    .uniform_work_group_size: 1
    .uses_dynamic_stack: false
    .vgpr_count:     16
    .vgpr_spill_count: 0
    .wavefront_size: 32
    .workgroup_processor_mode: 1
  - .args:
      - .actual_access:  read_only
        .address_space:  global
        .offset:         0
        .size:           8
        .value_kind:     global_buffer
      - .actual_access:  write_only
        .address_space:  global
        .offset:         8
        .size:           8
        .value_kind:     global_buffer
    .group_segment_fixed_size: 0
    .kernarg_segment_align: 8
    .kernarg_segment_size: 16
    .language:       OpenCL C
    .language_version:
      - 2
      - 0
    .max_flat_workgroup_size: 1024
    .name:           _ZL24dequantize_block_iq2_xxsIN3c108BFloat16EEvPKvPT_
    .private_segment_fixed_size: 0
    .sgpr_count:     10
    .sgpr_spill_count: 0
    .symbol:         _ZL24dequantize_block_iq2_xxsIN3c108BFloat16EEvPKvPT_.kd
    .uniform_work_group_size: 1
    .uses_dynamic_stack: false
    .vgpr_count:     23
    .vgpr_spill_count: 0
    .wavefront_size: 32
    .workgroup_processor_mode: 1
  - .args:
      - .actual_access:  read_only
        .address_space:  global
        .offset:         0
        .size:           8
        .value_kind:     global_buffer
      - .actual_access:  write_only
        .address_space:  global
        .offset:         8
        .size:           8
        .value_kind:     global_buffer
    .group_segment_fixed_size: 0
    .kernarg_segment_align: 8
    .kernarg_segment_size: 16
    .language:       OpenCL C
    .language_version:
      - 2
      - 0
    .max_flat_workgroup_size: 1024
    .name:           _ZL23dequantize_block_iq2_xsIN3c108BFloat16EEvPKvPT_
    .private_segment_fixed_size: 0
    .sgpr_count:     10
    .sgpr_spill_count: 0
    .symbol:         _ZL23dequantize_block_iq2_xsIN3c108BFloat16EEvPKvPT_.kd
    .uniform_work_group_size: 1
    .uses_dynamic_stack: false
    .vgpr_count:     23
    .vgpr_spill_count: 0
    .wavefront_size: 32
    .workgroup_processor_mode: 1
  - .args:
      - .actual_access:  read_only
        .address_space:  global
        .offset:         0
        .size:           8
        .value_kind:     global_buffer
      - .actual_access:  write_only
        .address_space:  global
        .offset:         8
        .size:           8
        .value_kind:     global_buffer
    .group_segment_fixed_size: 0
    .kernarg_segment_align: 8
    .kernarg_segment_size: 16
    .language:       OpenCL C
    .language_version:
      - 2
      - 0
    .max_flat_workgroup_size: 1024
    .name:           _ZL24dequantize_block_iq3_xxsIN3c108BFloat16EEvPKvPT_
    .private_segment_fixed_size: 0
    .sgpr_count:     10
    .sgpr_spill_count: 0
    .symbol:         _ZL24dequantize_block_iq3_xxsIN3c108BFloat16EEvPKvPT_.kd
    .uniform_work_group_size: 1
    .uses_dynamic_stack: false
    .vgpr_count:     23
    .vgpr_spill_count: 0
    .wavefront_size: 32
    .workgroup_processor_mode: 1
  - .args:
      - .actual_access:  read_only
        .address_space:  global
        .offset:         0
        .size:           8
        .value_kind:     global_buffer
      - .actual_access:  write_only
        .address_space:  global
        .offset:         8
        .size:           8
        .value_kind:     global_buffer
    .group_segment_fixed_size: 0
    .kernarg_segment_align: 8
    .kernarg_segment_size: 16
    .language:       OpenCL C
    .language_version:
      - 2
      - 0
    .max_flat_workgroup_size: 1024
    .name:           _ZL22dequantize_block_iq1_sIN3c108BFloat16EEvPKvPT_
    .private_segment_fixed_size: 0
    .sgpr_count:     10
    .sgpr_spill_count: 0
    .symbol:         _ZL22dequantize_block_iq1_sIN3c108BFloat16EEvPKvPT_.kd
    .uniform_work_group_size: 1
    .uses_dynamic_stack: false
    .vgpr_count:     20
    .vgpr_spill_count: 0
    .wavefront_size: 32
    .workgroup_processor_mode: 1
  - .args:
      - .actual_access:  read_only
        .address_space:  global
        .offset:         0
        .size:           8
        .value_kind:     global_buffer
      - .actual_access:  write_only
        .address_space:  global
        .offset:         8
        .size:           8
        .value_kind:     global_buffer
    .group_segment_fixed_size: 0
    .kernarg_segment_align: 8
    .kernarg_segment_size: 16
    .language:       OpenCL C
    .language_version:
      - 2
      - 0
    .max_flat_workgroup_size: 1024
    .name:           _ZL23dequantize_block_iq4_nlIN3c108BFloat16EEvPKvPT_
    .private_segment_fixed_size: 0
    .sgpr_count:     9
    .sgpr_spill_count: 0
    .symbol:         _ZL23dequantize_block_iq4_nlIN3c108BFloat16EEvPKvPT_.kd
    .uniform_work_group_size: 1
    .uses_dynamic_stack: false
    .vgpr_count:     19
    .vgpr_spill_count: 0
    .wavefront_size: 32
    .workgroup_processor_mode: 1
  - .args:
      - .actual_access:  read_only
        .address_space:  global
        .offset:         0
        .size:           8
        .value_kind:     global_buffer
      - .actual_access:  write_only
        .address_space:  global
        .offset:         8
        .size:           8
        .value_kind:     global_buffer
    .group_segment_fixed_size: 0
    .kernarg_segment_align: 8
    .kernarg_segment_size: 16
    .language:       OpenCL C
    .language_version:
      - 2
      - 0
    .max_flat_workgroup_size: 1024
    .name:           _ZL22dequantize_block_iq3_sIN3c108BFloat16EEvPKvPT_
    .private_segment_fixed_size: 0
    .sgpr_count:     10
    .sgpr_spill_count: 0
    .symbol:         _ZL22dequantize_block_iq3_sIN3c108BFloat16EEvPKvPT_.kd
    .uniform_work_group_size: 1
    .uses_dynamic_stack: false
    .vgpr_count:     23
    .vgpr_spill_count: 0
    .wavefront_size: 32
    .workgroup_processor_mode: 1
  - .args:
      - .actual_access:  read_only
        .address_space:  global
        .offset:         0
        .size:           8
        .value_kind:     global_buffer
      - .actual_access:  write_only
        .address_space:  global
        .offset:         8
        .size:           8
        .value_kind:     global_buffer
    .group_segment_fixed_size: 0
    .kernarg_segment_align: 8
    .kernarg_segment_size: 16
    .language:       OpenCL C
    .language_version:
      - 2
      - 0
    .max_flat_workgroup_size: 1024
    .name:           _ZL22dequantize_block_iq2_sIN3c108BFloat16EEvPKvPT_
    .private_segment_fixed_size: 0
    .sgpr_count:     10
    .sgpr_spill_count: 0
    .symbol:         _ZL22dequantize_block_iq2_sIN3c108BFloat16EEvPKvPT_.kd
    .uniform_work_group_size: 1
    .uses_dynamic_stack: false
    .vgpr_count:     23
    .vgpr_spill_count: 0
    .wavefront_size: 32
    .workgroup_processor_mode: 1
  - .args:
      - .actual_access:  read_only
        .address_space:  global
        .offset:         0
        .size:           8
        .value_kind:     global_buffer
      - .actual_access:  write_only
        .address_space:  global
        .offset:         8
        .size:           8
        .value_kind:     global_buffer
    .group_segment_fixed_size: 0
    .kernarg_segment_align: 8
    .kernarg_segment_size: 16
    .language:       OpenCL C
    .language_version:
      - 2
      - 0
    .max_flat_workgroup_size: 1024
    .name:           _ZL23dequantize_block_iq4_xsIN3c108BFloat16EEvPKvPT_
    .private_segment_fixed_size: 0
    .sgpr_count:     10
    .sgpr_spill_count: 0
    .symbol:         _ZL23dequantize_block_iq4_xsIN3c108BFloat16EEvPKvPT_.kd
    .uniform_work_group_size: 1
    .uses_dynamic_stack: false
    .vgpr_count:     19
    .vgpr_spill_count: 0
    .wavefront_size: 32
    .workgroup_processor_mode: 1
  - .args:
      - .actual_access:  read_only
        .address_space:  global
        .offset:         0
        .size:           8
        .value_kind:     global_buffer
      - .actual_access:  write_only
        .address_space:  global
        .offset:         8
        .size:           8
        .value_kind:     global_buffer
    .group_segment_fixed_size: 0
    .kernarg_segment_align: 8
    .kernarg_segment_size: 16
    .language:       OpenCL C
    .language_version:
      - 2
      - 0
    .max_flat_workgroup_size: 1024
    .name:           _ZL22dequantize_block_iq1_mIN3c108BFloat16EEvPKvPT_
    .private_segment_fixed_size: 0
    .sgpr_count:     10
    .sgpr_spill_count: 0
    .symbol:         _ZL22dequantize_block_iq1_mIN3c108BFloat16EEvPKvPT_.kd
    .uniform_work_group_size: 1
    .uses_dynamic_stack: false
    .vgpr_count:     20
    .vgpr_spill_count: 0
    .wavefront_size: 32
    .workgroup_processor_mode: 1
  - .args:
      - .actual_access:  read_only
        .address_space:  global
        .offset:         0
        .size:           8
        .value_kind:     global_buffer
      - .actual_access:  write_only
        .address_space:  global
        .offset:         8
        .size:           8
        .value_kind:     global_buffer
      - .offset:         16
        .size:           4
        .value_kind:     by_value
      - .offset:         20
        .size:           4
        .value_kind:     by_value
      - .offset:         24
        .size:           4
        .value_kind:     hidden_block_count_x
      - .offset:         28
        .size:           4
        .value_kind:     hidden_block_count_y
      - .offset:         32
        .size:           4
        .value_kind:     hidden_block_count_z
      - .offset:         36
        .size:           2
        .value_kind:     hidden_group_size_x
      - .offset:         38
        .size:           2
        .value_kind:     hidden_group_size_y
      - .offset:         40
        .size:           2
        .value_kind:     hidden_group_size_z
      - .offset:         42
        .size:           2
        .value_kind:     hidden_remainder_x
      - .offset:         44
        .size:           2
        .value_kind:     hidden_remainder_y
      - .offset:         46
        .size:           2
        .value_kind:     hidden_remainder_z
      - .offset:         64
        .size:           8
        .value_kind:     hidden_global_offset_x
      - .offset:         72
        .size:           8
        .value_kind:     hidden_global_offset_y
      - .offset:         80
        .size:           8
        .value_kind:     hidden_global_offset_z
      - .offset:         88
        .size:           2
        .value_kind:     hidden_grid_dims
    .group_segment_fixed_size: 0
    .kernarg_segment_align: 8
    .kernarg_segment_size: 280
    .language:       OpenCL C
    .language_version:
      - 2
      - 0
    .max_flat_workgroup_size: 1024
    .name:           _ZL13quantize_q8_1IfEvPKT_Pvii
    .private_segment_fixed_size: 0
    .sgpr_count:     11
    .sgpr_spill_count: 0
    .symbol:         _ZL13quantize_q8_1IfEvPKT_Pvii.kd
    .uniform_work_group_size: 1
    .uses_dynamic_stack: false
    .vgpr_count:     13
    .vgpr_spill_count: 0
    .wavefront_size: 32
    .workgroup_processor_mode: 1
  - .args:
      - .actual_access:  read_only
        .address_space:  global
        .offset:         0
        .size:           8
        .value_kind:     global_buffer
      - .actual_access:  read_only
        .address_space:  global
        .offset:         8
        .size:           8
        .value_kind:     global_buffer
      - .actual_access:  write_only
        .address_space:  global
        .offset:         16
        .size:           8
        .value_kind:     global_buffer
      - .offset:         24
        .size:           4
        .value_kind:     by_value
      - .offset:         28
        .size:           4
        .value_kind:     by_value
      - .offset:         32
        .size:           4
        .value_kind:     by_value
      - .offset:         40
        .size:           4
        .value_kind:     hidden_block_count_x
      - .offset:         44
        .size:           4
        .value_kind:     hidden_block_count_y
      - .offset:         48
        .size:           4
        .value_kind:     hidden_block_count_z
      - .offset:         52
        .size:           2
        .value_kind:     hidden_group_size_x
      - .offset:         54
        .size:           2
        .value_kind:     hidden_group_size_y
      - .offset:         56
        .size:           2
        .value_kind:     hidden_group_size_z
      - .offset:         58
        .size:           2
        .value_kind:     hidden_remainder_x
      - .offset:         60
        .size:           2
        .value_kind:     hidden_remainder_y
      - .offset:         62
        .size:           2
        .value_kind:     hidden_remainder_z
      - .offset:         80
        .size:           8
        .value_kind:     hidden_global_offset_x
      - .offset:         88
        .size:           8
        .value_kind:     hidden_global_offset_y
      - .offset:         96
        .size:           8
        .value_kind:     hidden_global_offset_z
      - .offset:         104
        .size:           2
        .value_kind:     hidden_grid_dims
    .group_segment_fixed_size: 0
    .kernarg_segment_align: 8
    .kernarg_segment_size: 296
    .language:       OpenCL C
    .language_version:
      - 2
      - 0
    .max_flat_workgroup_size: 1024
    .name:           _ZL13mul_mat_vec_qIfLi32ELi4E10block_q4_0Li2EXadL_ZL17vec_dot_q4_0_q8_1PKvPK10block_q8_1RKiEEEvS2_S2_PT_iii
    .private_segment_fixed_size: 0
    .sgpr_count:     15
    .sgpr_spill_count: 0
    .symbol:         _ZL13mul_mat_vec_qIfLi32ELi4E10block_q4_0Li2EXadL_ZL17vec_dot_q4_0_q8_1PKvPK10block_q8_1RKiEEEvS2_S2_PT_iii.kd
    .uniform_work_group_size: 1
    .uses_dynamic_stack: false
    .vgpr_count:     16
    .vgpr_spill_count: 0
    .wavefront_size: 32
    .workgroup_processor_mode: 1
  - .args:
      - .actual_access:  read_only
        .address_space:  global
        .offset:         0
        .size:           8
        .value_kind:     global_buffer
      - .actual_access:  read_only
        .address_space:  global
        .offset:         8
        .size:           8
        .value_kind:     global_buffer
      - .actual_access:  write_only
        .address_space:  global
        .offset:         16
        .size:           8
        .value_kind:     global_buffer
      - .offset:         24
        .size:           4
        .value_kind:     by_value
      - .offset:         28
        .size:           4
        .value_kind:     by_value
      - .offset:         32
        .size:           4
        .value_kind:     by_value
      - .offset:         40
        .size:           4
        .value_kind:     hidden_block_count_x
      - .offset:         44
        .size:           4
        .value_kind:     hidden_block_count_y
      - .offset:         48
        .size:           4
        .value_kind:     hidden_block_count_z
      - .offset:         52
        .size:           2
        .value_kind:     hidden_group_size_x
      - .offset:         54
        .size:           2
        .value_kind:     hidden_group_size_y
      - .offset:         56
        .size:           2
        .value_kind:     hidden_group_size_z
      - .offset:         58
        .size:           2
        .value_kind:     hidden_remainder_x
      - .offset:         60
        .size:           2
        .value_kind:     hidden_remainder_y
      - .offset:         62
        .size:           2
        .value_kind:     hidden_remainder_z
      - .offset:         80
        .size:           8
        .value_kind:     hidden_global_offset_x
      - .offset:         88
        .size:           8
        .value_kind:     hidden_global_offset_y
      - .offset:         96
        .size:           8
        .value_kind:     hidden_global_offset_z
      - .offset:         104
        .size:           2
        .value_kind:     hidden_grid_dims
    .group_segment_fixed_size: 0
    .kernarg_segment_align: 8
    .kernarg_segment_size: 296
    .language:       OpenCL C
    .language_version:
      - 2
      - 0
    .max_flat_workgroup_size: 1024
    .name:           _ZL13mul_mat_vec_qIfLi32ELi4E10block_q4_1Li2EXadL_ZL17vec_dot_q4_1_q8_1PKvPK10block_q8_1RKiEEEvS2_S2_PT_iii
    .private_segment_fixed_size: 0
    .sgpr_count:     15
    .sgpr_spill_count: 0
    .symbol:         _ZL13mul_mat_vec_qIfLi32ELi4E10block_q4_1Li2EXadL_ZL17vec_dot_q4_1_q8_1PKvPK10block_q8_1RKiEEEvS2_S2_PT_iii.kd
    .uniform_work_group_size: 1
    .uses_dynamic_stack: false
    .vgpr_count:     16
    .vgpr_spill_count: 0
    .wavefront_size: 32
    .workgroup_processor_mode: 1
  - .args:
      - .actual_access:  read_only
        .address_space:  global
        .offset:         0
        .size:           8
        .value_kind:     global_buffer
      - .actual_access:  read_only
        .address_space:  global
        .offset:         8
        .size:           8
        .value_kind:     global_buffer
      - .actual_access:  write_only
        .address_space:  global
        .offset:         16
        .size:           8
        .value_kind:     global_buffer
      - .offset:         24
        .size:           4
        .value_kind:     by_value
      - .offset:         28
        .size:           4
        .value_kind:     by_value
      - .offset:         32
        .size:           4
        .value_kind:     by_value
      - .offset:         40
        .size:           4
        .value_kind:     hidden_block_count_x
      - .offset:         44
        .size:           4
        .value_kind:     hidden_block_count_y
      - .offset:         48
        .size:           4
        .value_kind:     hidden_block_count_z
      - .offset:         52
        .size:           2
        .value_kind:     hidden_group_size_x
      - .offset:         54
        .size:           2
        .value_kind:     hidden_group_size_y
      - .offset:         56
        .size:           2
        .value_kind:     hidden_group_size_z
      - .offset:         58
        .size:           2
        .value_kind:     hidden_remainder_x
      - .offset:         60
        .size:           2
        .value_kind:     hidden_remainder_y
      - .offset:         62
        .size:           2
        .value_kind:     hidden_remainder_z
      - .offset:         80
        .size:           8
        .value_kind:     hidden_global_offset_x
      - .offset:         88
        .size:           8
        .value_kind:     hidden_global_offset_y
      - .offset:         96
        .size:           8
        .value_kind:     hidden_global_offset_z
      - .offset:         104
        .size:           2
        .value_kind:     hidden_grid_dims
    .group_segment_fixed_size: 0
    .kernarg_segment_align: 8
    .kernarg_segment_size: 296
    .language:       OpenCL C
    .language_version:
      - 2
      - 0
    .max_flat_workgroup_size: 1024
    .name:           _ZL13mul_mat_vec_qIfLi32ELi4E10block_q5_0Li2EXadL_ZL17vec_dot_q5_0_q8_1PKvPK10block_q8_1RKiEEEvS2_S2_PT_iii
    .private_segment_fixed_size: 0
    .sgpr_count:     15
    .sgpr_spill_count: 0
    .symbol:         _ZL13mul_mat_vec_qIfLi32ELi4E10block_q5_0Li2EXadL_ZL17vec_dot_q5_0_q8_1PKvPK10block_q8_1RKiEEEvS2_S2_PT_iii.kd
    .uniform_work_group_size: 1
    .uses_dynamic_stack: false
    .vgpr_count:     34
    .vgpr_spill_count: 0
    .wavefront_size: 32
    .workgroup_processor_mode: 1
  - .args:
      - .actual_access:  read_only
        .address_space:  global
        .offset:         0
        .size:           8
        .value_kind:     global_buffer
      - .actual_access:  read_only
        .address_space:  global
        .offset:         8
        .size:           8
        .value_kind:     global_buffer
      - .actual_access:  write_only
        .address_space:  global
        .offset:         16
        .size:           8
        .value_kind:     global_buffer
      - .offset:         24
        .size:           4
        .value_kind:     by_value
      - .offset:         28
        .size:           4
        .value_kind:     by_value
      - .offset:         32
        .size:           4
        .value_kind:     by_value
      - .offset:         40
        .size:           4
        .value_kind:     hidden_block_count_x
      - .offset:         44
        .size:           4
        .value_kind:     hidden_block_count_y
      - .offset:         48
        .size:           4
        .value_kind:     hidden_block_count_z
      - .offset:         52
        .size:           2
        .value_kind:     hidden_group_size_x
      - .offset:         54
        .size:           2
        .value_kind:     hidden_group_size_y
      - .offset:         56
        .size:           2
        .value_kind:     hidden_group_size_z
      - .offset:         58
        .size:           2
        .value_kind:     hidden_remainder_x
      - .offset:         60
        .size:           2
        .value_kind:     hidden_remainder_y
      - .offset:         62
        .size:           2
        .value_kind:     hidden_remainder_z
      - .offset:         80
        .size:           8
        .value_kind:     hidden_global_offset_x
      - .offset:         88
        .size:           8
        .value_kind:     hidden_global_offset_y
      - .offset:         96
        .size:           8
        .value_kind:     hidden_global_offset_z
      - .offset:         104
        .size:           2
        .value_kind:     hidden_grid_dims
    .group_segment_fixed_size: 0
    .kernarg_segment_align: 8
    .kernarg_segment_size: 296
    .language:       OpenCL C
    .language_version:
      - 2
      - 0
    .max_flat_workgroup_size: 1024
    .name:           _ZL13mul_mat_vec_qIfLi32ELi4E10block_q5_1Li2EXadL_ZL17vec_dot_q5_1_q8_1PKvPK10block_q8_1RKiEEEvS2_S2_PT_iii
    .private_segment_fixed_size: 0
    .sgpr_count:     15
    .sgpr_spill_count: 0
    .symbol:         _ZL13mul_mat_vec_qIfLi32ELi4E10block_q5_1Li2EXadL_ZL17vec_dot_q5_1_q8_1PKvPK10block_q8_1RKiEEEvS2_S2_PT_iii.kd
    .uniform_work_group_size: 1
    .uses_dynamic_stack: false
    .vgpr_count:     34
    .vgpr_spill_count: 0
    .wavefront_size: 32
    .workgroup_processor_mode: 1
  - .args:
      - .actual_access:  read_only
        .address_space:  global
        .offset:         0
        .size:           8
        .value_kind:     global_buffer
      - .actual_access:  read_only
        .address_space:  global
        .offset:         8
        .size:           8
        .value_kind:     global_buffer
      - .actual_access:  write_only
        .address_space:  global
        .offset:         16
        .size:           8
        .value_kind:     global_buffer
      - .offset:         24
        .size:           4
        .value_kind:     by_value
      - .offset:         28
        .size:           4
        .value_kind:     by_value
      - .offset:         32
        .size:           4
        .value_kind:     by_value
      - .offset:         40
        .size:           4
        .value_kind:     hidden_block_count_x
      - .offset:         44
        .size:           4
        .value_kind:     hidden_block_count_y
      - .offset:         48
        .size:           4
        .value_kind:     hidden_block_count_z
      - .offset:         52
        .size:           2
        .value_kind:     hidden_group_size_x
      - .offset:         54
        .size:           2
        .value_kind:     hidden_group_size_y
      - .offset:         56
        .size:           2
        .value_kind:     hidden_group_size_z
      - .offset:         58
        .size:           2
        .value_kind:     hidden_remainder_x
      - .offset:         60
        .size:           2
        .value_kind:     hidden_remainder_y
      - .offset:         62
        .size:           2
        .value_kind:     hidden_remainder_z
      - .offset:         80
        .size:           8
        .value_kind:     hidden_global_offset_x
      - .offset:         88
        .size:           8
        .value_kind:     hidden_global_offset_y
      - .offset:         96
        .size:           8
        .value_kind:     hidden_global_offset_z
      - .offset:         104
        .size:           2
        .value_kind:     hidden_grid_dims
    .group_segment_fixed_size: 0
    .kernarg_segment_align: 8
    .kernarg_segment_size: 296
    .language:       OpenCL C
    .language_version:
      - 2
      - 0
    .max_flat_workgroup_size: 1024
    .name:           _ZL13mul_mat_vec_qIfLi32ELi8E10block_q8_0Li2EXadL_ZL17vec_dot_q8_0_q8_1PKvPK10block_q8_1RKiEEEvS2_S2_PT_iii
    .private_segment_fixed_size: 0
    .sgpr_count:     15
    .sgpr_spill_count: 0
    .symbol:         _ZL13mul_mat_vec_qIfLi32ELi8E10block_q8_0Li2EXadL_ZL17vec_dot_q8_0_q8_1PKvPK10block_q8_1RKiEEEvS2_S2_PT_iii.kd
    .uniform_work_group_size: 1
    .uses_dynamic_stack: false
    .vgpr_count:     14
    .vgpr_spill_count: 0
    .wavefront_size: 32
    .workgroup_processor_mode: 1
  - .args:
      - .actual_access:  read_only
        .address_space:  global
        .offset:         0
        .size:           8
        .value_kind:     global_buffer
      - .actual_access:  read_only
        .address_space:  global
        .offset:         8
        .size:           8
        .value_kind:     global_buffer
      - .actual_access:  write_only
        .address_space:  global
        .offset:         16
        .size:           8
        .value_kind:     global_buffer
      - .offset:         24
        .size:           4
        .value_kind:     by_value
      - .offset:         28
        .size:           4
        .value_kind:     by_value
      - .offset:         32
        .size:           4
        .value_kind:     by_value
      - .offset:         40
        .size:           4
        .value_kind:     hidden_block_count_x
      - .offset:         44
        .size:           4
        .value_kind:     hidden_block_count_y
      - .offset:         48
        .size:           4
        .value_kind:     hidden_block_count_z
      - .offset:         52
        .size:           2
        .value_kind:     hidden_group_size_x
      - .offset:         54
        .size:           2
        .value_kind:     hidden_group_size_y
      - .offset:         56
        .size:           2
        .value_kind:     hidden_group_size_z
      - .offset:         58
        .size:           2
        .value_kind:     hidden_remainder_x
      - .offset:         60
        .size:           2
        .value_kind:     hidden_remainder_y
      - .offset:         62
        .size:           2
        .value_kind:     hidden_remainder_z
      - .offset:         80
        .size:           8
        .value_kind:     hidden_global_offset_x
      - .offset:         88
        .size:           8
        .value_kind:     hidden_global_offset_y
      - .offset:         96
        .size:           8
        .value_kind:     hidden_global_offset_z
      - .offset:         104
        .size:           2
        .value_kind:     hidden_grid_dims
    .group_segment_fixed_size: 0
    .kernarg_segment_align: 8
    .kernarg_segment_size: 296
    .language:       OpenCL C
    .language_version:
      - 2
      - 0
    .max_flat_workgroup_size: 1024
    .name:           _ZL13mul_mat_vec_qIfLi256ELi16E10block_q2_KLi1EXadL_ZL17vec_dot_q2_K_q8_1PKvPK10block_q8_1RKiEEEvS2_S2_PT_iii
    .private_segment_fixed_size: 0
    .sgpr_count:     16
    .sgpr_spill_count: 0
    .symbol:         _ZL13mul_mat_vec_qIfLi256ELi16E10block_q2_KLi1EXadL_ZL17vec_dot_q2_K_q8_1PKvPK10block_q8_1RKiEEEvS2_S2_PT_iii.kd
    .uniform_work_group_size: 1
    .uses_dynamic_stack: false
    .vgpr_count:     42
    .vgpr_spill_count: 0
    .wavefront_size: 32
    .workgroup_processor_mode: 1
  - .args:
      - .actual_access:  read_only
        .address_space:  global
        .offset:         0
        .size:           8
        .value_kind:     global_buffer
      - .actual_access:  read_only
        .address_space:  global
        .offset:         8
        .size:           8
        .value_kind:     global_buffer
      - .actual_access:  write_only
        .address_space:  global
        .offset:         16
        .size:           8
        .value_kind:     global_buffer
      - .offset:         24
        .size:           4
        .value_kind:     by_value
      - .offset:         28
        .size:           4
        .value_kind:     by_value
      - .offset:         32
        .size:           4
        .value_kind:     by_value
      - .offset:         40
        .size:           4
        .value_kind:     hidden_block_count_x
      - .offset:         44
        .size:           4
        .value_kind:     hidden_block_count_y
      - .offset:         48
        .size:           4
        .value_kind:     hidden_block_count_z
      - .offset:         52
        .size:           2
        .value_kind:     hidden_group_size_x
      - .offset:         54
        .size:           2
        .value_kind:     hidden_group_size_y
      - .offset:         56
        .size:           2
        .value_kind:     hidden_group_size_z
      - .offset:         58
        .size:           2
        .value_kind:     hidden_remainder_x
      - .offset:         60
        .size:           2
        .value_kind:     hidden_remainder_y
      - .offset:         62
        .size:           2
        .value_kind:     hidden_remainder_z
      - .offset:         80
        .size:           8
        .value_kind:     hidden_global_offset_x
      - .offset:         88
        .size:           8
        .value_kind:     hidden_global_offset_y
      - .offset:         96
        .size:           8
        .value_kind:     hidden_global_offset_z
      - .offset:         104
        .size:           2
        .value_kind:     hidden_grid_dims
    .group_segment_fixed_size: 0
    .kernarg_segment_align: 8
    .kernarg_segment_size: 296
    .language:       OpenCL C
    .language_version:
      - 2
      - 0
    .max_flat_workgroup_size: 1024
    .name:           _ZL13mul_mat_vec_qIfLi256ELi16E10block_q3_KLi1EXadL_ZL17vec_dot_q3_K_q8_1PKvPK10block_q8_1RKiEEEvS2_S2_PT_iii
    .private_segment_fixed_size: 0
    .sgpr_count:     15
    .sgpr_spill_count: 0
    .symbol:         _ZL13mul_mat_vec_qIfLi256ELi16E10block_q3_KLi1EXadL_ZL17vec_dot_q3_K_q8_1PKvPK10block_q8_1RKiEEEvS2_S2_PT_iii.kd
    .uniform_work_group_size: 1
    .uses_dynamic_stack: false
    .vgpr_count:     58
    .vgpr_spill_count: 0
    .wavefront_size: 32
    .workgroup_processor_mode: 1
  - .args:
      - .actual_access:  read_only
        .address_space:  global
        .offset:         0
        .size:           8
        .value_kind:     global_buffer
      - .actual_access:  read_only
        .address_space:  global
        .offset:         8
        .size:           8
        .value_kind:     global_buffer
      - .actual_access:  write_only
        .address_space:  global
        .offset:         16
        .size:           8
        .value_kind:     global_buffer
      - .offset:         24
        .size:           4
        .value_kind:     by_value
      - .offset:         28
        .size:           4
        .value_kind:     by_value
      - .offset:         32
        .size:           4
        .value_kind:     by_value
      - .offset:         40
        .size:           4
        .value_kind:     hidden_block_count_x
      - .offset:         44
        .size:           4
        .value_kind:     hidden_block_count_y
      - .offset:         48
        .size:           4
        .value_kind:     hidden_block_count_z
      - .offset:         52
        .size:           2
        .value_kind:     hidden_group_size_x
      - .offset:         54
        .size:           2
        .value_kind:     hidden_group_size_y
      - .offset:         56
        .size:           2
        .value_kind:     hidden_group_size_z
      - .offset:         58
        .size:           2
        .value_kind:     hidden_remainder_x
      - .offset:         60
        .size:           2
        .value_kind:     hidden_remainder_y
      - .offset:         62
        .size:           2
        .value_kind:     hidden_remainder_z
      - .offset:         80
        .size:           8
        .value_kind:     hidden_global_offset_x
      - .offset:         88
        .size:           8
        .value_kind:     hidden_global_offset_y
      - .offset:         96
        .size:           8
        .value_kind:     hidden_global_offset_z
      - .offset:         104
        .size:           2
        .value_kind:     hidden_grid_dims
    .group_segment_fixed_size: 0
    .kernarg_segment_align: 8
    .kernarg_segment_size: 296
    .language:       OpenCL C
    .language_version:
      - 2
      - 0
    .max_flat_workgroup_size: 1024
    .name:           _ZL13mul_mat_vec_qIfLi256ELi32E10block_q4_KLi2EXadL_ZL17vec_dot_q4_K_q8_1PKvPK10block_q8_1RKiEEEvS2_S2_PT_iii
    .private_segment_fixed_size: 0
    .sgpr_count:     15
    .sgpr_spill_count: 0
    .symbol:         _ZL13mul_mat_vec_qIfLi256ELi32E10block_q4_KLi2EXadL_ZL17vec_dot_q4_K_q8_1PKvPK10block_q8_1RKiEEEvS2_S2_PT_iii.kd
    .uniform_work_group_size: 1
    .uses_dynamic_stack: false
    .vgpr_count:     32
    .vgpr_spill_count: 0
    .wavefront_size: 32
    .workgroup_processor_mode: 1
  - .args:
      - .actual_access:  read_only
        .address_space:  global
        .offset:         0
        .size:           8
        .value_kind:     global_buffer
      - .actual_access:  read_only
        .address_space:  global
        .offset:         8
        .size:           8
        .value_kind:     global_buffer
      - .actual_access:  write_only
        .address_space:  global
        .offset:         16
        .size:           8
        .value_kind:     global_buffer
      - .offset:         24
        .size:           4
        .value_kind:     by_value
      - .offset:         28
        .size:           4
        .value_kind:     by_value
      - .offset:         32
        .size:           4
        .value_kind:     by_value
      - .offset:         40
        .size:           4
        .value_kind:     hidden_block_count_x
      - .offset:         44
        .size:           4
        .value_kind:     hidden_block_count_y
      - .offset:         48
        .size:           4
        .value_kind:     hidden_block_count_z
      - .offset:         52
        .size:           2
        .value_kind:     hidden_group_size_x
      - .offset:         54
        .size:           2
        .value_kind:     hidden_group_size_y
      - .offset:         56
        .size:           2
        .value_kind:     hidden_group_size_z
      - .offset:         58
        .size:           2
        .value_kind:     hidden_remainder_x
      - .offset:         60
        .size:           2
        .value_kind:     hidden_remainder_y
      - .offset:         62
        .size:           2
        .value_kind:     hidden_remainder_z
      - .offset:         80
        .size:           8
        .value_kind:     hidden_global_offset_x
      - .offset:         88
        .size:           8
        .value_kind:     hidden_global_offset_y
      - .offset:         96
        .size:           8
        .value_kind:     hidden_global_offset_z
      - .offset:         104
        .size:           2
        .value_kind:     hidden_grid_dims
    .group_segment_fixed_size: 0
    .kernarg_segment_align: 8
    .kernarg_segment_size: 296
    .language:       OpenCL C
    .language_version:
      - 2
      - 0
    .max_flat_workgroup_size: 1024
    .name:           _ZL13mul_mat_vec_qIfLi256ELi32E10block_q5_KLi2EXadL_ZL17vec_dot_q5_K_q8_1PKvPK10block_q8_1RKiEEEvS2_S2_PT_iii
    .private_segment_fixed_size: 0
    .sgpr_count:     15
    .sgpr_spill_count: 0
    .symbol:         _ZL13mul_mat_vec_qIfLi256ELi32E10block_q5_KLi2EXadL_ZL17vec_dot_q5_K_q8_1PKvPK10block_q8_1RKiEEEvS2_S2_PT_iii.kd
    .uniform_work_group_size: 1
    .uses_dynamic_stack: false
    .vgpr_count:     37
    .vgpr_spill_count: 0
    .wavefront_size: 32
    .workgroup_processor_mode: 1
  - .args:
      - .actual_access:  read_only
        .address_space:  global
        .offset:         0
        .size:           8
        .value_kind:     global_buffer
      - .actual_access:  read_only
        .address_space:  global
        .offset:         8
        .size:           8
        .value_kind:     global_buffer
      - .actual_access:  write_only
        .address_space:  global
        .offset:         16
        .size:           8
        .value_kind:     global_buffer
      - .offset:         24
        .size:           4
        .value_kind:     by_value
      - .offset:         28
        .size:           4
        .value_kind:     by_value
      - .offset:         32
        .size:           4
        .value_kind:     by_value
      - .offset:         40
        .size:           4
        .value_kind:     hidden_block_count_x
      - .offset:         44
        .size:           4
        .value_kind:     hidden_block_count_y
      - .offset:         48
        .size:           4
        .value_kind:     hidden_block_count_z
      - .offset:         52
        .size:           2
        .value_kind:     hidden_group_size_x
      - .offset:         54
        .size:           2
        .value_kind:     hidden_group_size_y
      - .offset:         56
        .size:           2
        .value_kind:     hidden_group_size_z
      - .offset:         58
        .size:           2
        .value_kind:     hidden_remainder_x
      - .offset:         60
        .size:           2
        .value_kind:     hidden_remainder_y
      - .offset:         62
        .size:           2
        .value_kind:     hidden_remainder_z
      - .offset:         80
        .size:           8
        .value_kind:     hidden_global_offset_x
      - .offset:         88
        .size:           8
        .value_kind:     hidden_global_offset_y
      - .offset:         96
        .size:           8
        .value_kind:     hidden_global_offset_z
      - .offset:         104
        .size:           2
        .value_kind:     hidden_grid_dims
    .group_segment_fixed_size: 0
    .kernarg_segment_align: 8
    .kernarg_segment_size: 296
    .language:       OpenCL C
    .language_version:
      - 2
      - 0
    .max_flat_workgroup_size: 1024
    .name:           _ZL13mul_mat_vec_qIfLi256ELi32E10block_q6_KLi1EXadL_ZL17vec_dot_q6_K_q8_1PKvPK10block_q8_1RKiEEEvS2_S2_PT_iii
    .private_segment_fixed_size: 0
    .sgpr_count:     15
    .sgpr_spill_count: 0
    .symbol:         _ZL13mul_mat_vec_qIfLi256ELi32E10block_q6_KLi1EXadL_ZL17vec_dot_q6_K_q8_1PKvPK10block_q8_1RKiEEEvS2_S2_PT_iii.kd
    .uniform_work_group_size: 1
    .uses_dynamic_stack: false
    .vgpr_count:     28
    .vgpr_spill_count: 0
    .wavefront_size: 32
    .workgroup_processor_mode: 1
  - .args:
      - .actual_access:  read_only
        .address_space:  global
        .offset:         0
        .size:           8
        .value_kind:     global_buffer
      - .actual_access:  read_only
        .address_space:  global
        .offset:         8
        .size:           8
        .value_kind:     global_buffer
      - .actual_access:  write_only
        .address_space:  global
        .offset:         16
        .size:           8
        .value_kind:     global_buffer
      - .offset:         24
        .size:           4
        .value_kind:     by_value
      - .offset:         28
        .size:           4
        .value_kind:     by_value
      - .offset:         32
        .size:           4
        .value_kind:     by_value
      - .offset:         40
        .size:           4
        .value_kind:     hidden_block_count_x
      - .offset:         44
        .size:           4
        .value_kind:     hidden_block_count_y
      - .offset:         48
        .size:           4
        .value_kind:     hidden_block_count_z
      - .offset:         52
        .size:           2
        .value_kind:     hidden_group_size_x
      - .offset:         54
        .size:           2
        .value_kind:     hidden_group_size_y
      - .offset:         56
        .size:           2
        .value_kind:     hidden_group_size_z
      - .offset:         58
        .size:           2
        .value_kind:     hidden_remainder_x
      - .offset:         60
        .size:           2
        .value_kind:     hidden_remainder_y
      - .offset:         62
        .size:           2
        .value_kind:     hidden_remainder_z
      - .offset:         80
        .size:           8
        .value_kind:     hidden_global_offset_x
      - .offset:         88
        .size:           8
        .value_kind:     hidden_global_offset_y
      - .offset:         96
        .size:           8
        .value_kind:     hidden_global_offset_z
      - .offset:         104
        .size:           2
        .value_kind:     hidden_grid_dims
    .group_segment_fixed_size: 0
    .kernarg_segment_align: 8
    .kernarg_segment_size: 296
    .language:       OpenCL C
    .language_version:
      - 2
      - 0
    .max_flat_workgroup_size: 1024
    .name:           _ZL13mul_mat_vec_qIfLi256ELi8E13block_iq2_xxsLi1EXadL_ZL20vec_dot_iq2_xxs_q8_1PKvPK10block_q8_1RKiEEEvS2_S2_PT_iii
    .private_segment_fixed_size: 0
    .sgpr_count:     20
    .sgpr_spill_count: 0
    .symbol:         _ZL13mul_mat_vec_qIfLi256ELi8E13block_iq2_xxsLi1EXadL_ZL20vec_dot_iq2_xxs_q8_1PKvPK10block_q8_1RKiEEEvS2_S2_PT_iii.kd
    .uniform_work_group_size: 1
    .uses_dynamic_stack: false
    .vgpr_count:     62
    .vgpr_spill_count: 0
    .wavefront_size: 32
    .workgroup_processor_mode: 1
  - .args:
      - .actual_access:  read_only
        .address_space:  global
        .offset:         0
        .size:           8
        .value_kind:     global_buffer
      - .actual_access:  read_only
        .address_space:  global
        .offset:         8
        .size:           8
        .value_kind:     global_buffer
      - .actual_access:  write_only
        .address_space:  global
        .offset:         16
        .size:           8
        .value_kind:     global_buffer
      - .offset:         24
        .size:           4
        .value_kind:     by_value
      - .offset:         28
        .size:           4
        .value_kind:     by_value
      - .offset:         32
        .size:           4
        .value_kind:     by_value
      - .offset:         40
        .size:           4
        .value_kind:     hidden_block_count_x
      - .offset:         44
        .size:           4
        .value_kind:     hidden_block_count_y
      - .offset:         48
        .size:           4
        .value_kind:     hidden_block_count_z
      - .offset:         52
        .size:           2
        .value_kind:     hidden_group_size_x
      - .offset:         54
        .size:           2
        .value_kind:     hidden_group_size_y
      - .offset:         56
        .size:           2
        .value_kind:     hidden_group_size_z
      - .offset:         58
        .size:           2
        .value_kind:     hidden_remainder_x
      - .offset:         60
        .size:           2
        .value_kind:     hidden_remainder_y
      - .offset:         62
        .size:           2
        .value_kind:     hidden_remainder_z
      - .offset:         80
        .size:           8
        .value_kind:     hidden_global_offset_x
      - .offset:         88
        .size:           8
        .value_kind:     hidden_global_offset_y
      - .offset:         96
        .size:           8
        .value_kind:     hidden_global_offset_z
      - .offset:         104
        .size:           2
        .value_kind:     hidden_grid_dims
    .group_segment_fixed_size: 0
    .kernarg_segment_align: 8
    .kernarg_segment_size: 296
    .language:       OpenCL C
    .language_version:
      - 2
      - 0
    .max_flat_workgroup_size: 1024
    .name:           _ZL13mul_mat_vec_qIfLi256ELi8E12block_iq2_xsLi1EXadL_ZL19vec_dot_iq2_xs_q8_1PKvPK10block_q8_1RKiEEEvS2_S2_PT_iii
    .private_segment_fixed_size: 0
    .sgpr_count:     15
    .sgpr_spill_count: 0
    .symbol:         _ZL13mul_mat_vec_qIfLi256ELi8E12block_iq2_xsLi1EXadL_ZL19vec_dot_iq2_xs_q8_1PKvPK10block_q8_1RKiEEEvS2_S2_PT_iii.kd
    .uniform_work_group_size: 1
    .uses_dynamic_stack: false
    .vgpr_count:     36
    .vgpr_spill_count: 0
    .wavefront_size: 32
    .workgroup_processor_mode: 1
  - .args:
      - .actual_access:  read_only
        .address_space:  global
        .offset:         0
        .size:           8
        .value_kind:     global_buffer
      - .actual_access:  read_only
        .address_space:  global
        .offset:         8
        .size:           8
        .value_kind:     global_buffer
      - .actual_access:  write_only
        .address_space:  global
        .offset:         16
        .size:           8
        .value_kind:     global_buffer
      - .offset:         24
        .size:           4
        .value_kind:     by_value
      - .offset:         28
        .size:           4
        .value_kind:     by_value
      - .offset:         32
        .size:           4
        .value_kind:     by_value
      - .offset:         40
        .size:           4
        .value_kind:     hidden_block_count_x
      - .offset:         44
        .size:           4
        .value_kind:     hidden_block_count_y
      - .offset:         48
        .size:           4
        .value_kind:     hidden_block_count_z
      - .offset:         52
        .size:           2
        .value_kind:     hidden_group_size_x
      - .offset:         54
        .size:           2
        .value_kind:     hidden_group_size_y
      - .offset:         56
        .size:           2
        .value_kind:     hidden_group_size_z
      - .offset:         58
        .size:           2
        .value_kind:     hidden_remainder_x
      - .offset:         60
        .size:           2
        .value_kind:     hidden_remainder_y
      - .offset:         62
        .size:           2
        .value_kind:     hidden_remainder_z
      - .offset:         80
        .size:           8
        .value_kind:     hidden_global_offset_x
      - .offset:         88
        .size:           8
        .value_kind:     hidden_global_offset_y
      - .offset:         96
        .size:           8
        .value_kind:     hidden_global_offset_z
      - .offset:         104
        .size:           2
        .value_kind:     hidden_grid_dims
    .group_segment_fixed_size: 0
    .kernarg_segment_align: 8
    .kernarg_segment_size: 296
    .language:       OpenCL C
    .language_version:
      - 2
      - 0
    .max_flat_workgroup_size: 1024
    .name:           _ZL13mul_mat_vec_qIfLi256ELi8E13block_iq3_xxsLi1EXadL_ZL20vec_dot_iq3_xxs_q8_1PKvPK10block_q8_1RKiEEEvS2_S2_PT_iii
    .private_segment_fixed_size: 0
    .sgpr_count:     15
    .sgpr_spill_count: 0
    .symbol:         _ZL13mul_mat_vec_qIfLi256ELi8E13block_iq3_xxsLi1EXadL_ZL20vec_dot_iq3_xxs_q8_1PKvPK10block_q8_1RKiEEEvS2_S2_PT_iii.kd
    .uniform_work_group_size: 1
    .uses_dynamic_stack: false
    .vgpr_count:     62
    .vgpr_spill_count: 0
    .wavefront_size: 32
    .workgroup_processor_mode: 1
  - .args:
      - .actual_access:  read_only
        .address_space:  global
        .offset:         0
        .size:           8
        .value_kind:     global_buffer
      - .actual_access:  read_only
        .address_space:  global
        .offset:         8
        .size:           8
        .value_kind:     global_buffer
      - .actual_access:  write_only
        .address_space:  global
        .offset:         16
        .size:           8
        .value_kind:     global_buffer
      - .offset:         24
        .size:           4
        .value_kind:     by_value
      - .offset:         28
        .size:           4
        .value_kind:     by_value
      - .offset:         32
        .size:           4
        .value_kind:     by_value
      - .offset:         40
        .size:           4
        .value_kind:     hidden_block_count_x
      - .offset:         44
        .size:           4
        .value_kind:     hidden_block_count_y
      - .offset:         48
        .size:           4
        .value_kind:     hidden_block_count_z
      - .offset:         52
        .size:           2
        .value_kind:     hidden_group_size_x
      - .offset:         54
        .size:           2
        .value_kind:     hidden_group_size_y
      - .offset:         56
        .size:           2
        .value_kind:     hidden_group_size_z
      - .offset:         58
        .size:           2
        .value_kind:     hidden_remainder_x
      - .offset:         60
        .size:           2
        .value_kind:     hidden_remainder_y
      - .offset:         62
        .size:           2
        .value_kind:     hidden_remainder_z
      - .offset:         80
        .size:           8
        .value_kind:     hidden_global_offset_x
      - .offset:         88
        .size:           8
        .value_kind:     hidden_global_offset_y
      - .offset:         96
        .size:           8
        .value_kind:     hidden_global_offset_z
      - .offset:         104
        .size:           2
        .value_kind:     hidden_grid_dims
    .group_segment_fixed_size: 0
    .kernarg_segment_align: 8
    .kernarg_segment_size: 296
    .language:       OpenCL C
    .language_version:
      - 2
      - 0
    .max_flat_workgroup_size: 1024
    .name:           _ZL13mul_mat_vec_qIfLi256ELi8E11block_iq1_sLi1EXadL_ZL18vec_dot_iq1_s_q8_1PKvPK10block_q8_1RKiEEEvS2_S2_PT_iii
    .private_segment_fixed_size: 0
    .sgpr_count:     15
    .sgpr_spill_count: 0
    .symbol:         _ZL13mul_mat_vec_qIfLi256ELi8E11block_iq1_sLi1EXadL_ZL18vec_dot_iq1_s_q8_1PKvPK10block_q8_1RKiEEEvS2_S2_PT_iii.kd
    .uniform_work_group_size: 1
    .uses_dynamic_stack: false
    .vgpr_count:     27
    .vgpr_spill_count: 0
    .wavefront_size: 32
    .workgroup_processor_mode: 1
  - .args:
      - .actual_access:  read_only
        .address_space:  global
        .offset:         0
        .size:           8
        .value_kind:     global_buffer
      - .actual_access:  read_only
        .address_space:  global
        .offset:         8
        .size:           8
        .value_kind:     global_buffer
      - .actual_access:  write_only
        .address_space:  global
        .offset:         16
        .size:           8
        .value_kind:     global_buffer
      - .offset:         24
        .size:           4
        .value_kind:     by_value
      - .offset:         28
        .size:           4
        .value_kind:     by_value
      - .offset:         32
        .size:           4
        .value_kind:     by_value
      - .offset:         40
        .size:           4
        .value_kind:     hidden_block_count_x
      - .offset:         44
        .size:           4
        .value_kind:     hidden_block_count_y
      - .offset:         48
        .size:           4
        .value_kind:     hidden_block_count_z
      - .offset:         52
        .size:           2
        .value_kind:     hidden_group_size_x
      - .offset:         54
        .size:           2
        .value_kind:     hidden_group_size_y
      - .offset:         56
        .size:           2
        .value_kind:     hidden_group_size_z
      - .offset:         58
        .size:           2
        .value_kind:     hidden_remainder_x
      - .offset:         60
        .size:           2
        .value_kind:     hidden_remainder_y
      - .offset:         62
        .size:           2
        .value_kind:     hidden_remainder_z
      - .offset:         80
        .size:           8
        .value_kind:     hidden_global_offset_x
      - .offset:         88
        .size:           8
        .value_kind:     hidden_global_offset_y
      - .offset:         96
        .size:           8
        .value_kind:     hidden_global_offset_z
      - .offset:         104
        .size:           2
        .value_kind:     hidden_grid_dims
    .group_segment_fixed_size: 0
    .kernarg_segment_align: 8
    .kernarg_segment_size: 296
    .language:       OpenCL C
    .language_version:
      - 2
      - 0
    .max_flat_workgroup_size: 1024
    .name:           _ZL13mul_mat_vec_qIfLi32ELi4E12block_iq4_nlLi2EXadL_ZL19vec_dot_iq4_nl_q8_1PKvPK10block_q8_1RKiEEEvS2_S2_PT_iii
    .private_segment_fixed_size: 0
    .sgpr_count:     18
    .sgpr_spill_count: 0
    .symbol:         _ZL13mul_mat_vec_qIfLi32ELi4E12block_iq4_nlLi2EXadL_ZL19vec_dot_iq4_nl_q8_1PKvPK10block_q8_1RKiEEEvS2_S2_PT_iii.kd
    .uniform_work_group_size: 1
    .uses_dynamic_stack: false
    .vgpr_count:     31
    .vgpr_spill_count: 0
    .wavefront_size: 32
    .workgroup_processor_mode: 1
  - .args:
      - .actual_access:  read_only
        .address_space:  global
        .offset:         0
        .size:           8
        .value_kind:     global_buffer
      - .actual_access:  read_only
        .address_space:  global
        .offset:         8
        .size:           8
        .value_kind:     global_buffer
      - .actual_access:  write_only
        .address_space:  global
        .offset:         16
        .size:           8
        .value_kind:     global_buffer
      - .offset:         24
        .size:           4
        .value_kind:     by_value
      - .offset:         28
        .size:           4
        .value_kind:     by_value
      - .offset:         32
        .size:           4
        .value_kind:     by_value
      - .offset:         40
        .size:           4
        .value_kind:     hidden_block_count_x
      - .offset:         44
        .size:           4
        .value_kind:     hidden_block_count_y
      - .offset:         48
        .size:           4
        .value_kind:     hidden_block_count_z
      - .offset:         52
        .size:           2
        .value_kind:     hidden_group_size_x
      - .offset:         54
        .size:           2
        .value_kind:     hidden_group_size_y
      - .offset:         56
        .size:           2
        .value_kind:     hidden_group_size_z
      - .offset:         58
        .size:           2
        .value_kind:     hidden_remainder_x
      - .offset:         60
        .size:           2
        .value_kind:     hidden_remainder_y
      - .offset:         62
        .size:           2
        .value_kind:     hidden_remainder_z
      - .offset:         80
        .size:           8
        .value_kind:     hidden_global_offset_x
      - .offset:         88
        .size:           8
        .value_kind:     hidden_global_offset_y
      - .offset:         96
        .size:           8
        .value_kind:     hidden_global_offset_z
      - .offset:         104
        .size:           2
        .value_kind:     hidden_grid_dims
    .group_segment_fixed_size: 0
    .kernarg_segment_align: 8
    .kernarg_segment_size: 296
    .language:       OpenCL C
    .language_version:
      - 2
      - 0
    .max_flat_workgroup_size: 1024
    .name:           _ZL13mul_mat_vec_qIfLi256ELi8E11block_iq3_sLi1EXadL_ZL18vec_dot_iq3_s_q8_1PKvPK10block_q8_1RKiEEEvS2_S2_PT_iii
    .private_segment_fixed_size: 0
    .sgpr_count:     16
    .sgpr_spill_count: 0
    .symbol:         _ZL13mul_mat_vec_qIfLi256ELi8E11block_iq3_sLi1EXadL_ZL18vec_dot_iq3_s_q8_1PKvPK10block_q8_1RKiEEEvS2_S2_PT_iii.kd
    .uniform_work_group_size: 1
    .uses_dynamic_stack: false
    .vgpr_count:     42
    .vgpr_spill_count: 0
    .wavefront_size: 32
    .workgroup_processor_mode: 1
  - .args:
      - .actual_access:  read_only
        .address_space:  global
        .offset:         0
        .size:           8
        .value_kind:     global_buffer
      - .actual_access:  read_only
        .address_space:  global
        .offset:         8
        .size:           8
        .value_kind:     global_buffer
      - .actual_access:  write_only
        .address_space:  global
        .offset:         16
        .size:           8
        .value_kind:     global_buffer
      - .offset:         24
        .size:           4
        .value_kind:     by_value
      - .offset:         28
        .size:           4
        .value_kind:     by_value
      - .offset:         32
        .size:           4
        .value_kind:     by_value
      - .offset:         40
        .size:           4
        .value_kind:     hidden_block_count_x
      - .offset:         44
        .size:           4
        .value_kind:     hidden_block_count_y
      - .offset:         48
        .size:           4
        .value_kind:     hidden_block_count_z
      - .offset:         52
        .size:           2
        .value_kind:     hidden_group_size_x
      - .offset:         54
        .size:           2
        .value_kind:     hidden_group_size_y
      - .offset:         56
        .size:           2
        .value_kind:     hidden_group_size_z
      - .offset:         58
        .size:           2
        .value_kind:     hidden_remainder_x
      - .offset:         60
        .size:           2
        .value_kind:     hidden_remainder_y
      - .offset:         62
        .size:           2
        .value_kind:     hidden_remainder_z
      - .offset:         80
        .size:           8
        .value_kind:     hidden_global_offset_x
      - .offset:         88
        .size:           8
        .value_kind:     hidden_global_offset_y
      - .offset:         96
        .size:           8
        .value_kind:     hidden_global_offset_z
      - .offset:         104
        .size:           2
        .value_kind:     hidden_grid_dims
    .group_segment_fixed_size: 0
    .kernarg_segment_align: 8
    .kernarg_segment_size: 296
    .language:       OpenCL C
    .language_version:
      - 2
      - 0
    .max_flat_workgroup_size: 1024
    .name:           _ZL13mul_mat_vec_qIfLi256ELi8E11block_iq2_sLi1EXadL_ZL18vec_dot_iq2_s_q8_1PKvPK10block_q8_1RKiEEEvS2_S2_PT_iii
    .private_segment_fixed_size: 0
    .sgpr_count:     15
    .sgpr_spill_count: 0
    .symbol:         _ZL13mul_mat_vec_qIfLi256ELi8E11block_iq2_sLi1EXadL_ZL18vec_dot_iq2_s_q8_1PKvPK10block_q8_1RKiEEEvS2_S2_PT_iii.kd
    .uniform_work_group_size: 1
    .uses_dynamic_stack: false
    .vgpr_count:     64
    .vgpr_spill_count: 0
    .wavefront_size: 32
    .workgroup_processor_mode: 1
  - .args:
      - .actual_access:  read_only
        .address_space:  global
        .offset:         0
        .size:           8
        .value_kind:     global_buffer
      - .actual_access:  read_only
        .address_space:  global
        .offset:         8
        .size:           8
        .value_kind:     global_buffer
      - .actual_access:  write_only
        .address_space:  global
        .offset:         16
        .size:           8
        .value_kind:     global_buffer
      - .offset:         24
        .size:           4
        .value_kind:     by_value
      - .offset:         28
        .size:           4
        .value_kind:     by_value
      - .offset:         32
        .size:           4
        .value_kind:     by_value
      - .offset:         40
        .size:           4
        .value_kind:     hidden_block_count_x
      - .offset:         44
        .size:           4
        .value_kind:     hidden_block_count_y
      - .offset:         48
        .size:           4
        .value_kind:     hidden_block_count_z
      - .offset:         52
        .size:           2
        .value_kind:     hidden_group_size_x
      - .offset:         54
        .size:           2
        .value_kind:     hidden_group_size_y
      - .offset:         56
        .size:           2
        .value_kind:     hidden_group_size_z
      - .offset:         58
        .size:           2
        .value_kind:     hidden_remainder_x
      - .offset:         60
        .size:           2
        .value_kind:     hidden_remainder_y
      - .offset:         62
        .size:           2
        .value_kind:     hidden_remainder_z
      - .offset:         80
        .size:           8
        .value_kind:     hidden_global_offset_x
      - .offset:         88
        .size:           8
        .value_kind:     hidden_global_offset_y
      - .offset:         96
        .size:           8
        .value_kind:     hidden_global_offset_z
      - .offset:         104
        .size:           2
        .value_kind:     hidden_grid_dims
    .group_segment_fixed_size: 0
    .kernarg_segment_align: 8
    .kernarg_segment_size: 296
    .language:       OpenCL C
    .language_version:
      - 2
      - 0
    .max_flat_workgroup_size: 1024
    .name:           _ZL13mul_mat_vec_qIfLi256ELi8E12block_iq4_xsLi1EXadL_ZL19vec_dot_iq4_xs_q8_1PKvPK10block_q8_1RKiEEEvS2_S2_PT_iii
    .private_segment_fixed_size: 0
    .sgpr_count:     15
    .sgpr_spill_count: 0
    .symbol:         _ZL13mul_mat_vec_qIfLi256ELi8E12block_iq4_xsLi1EXadL_ZL19vec_dot_iq4_xs_q8_1PKvPK10block_q8_1RKiEEEvS2_S2_PT_iii.kd
    .uniform_work_group_size: 1
    .uses_dynamic_stack: false
    .vgpr_count:     58
    .vgpr_spill_count: 0
    .wavefront_size: 32
    .workgroup_processor_mode: 1
  - .args:
      - .actual_access:  read_only
        .address_space:  global
        .offset:         0
        .size:           8
        .value_kind:     global_buffer
      - .actual_access:  read_only
        .address_space:  global
        .offset:         8
        .size:           8
        .value_kind:     global_buffer
      - .actual_access:  write_only
        .address_space:  global
        .offset:         16
        .size:           8
        .value_kind:     global_buffer
      - .offset:         24
        .size:           4
        .value_kind:     by_value
      - .offset:         28
        .size:           4
        .value_kind:     by_value
      - .offset:         32
        .size:           4
        .value_kind:     by_value
      - .offset:         40
        .size:           4
        .value_kind:     hidden_block_count_x
      - .offset:         44
        .size:           4
        .value_kind:     hidden_block_count_y
      - .offset:         48
        .size:           4
        .value_kind:     hidden_block_count_z
      - .offset:         52
        .size:           2
        .value_kind:     hidden_group_size_x
      - .offset:         54
        .size:           2
        .value_kind:     hidden_group_size_y
      - .offset:         56
        .size:           2
        .value_kind:     hidden_group_size_z
      - .offset:         58
        .size:           2
        .value_kind:     hidden_remainder_x
      - .offset:         60
        .size:           2
        .value_kind:     hidden_remainder_y
      - .offset:         62
        .size:           2
        .value_kind:     hidden_remainder_z
      - .offset:         80
        .size:           8
        .value_kind:     hidden_global_offset_x
      - .offset:         88
        .size:           8
        .value_kind:     hidden_global_offset_y
      - .offset:         96
        .size:           8
        .value_kind:     hidden_global_offset_z
      - .offset:         104
        .size:           2
        .value_kind:     hidden_grid_dims
    .group_segment_fixed_size: 0
    .kernarg_segment_align: 8
    .kernarg_segment_size: 296
    .language:       OpenCL C
    .language_version:
      - 2
      - 0
    .max_flat_workgroup_size: 1024
    .name:           _ZL13mul_mat_vec_qIfLi256ELi8E11block_iq1_mLi1EXadL_ZL18vec_dot_iq1_m_q8_1PKvPK10block_q8_1RKiEEEvS2_S2_PT_iii
    .private_segment_fixed_size: 0
    .sgpr_count:     15
    .sgpr_spill_count: 0
    .symbol:         _ZL13mul_mat_vec_qIfLi256ELi8E11block_iq1_mLi1EXadL_ZL18vec_dot_iq1_m_q8_1PKvPK10block_q8_1RKiEEEvS2_S2_PT_iii.kd
    .uniform_work_group_size: 1
    .uses_dynamic_stack: false
    .vgpr_count:     43
    .vgpr_spill_count: 0
    .wavefront_size: 32
    .workgroup_processor_mode: 1
  - .args:
      - .actual_access:  read_only
        .address_space:  global
        .offset:         0
        .size:           8
        .value_kind:     global_buffer
      - .actual_access:  write_only
        .address_space:  global
        .offset:         8
        .size:           8
        .value_kind:     global_buffer
      - .offset:         16
        .size:           4
        .value_kind:     by_value
      - .offset:         20
        .size:           4
        .value_kind:     by_value
      - .offset:         24
        .size:           4
        .value_kind:     hidden_block_count_x
      - .offset:         28
        .size:           4
        .value_kind:     hidden_block_count_y
      - .offset:         32
        .size:           4
        .value_kind:     hidden_block_count_z
      - .offset:         36
        .size:           2
        .value_kind:     hidden_group_size_x
      - .offset:         38
        .size:           2
        .value_kind:     hidden_group_size_y
      - .offset:         40
        .size:           2
        .value_kind:     hidden_group_size_z
      - .offset:         42
        .size:           2
        .value_kind:     hidden_remainder_x
      - .offset:         44
        .size:           2
        .value_kind:     hidden_remainder_y
      - .offset:         46
        .size:           2
        .value_kind:     hidden_remainder_z
      - .offset:         64
        .size:           8
        .value_kind:     hidden_global_offset_x
      - .offset:         72
        .size:           8
        .value_kind:     hidden_global_offset_y
      - .offset:         80
        .size:           8
        .value_kind:     hidden_global_offset_z
      - .offset:         88
        .size:           2
        .value_kind:     hidden_grid_dims
    .group_segment_fixed_size: 0
    .kernarg_segment_align: 8
    .kernarg_segment_size: 280
    .language:       OpenCL C
    .language_version:
      - 2
      - 0
    .max_flat_workgroup_size: 1024
    .name:           _ZL13quantize_q8_1IN3c104HalfEEvPKT_Pvii
    .private_segment_fixed_size: 0
    .sgpr_count:     11
    .sgpr_spill_count: 0
    .symbol:         _ZL13quantize_q8_1IN3c104HalfEEvPKT_Pvii.kd
    .uniform_work_group_size: 1
    .uses_dynamic_stack: false
    .vgpr_count:     13
    .vgpr_spill_count: 0
    .wavefront_size: 32
    .workgroup_processor_mode: 1
  - .args:
      - .actual_access:  read_only
        .address_space:  global
        .offset:         0
        .size:           8
        .value_kind:     global_buffer
      - .actual_access:  read_only
        .address_space:  global
        .offset:         8
        .size:           8
        .value_kind:     global_buffer
      - .actual_access:  write_only
        .address_space:  global
        .offset:         16
        .size:           8
        .value_kind:     global_buffer
      - .offset:         24
        .size:           4
        .value_kind:     by_value
      - .offset:         28
        .size:           4
        .value_kind:     by_value
      - .offset:         32
        .size:           4
        .value_kind:     by_value
      - .offset:         40
        .size:           4
        .value_kind:     hidden_block_count_x
      - .offset:         44
        .size:           4
        .value_kind:     hidden_block_count_y
      - .offset:         48
        .size:           4
        .value_kind:     hidden_block_count_z
      - .offset:         52
        .size:           2
        .value_kind:     hidden_group_size_x
      - .offset:         54
        .size:           2
        .value_kind:     hidden_group_size_y
      - .offset:         56
        .size:           2
        .value_kind:     hidden_group_size_z
      - .offset:         58
        .size:           2
        .value_kind:     hidden_remainder_x
      - .offset:         60
        .size:           2
        .value_kind:     hidden_remainder_y
      - .offset:         62
        .size:           2
        .value_kind:     hidden_remainder_z
      - .offset:         80
        .size:           8
        .value_kind:     hidden_global_offset_x
      - .offset:         88
        .size:           8
        .value_kind:     hidden_global_offset_y
      - .offset:         96
        .size:           8
        .value_kind:     hidden_global_offset_z
      - .offset:         104
        .size:           2
        .value_kind:     hidden_grid_dims
    .group_segment_fixed_size: 0
    .kernarg_segment_align: 8
    .kernarg_segment_size: 296
    .language:       OpenCL C
    .language_version:
      - 2
      - 0
    .max_flat_workgroup_size: 1024
    .name:           _ZL13mul_mat_vec_qIN3c104HalfELi32ELi4E10block_q4_0Li2EXadL_ZL17vec_dot_q4_0_q8_1PKvPK10block_q8_1RKiEEEvS4_S4_PT_iii
    .private_segment_fixed_size: 0
    .sgpr_count:     15
    .sgpr_spill_count: 0
    .symbol:         _ZL13mul_mat_vec_qIN3c104HalfELi32ELi4E10block_q4_0Li2EXadL_ZL17vec_dot_q4_0_q8_1PKvPK10block_q8_1RKiEEEvS4_S4_PT_iii.kd
    .uniform_work_group_size: 1
    .uses_dynamic_stack: false
    .vgpr_count:     16
    .vgpr_spill_count: 0
    .wavefront_size: 32
    .workgroup_processor_mode: 1
  - .args:
      - .actual_access:  read_only
        .address_space:  global
        .offset:         0
        .size:           8
        .value_kind:     global_buffer
      - .actual_access:  read_only
        .address_space:  global
        .offset:         8
        .size:           8
        .value_kind:     global_buffer
      - .actual_access:  write_only
        .address_space:  global
        .offset:         16
        .size:           8
        .value_kind:     global_buffer
      - .offset:         24
        .size:           4
        .value_kind:     by_value
      - .offset:         28
        .size:           4
        .value_kind:     by_value
      - .offset:         32
        .size:           4
        .value_kind:     by_value
      - .offset:         40
        .size:           4
        .value_kind:     hidden_block_count_x
      - .offset:         44
        .size:           4
        .value_kind:     hidden_block_count_y
      - .offset:         48
        .size:           4
        .value_kind:     hidden_block_count_z
      - .offset:         52
        .size:           2
        .value_kind:     hidden_group_size_x
      - .offset:         54
        .size:           2
        .value_kind:     hidden_group_size_y
      - .offset:         56
        .size:           2
        .value_kind:     hidden_group_size_z
      - .offset:         58
        .size:           2
        .value_kind:     hidden_remainder_x
      - .offset:         60
        .size:           2
        .value_kind:     hidden_remainder_y
      - .offset:         62
        .size:           2
        .value_kind:     hidden_remainder_z
      - .offset:         80
        .size:           8
        .value_kind:     hidden_global_offset_x
      - .offset:         88
        .size:           8
        .value_kind:     hidden_global_offset_y
      - .offset:         96
        .size:           8
        .value_kind:     hidden_global_offset_z
      - .offset:         104
        .size:           2
        .value_kind:     hidden_grid_dims
    .group_segment_fixed_size: 0
    .kernarg_segment_align: 8
    .kernarg_segment_size: 296
    .language:       OpenCL C
    .language_version:
      - 2
      - 0
    .max_flat_workgroup_size: 1024
    .name:           _ZL13mul_mat_vec_qIN3c104HalfELi32ELi4E10block_q4_1Li2EXadL_ZL17vec_dot_q4_1_q8_1PKvPK10block_q8_1RKiEEEvS4_S4_PT_iii
    .private_segment_fixed_size: 0
    .sgpr_count:     15
    .sgpr_spill_count: 0
    .symbol:         _ZL13mul_mat_vec_qIN3c104HalfELi32ELi4E10block_q4_1Li2EXadL_ZL17vec_dot_q4_1_q8_1PKvPK10block_q8_1RKiEEEvS4_S4_PT_iii.kd
    .uniform_work_group_size: 1
    .uses_dynamic_stack: false
    .vgpr_count:     16
    .vgpr_spill_count: 0
    .wavefront_size: 32
    .workgroup_processor_mode: 1
  - .args:
      - .actual_access:  read_only
        .address_space:  global
        .offset:         0
        .size:           8
        .value_kind:     global_buffer
      - .actual_access:  read_only
        .address_space:  global
        .offset:         8
        .size:           8
        .value_kind:     global_buffer
      - .actual_access:  write_only
        .address_space:  global
        .offset:         16
        .size:           8
        .value_kind:     global_buffer
      - .offset:         24
        .size:           4
        .value_kind:     by_value
      - .offset:         28
        .size:           4
        .value_kind:     by_value
      - .offset:         32
        .size:           4
        .value_kind:     by_value
      - .offset:         40
        .size:           4
        .value_kind:     hidden_block_count_x
      - .offset:         44
        .size:           4
        .value_kind:     hidden_block_count_y
      - .offset:         48
        .size:           4
        .value_kind:     hidden_block_count_z
      - .offset:         52
        .size:           2
        .value_kind:     hidden_group_size_x
      - .offset:         54
        .size:           2
        .value_kind:     hidden_group_size_y
      - .offset:         56
        .size:           2
        .value_kind:     hidden_group_size_z
      - .offset:         58
        .size:           2
        .value_kind:     hidden_remainder_x
      - .offset:         60
        .size:           2
        .value_kind:     hidden_remainder_y
      - .offset:         62
        .size:           2
        .value_kind:     hidden_remainder_z
      - .offset:         80
        .size:           8
        .value_kind:     hidden_global_offset_x
      - .offset:         88
        .size:           8
        .value_kind:     hidden_global_offset_y
      - .offset:         96
        .size:           8
        .value_kind:     hidden_global_offset_z
      - .offset:         104
        .size:           2
        .value_kind:     hidden_grid_dims
    .group_segment_fixed_size: 0
    .kernarg_segment_align: 8
    .kernarg_segment_size: 296
    .language:       OpenCL C
    .language_version:
      - 2
      - 0
    .max_flat_workgroup_size: 1024
    .name:           _ZL13mul_mat_vec_qIN3c104HalfELi32ELi4E10block_q5_0Li2EXadL_ZL17vec_dot_q5_0_q8_1PKvPK10block_q8_1RKiEEEvS4_S4_PT_iii
    .private_segment_fixed_size: 0
    .sgpr_count:     15
    .sgpr_spill_count: 0
    .symbol:         _ZL13mul_mat_vec_qIN3c104HalfELi32ELi4E10block_q5_0Li2EXadL_ZL17vec_dot_q5_0_q8_1PKvPK10block_q8_1RKiEEEvS4_S4_PT_iii.kd
    .uniform_work_group_size: 1
    .uses_dynamic_stack: false
    .vgpr_count:     34
    .vgpr_spill_count: 0
    .wavefront_size: 32
    .workgroup_processor_mode: 1
  - .args:
      - .actual_access:  read_only
        .address_space:  global
        .offset:         0
        .size:           8
        .value_kind:     global_buffer
      - .actual_access:  read_only
        .address_space:  global
        .offset:         8
        .size:           8
        .value_kind:     global_buffer
      - .actual_access:  write_only
        .address_space:  global
        .offset:         16
        .size:           8
        .value_kind:     global_buffer
      - .offset:         24
        .size:           4
        .value_kind:     by_value
      - .offset:         28
        .size:           4
        .value_kind:     by_value
      - .offset:         32
        .size:           4
        .value_kind:     by_value
      - .offset:         40
        .size:           4
        .value_kind:     hidden_block_count_x
      - .offset:         44
        .size:           4
        .value_kind:     hidden_block_count_y
      - .offset:         48
        .size:           4
        .value_kind:     hidden_block_count_z
      - .offset:         52
        .size:           2
        .value_kind:     hidden_group_size_x
      - .offset:         54
        .size:           2
        .value_kind:     hidden_group_size_y
      - .offset:         56
        .size:           2
        .value_kind:     hidden_group_size_z
      - .offset:         58
        .size:           2
        .value_kind:     hidden_remainder_x
      - .offset:         60
        .size:           2
        .value_kind:     hidden_remainder_y
      - .offset:         62
        .size:           2
        .value_kind:     hidden_remainder_z
      - .offset:         80
        .size:           8
        .value_kind:     hidden_global_offset_x
      - .offset:         88
        .size:           8
        .value_kind:     hidden_global_offset_y
      - .offset:         96
        .size:           8
        .value_kind:     hidden_global_offset_z
      - .offset:         104
        .size:           2
        .value_kind:     hidden_grid_dims
    .group_segment_fixed_size: 0
    .kernarg_segment_align: 8
    .kernarg_segment_size: 296
    .language:       OpenCL C
    .language_version:
      - 2
      - 0
    .max_flat_workgroup_size: 1024
    .name:           _ZL13mul_mat_vec_qIN3c104HalfELi32ELi4E10block_q5_1Li2EXadL_ZL17vec_dot_q5_1_q8_1PKvPK10block_q8_1RKiEEEvS4_S4_PT_iii
    .private_segment_fixed_size: 0
    .sgpr_count:     15
    .sgpr_spill_count: 0
    .symbol:         _ZL13mul_mat_vec_qIN3c104HalfELi32ELi4E10block_q5_1Li2EXadL_ZL17vec_dot_q5_1_q8_1PKvPK10block_q8_1RKiEEEvS4_S4_PT_iii.kd
    .uniform_work_group_size: 1
    .uses_dynamic_stack: false
    .vgpr_count:     34
    .vgpr_spill_count: 0
    .wavefront_size: 32
    .workgroup_processor_mode: 1
  - .args:
      - .actual_access:  read_only
        .address_space:  global
        .offset:         0
        .size:           8
        .value_kind:     global_buffer
      - .actual_access:  read_only
        .address_space:  global
        .offset:         8
        .size:           8
        .value_kind:     global_buffer
      - .actual_access:  write_only
        .address_space:  global
        .offset:         16
        .size:           8
        .value_kind:     global_buffer
      - .offset:         24
        .size:           4
        .value_kind:     by_value
      - .offset:         28
        .size:           4
        .value_kind:     by_value
      - .offset:         32
        .size:           4
        .value_kind:     by_value
      - .offset:         40
        .size:           4
        .value_kind:     hidden_block_count_x
      - .offset:         44
        .size:           4
        .value_kind:     hidden_block_count_y
      - .offset:         48
        .size:           4
        .value_kind:     hidden_block_count_z
      - .offset:         52
        .size:           2
        .value_kind:     hidden_group_size_x
      - .offset:         54
        .size:           2
        .value_kind:     hidden_group_size_y
      - .offset:         56
        .size:           2
        .value_kind:     hidden_group_size_z
      - .offset:         58
        .size:           2
        .value_kind:     hidden_remainder_x
      - .offset:         60
        .size:           2
        .value_kind:     hidden_remainder_y
      - .offset:         62
        .size:           2
        .value_kind:     hidden_remainder_z
      - .offset:         80
        .size:           8
        .value_kind:     hidden_global_offset_x
      - .offset:         88
        .size:           8
        .value_kind:     hidden_global_offset_y
      - .offset:         96
        .size:           8
        .value_kind:     hidden_global_offset_z
      - .offset:         104
        .size:           2
        .value_kind:     hidden_grid_dims
    .group_segment_fixed_size: 0
    .kernarg_segment_align: 8
    .kernarg_segment_size: 296
    .language:       OpenCL C
    .language_version:
      - 2
      - 0
    .max_flat_workgroup_size: 1024
    .name:           _ZL13mul_mat_vec_qIN3c104HalfELi32ELi8E10block_q8_0Li2EXadL_ZL17vec_dot_q8_0_q8_1PKvPK10block_q8_1RKiEEEvS4_S4_PT_iii
    .private_segment_fixed_size: 0
    .sgpr_count:     15
    .sgpr_spill_count: 0
    .symbol:         _ZL13mul_mat_vec_qIN3c104HalfELi32ELi8E10block_q8_0Li2EXadL_ZL17vec_dot_q8_0_q8_1PKvPK10block_q8_1RKiEEEvS4_S4_PT_iii.kd
    .uniform_work_group_size: 1
    .uses_dynamic_stack: false
    .vgpr_count:     14
    .vgpr_spill_count: 0
    .wavefront_size: 32
    .workgroup_processor_mode: 1
  - .args:
      - .actual_access:  read_only
        .address_space:  global
        .offset:         0
        .size:           8
        .value_kind:     global_buffer
      - .actual_access:  read_only
        .address_space:  global
        .offset:         8
        .size:           8
        .value_kind:     global_buffer
      - .actual_access:  write_only
        .address_space:  global
        .offset:         16
        .size:           8
        .value_kind:     global_buffer
      - .offset:         24
        .size:           4
        .value_kind:     by_value
      - .offset:         28
        .size:           4
        .value_kind:     by_value
      - .offset:         32
        .size:           4
        .value_kind:     by_value
      - .offset:         40
        .size:           4
        .value_kind:     hidden_block_count_x
      - .offset:         44
        .size:           4
        .value_kind:     hidden_block_count_y
      - .offset:         48
        .size:           4
        .value_kind:     hidden_block_count_z
      - .offset:         52
        .size:           2
        .value_kind:     hidden_group_size_x
      - .offset:         54
        .size:           2
        .value_kind:     hidden_group_size_y
      - .offset:         56
        .size:           2
        .value_kind:     hidden_group_size_z
      - .offset:         58
        .size:           2
        .value_kind:     hidden_remainder_x
      - .offset:         60
        .size:           2
        .value_kind:     hidden_remainder_y
      - .offset:         62
        .size:           2
        .value_kind:     hidden_remainder_z
      - .offset:         80
        .size:           8
        .value_kind:     hidden_global_offset_x
      - .offset:         88
        .size:           8
        .value_kind:     hidden_global_offset_y
      - .offset:         96
        .size:           8
        .value_kind:     hidden_global_offset_z
      - .offset:         104
        .size:           2
        .value_kind:     hidden_grid_dims
    .group_segment_fixed_size: 0
    .kernarg_segment_align: 8
    .kernarg_segment_size: 296
    .language:       OpenCL C
    .language_version:
      - 2
      - 0
    .max_flat_workgroup_size: 1024
    .name:           _ZL13mul_mat_vec_qIN3c104HalfELi256ELi16E10block_q2_KLi1EXadL_ZL17vec_dot_q2_K_q8_1PKvPK10block_q8_1RKiEEEvS4_S4_PT_iii
    .private_segment_fixed_size: 0
    .sgpr_count:     16
    .sgpr_spill_count: 0
    .symbol:         _ZL13mul_mat_vec_qIN3c104HalfELi256ELi16E10block_q2_KLi1EXadL_ZL17vec_dot_q2_K_q8_1PKvPK10block_q8_1RKiEEEvS4_S4_PT_iii.kd
    .uniform_work_group_size: 1
    .uses_dynamic_stack: false
    .vgpr_count:     42
    .vgpr_spill_count: 0
    .wavefront_size: 32
    .workgroup_processor_mode: 1
  - .args:
      - .actual_access:  read_only
        .address_space:  global
        .offset:         0
        .size:           8
        .value_kind:     global_buffer
      - .actual_access:  read_only
        .address_space:  global
        .offset:         8
        .size:           8
        .value_kind:     global_buffer
      - .actual_access:  write_only
        .address_space:  global
        .offset:         16
        .size:           8
        .value_kind:     global_buffer
      - .offset:         24
        .size:           4
        .value_kind:     by_value
      - .offset:         28
        .size:           4
        .value_kind:     by_value
      - .offset:         32
        .size:           4
        .value_kind:     by_value
      - .offset:         40
        .size:           4
        .value_kind:     hidden_block_count_x
      - .offset:         44
        .size:           4
        .value_kind:     hidden_block_count_y
      - .offset:         48
        .size:           4
        .value_kind:     hidden_block_count_z
      - .offset:         52
        .size:           2
        .value_kind:     hidden_group_size_x
      - .offset:         54
        .size:           2
        .value_kind:     hidden_group_size_y
      - .offset:         56
        .size:           2
        .value_kind:     hidden_group_size_z
      - .offset:         58
        .size:           2
        .value_kind:     hidden_remainder_x
      - .offset:         60
        .size:           2
        .value_kind:     hidden_remainder_y
      - .offset:         62
        .size:           2
        .value_kind:     hidden_remainder_z
      - .offset:         80
        .size:           8
        .value_kind:     hidden_global_offset_x
      - .offset:         88
        .size:           8
        .value_kind:     hidden_global_offset_y
      - .offset:         96
        .size:           8
        .value_kind:     hidden_global_offset_z
      - .offset:         104
        .size:           2
        .value_kind:     hidden_grid_dims
    .group_segment_fixed_size: 0
    .kernarg_segment_align: 8
    .kernarg_segment_size: 296
    .language:       OpenCL C
    .language_version:
      - 2
      - 0
    .max_flat_workgroup_size: 1024
    .name:           _ZL13mul_mat_vec_qIN3c104HalfELi256ELi16E10block_q3_KLi1EXadL_ZL17vec_dot_q3_K_q8_1PKvPK10block_q8_1RKiEEEvS4_S4_PT_iii
    .private_segment_fixed_size: 0
    .sgpr_count:     15
    .sgpr_spill_count: 0
    .symbol:         _ZL13mul_mat_vec_qIN3c104HalfELi256ELi16E10block_q3_KLi1EXadL_ZL17vec_dot_q3_K_q8_1PKvPK10block_q8_1RKiEEEvS4_S4_PT_iii.kd
    .uniform_work_group_size: 1
    .uses_dynamic_stack: false
    .vgpr_count:     58
    .vgpr_spill_count: 0
    .wavefront_size: 32
    .workgroup_processor_mode: 1
  - .args:
      - .actual_access:  read_only
        .address_space:  global
        .offset:         0
        .size:           8
        .value_kind:     global_buffer
      - .actual_access:  read_only
        .address_space:  global
        .offset:         8
        .size:           8
        .value_kind:     global_buffer
      - .actual_access:  write_only
        .address_space:  global
        .offset:         16
        .size:           8
        .value_kind:     global_buffer
      - .offset:         24
        .size:           4
        .value_kind:     by_value
      - .offset:         28
        .size:           4
        .value_kind:     by_value
      - .offset:         32
        .size:           4
        .value_kind:     by_value
      - .offset:         40
        .size:           4
        .value_kind:     hidden_block_count_x
      - .offset:         44
        .size:           4
        .value_kind:     hidden_block_count_y
      - .offset:         48
        .size:           4
        .value_kind:     hidden_block_count_z
      - .offset:         52
        .size:           2
        .value_kind:     hidden_group_size_x
      - .offset:         54
        .size:           2
        .value_kind:     hidden_group_size_y
      - .offset:         56
        .size:           2
        .value_kind:     hidden_group_size_z
      - .offset:         58
        .size:           2
        .value_kind:     hidden_remainder_x
      - .offset:         60
        .size:           2
        .value_kind:     hidden_remainder_y
      - .offset:         62
        .size:           2
        .value_kind:     hidden_remainder_z
      - .offset:         80
        .size:           8
        .value_kind:     hidden_global_offset_x
      - .offset:         88
        .size:           8
        .value_kind:     hidden_global_offset_y
      - .offset:         96
        .size:           8
        .value_kind:     hidden_global_offset_z
      - .offset:         104
        .size:           2
        .value_kind:     hidden_grid_dims
    .group_segment_fixed_size: 0
    .kernarg_segment_align: 8
    .kernarg_segment_size: 296
    .language:       OpenCL C
    .language_version:
      - 2
      - 0
    .max_flat_workgroup_size: 1024
    .name:           _ZL13mul_mat_vec_qIN3c104HalfELi256ELi32E10block_q4_KLi2EXadL_ZL17vec_dot_q4_K_q8_1PKvPK10block_q8_1RKiEEEvS4_S4_PT_iii
    .private_segment_fixed_size: 0
    .sgpr_count:     15
    .sgpr_spill_count: 0
    .symbol:         _ZL13mul_mat_vec_qIN3c104HalfELi256ELi32E10block_q4_KLi2EXadL_ZL17vec_dot_q4_K_q8_1PKvPK10block_q8_1RKiEEEvS4_S4_PT_iii.kd
    .uniform_work_group_size: 1
    .uses_dynamic_stack: false
    .vgpr_count:     32
    .vgpr_spill_count: 0
    .wavefront_size: 32
    .workgroup_processor_mode: 1
  - .args:
      - .actual_access:  read_only
        .address_space:  global
        .offset:         0
        .size:           8
        .value_kind:     global_buffer
      - .actual_access:  read_only
        .address_space:  global
        .offset:         8
        .size:           8
        .value_kind:     global_buffer
      - .actual_access:  write_only
        .address_space:  global
        .offset:         16
        .size:           8
        .value_kind:     global_buffer
      - .offset:         24
        .size:           4
        .value_kind:     by_value
      - .offset:         28
        .size:           4
        .value_kind:     by_value
      - .offset:         32
        .size:           4
        .value_kind:     by_value
      - .offset:         40
        .size:           4
        .value_kind:     hidden_block_count_x
      - .offset:         44
        .size:           4
        .value_kind:     hidden_block_count_y
      - .offset:         48
        .size:           4
        .value_kind:     hidden_block_count_z
      - .offset:         52
        .size:           2
        .value_kind:     hidden_group_size_x
      - .offset:         54
        .size:           2
        .value_kind:     hidden_group_size_y
      - .offset:         56
        .size:           2
        .value_kind:     hidden_group_size_z
      - .offset:         58
        .size:           2
        .value_kind:     hidden_remainder_x
      - .offset:         60
        .size:           2
        .value_kind:     hidden_remainder_y
      - .offset:         62
        .size:           2
        .value_kind:     hidden_remainder_z
      - .offset:         80
        .size:           8
        .value_kind:     hidden_global_offset_x
      - .offset:         88
        .size:           8
        .value_kind:     hidden_global_offset_y
      - .offset:         96
        .size:           8
        .value_kind:     hidden_global_offset_z
      - .offset:         104
        .size:           2
        .value_kind:     hidden_grid_dims
    .group_segment_fixed_size: 0
    .kernarg_segment_align: 8
    .kernarg_segment_size: 296
    .language:       OpenCL C
    .language_version:
      - 2
      - 0
    .max_flat_workgroup_size: 1024
    .name:           _ZL13mul_mat_vec_qIN3c104HalfELi256ELi32E10block_q5_KLi2EXadL_ZL17vec_dot_q5_K_q8_1PKvPK10block_q8_1RKiEEEvS4_S4_PT_iii
    .private_segment_fixed_size: 0
    .sgpr_count:     15
    .sgpr_spill_count: 0
    .symbol:         _ZL13mul_mat_vec_qIN3c104HalfELi256ELi32E10block_q5_KLi2EXadL_ZL17vec_dot_q5_K_q8_1PKvPK10block_q8_1RKiEEEvS4_S4_PT_iii.kd
    .uniform_work_group_size: 1
    .uses_dynamic_stack: false
    .vgpr_count:     37
    .vgpr_spill_count: 0
    .wavefront_size: 32
    .workgroup_processor_mode: 1
  - .args:
      - .actual_access:  read_only
        .address_space:  global
        .offset:         0
        .size:           8
        .value_kind:     global_buffer
      - .actual_access:  read_only
        .address_space:  global
        .offset:         8
        .size:           8
        .value_kind:     global_buffer
      - .actual_access:  write_only
        .address_space:  global
        .offset:         16
        .size:           8
        .value_kind:     global_buffer
      - .offset:         24
        .size:           4
        .value_kind:     by_value
      - .offset:         28
        .size:           4
        .value_kind:     by_value
      - .offset:         32
        .size:           4
        .value_kind:     by_value
      - .offset:         40
        .size:           4
        .value_kind:     hidden_block_count_x
      - .offset:         44
        .size:           4
        .value_kind:     hidden_block_count_y
      - .offset:         48
        .size:           4
        .value_kind:     hidden_block_count_z
      - .offset:         52
        .size:           2
        .value_kind:     hidden_group_size_x
      - .offset:         54
        .size:           2
        .value_kind:     hidden_group_size_y
      - .offset:         56
        .size:           2
        .value_kind:     hidden_group_size_z
      - .offset:         58
        .size:           2
        .value_kind:     hidden_remainder_x
      - .offset:         60
        .size:           2
        .value_kind:     hidden_remainder_y
      - .offset:         62
        .size:           2
        .value_kind:     hidden_remainder_z
      - .offset:         80
        .size:           8
        .value_kind:     hidden_global_offset_x
      - .offset:         88
        .size:           8
        .value_kind:     hidden_global_offset_y
      - .offset:         96
        .size:           8
        .value_kind:     hidden_global_offset_z
      - .offset:         104
        .size:           2
        .value_kind:     hidden_grid_dims
    .group_segment_fixed_size: 0
    .kernarg_segment_align: 8
    .kernarg_segment_size: 296
    .language:       OpenCL C
    .language_version:
      - 2
      - 0
    .max_flat_workgroup_size: 1024
    .name:           _ZL13mul_mat_vec_qIN3c104HalfELi256ELi32E10block_q6_KLi1EXadL_ZL17vec_dot_q6_K_q8_1PKvPK10block_q8_1RKiEEEvS4_S4_PT_iii
    .private_segment_fixed_size: 0
    .sgpr_count:     15
    .sgpr_spill_count: 0
    .symbol:         _ZL13mul_mat_vec_qIN3c104HalfELi256ELi32E10block_q6_KLi1EXadL_ZL17vec_dot_q6_K_q8_1PKvPK10block_q8_1RKiEEEvS4_S4_PT_iii.kd
    .uniform_work_group_size: 1
    .uses_dynamic_stack: false
    .vgpr_count:     28
    .vgpr_spill_count: 0
    .wavefront_size: 32
    .workgroup_processor_mode: 1
  - .args:
      - .actual_access:  read_only
        .address_space:  global
        .offset:         0
        .size:           8
        .value_kind:     global_buffer
      - .actual_access:  read_only
        .address_space:  global
        .offset:         8
        .size:           8
        .value_kind:     global_buffer
      - .actual_access:  write_only
        .address_space:  global
        .offset:         16
        .size:           8
        .value_kind:     global_buffer
      - .offset:         24
        .size:           4
        .value_kind:     by_value
      - .offset:         28
        .size:           4
        .value_kind:     by_value
      - .offset:         32
        .size:           4
        .value_kind:     by_value
      - .offset:         40
        .size:           4
        .value_kind:     hidden_block_count_x
      - .offset:         44
        .size:           4
        .value_kind:     hidden_block_count_y
      - .offset:         48
        .size:           4
        .value_kind:     hidden_block_count_z
      - .offset:         52
        .size:           2
        .value_kind:     hidden_group_size_x
      - .offset:         54
        .size:           2
        .value_kind:     hidden_group_size_y
      - .offset:         56
        .size:           2
        .value_kind:     hidden_group_size_z
      - .offset:         58
        .size:           2
        .value_kind:     hidden_remainder_x
      - .offset:         60
        .size:           2
        .value_kind:     hidden_remainder_y
      - .offset:         62
        .size:           2
        .value_kind:     hidden_remainder_z
      - .offset:         80
        .size:           8
        .value_kind:     hidden_global_offset_x
      - .offset:         88
        .size:           8
        .value_kind:     hidden_global_offset_y
      - .offset:         96
        .size:           8
        .value_kind:     hidden_global_offset_z
      - .offset:         104
        .size:           2
        .value_kind:     hidden_grid_dims
    .group_segment_fixed_size: 0
    .kernarg_segment_align: 8
    .kernarg_segment_size: 296
    .language:       OpenCL C
    .language_version:
      - 2
      - 0
    .max_flat_workgroup_size: 1024
    .name:           _ZL13mul_mat_vec_qIN3c104HalfELi256ELi8E13block_iq2_xxsLi1EXadL_ZL20vec_dot_iq2_xxs_q8_1PKvPK10block_q8_1RKiEEEvS4_S4_PT_iii
    .private_segment_fixed_size: 0
    .sgpr_count:     20
    .sgpr_spill_count: 0
    .symbol:         _ZL13mul_mat_vec_qIN3c104HalfELi256ELi8E13block_iq2_xxsLi1EXadL_ZL20vec_dot_iq2_xxs_q8_1PKvPK10block_q8_1RKiEEEvS4_S4_PT_iii.kd
    .uniform_work_group_size: 1
    .uses_dynamic_stack: false
    .vgpr_count:     62
    .vgpr_spill_count: 0
    .wavefront_size: 32
    .workgroup_processor_mode: 1
  - .args:
      - .actual_access:  read_only
        .address_space:  global
        .offset:         0
        .size:           8
        .value_kind:     global_buffer
      - .actual_access:  read_only
        .address_space:  global
        .offset:         8
        .size:           8
        .value_kind:     global_buffer
      - .actual_access:  write_only
        .address_space:  global
        .offset:         16
        .size:           8
        .value_kind:     global_buffer
      - .offset:         24
        .size:           4
        .value_kind:     by_value
      - .offset:         28
        .size:           4
        .value_kind:     by_value
      - .offset:         32
        .size:           4
        .value_kind:     by_value
      - .offset:         40
        .size:           4
        .value_kind:     hidden_block_count_x
      - .offset:         44
        .size:           4
        .value_kind:     hidden_block_count_y
      - .offset:         48
        .size:           4
        .value_kind:     hidden_block_count_z
      - .offset:         52
        .size:           2
        .value_kind:     hidden_group_size_x
      - .offset:         54
        .size:           2
        .value_kind:     hidden_group_size_y
      - .offset:         56
        .size:           2
        .value_kind:     hidden_group_size_z
      - .offset:         58
        .size:           2
        .value_kind:     hidden_remainder_x
      - .offset:         60
        .size:           2
        .value_kind:     hidden_remainder_y
      - .offset:         62
        .size:           2
        .value_kind:     hidden_remainder_z
      - .offset:         80
        .size:           8
        .value_kind:     hidden_global_offset_x
      - .offset:         88
        .size:           8
        .value_kind:     hidden_global_offset_y
      - .offset:         96
        .size:           8
        .value_kind:     hidden_global_offset_z
      - .offset:         104
        .size:           2
        .value_kind:     hidden_grid_dims
    .group_segment_fixed_size: 0
    .kernarg_segment_align: 8
    .kernarg_segment_size: 296
    .language:       OpenCL C
    .language_version:
      - 2
      - 0
    .max_flat_workgroup_size: 1024
    .name:           _ZL13mul_mat_vec_qIN3c104HalfELi256ELi8E12block_iq2_xsLi1EXadL_ZL19vec_dot_iq2_xs_q8_1PKvPK10block_q8_1RKiEEEvS4_S4_PT_iii
    .private_segment_fixed_size: 0
    .sgpr_count:     15
    .sgpr_spill_count: 0
    .symbol:         _ZL13mul_mat_vec_qIN3c104HalfELi256ELi8E12block_iq2_xsLi1EXadL_ZL19vec_dot_iq2_xs_q8_1PKvPK10block_q8_1RKiEEEvS4_S4_PT_iii.kd
    .uniform_work_group_size: 1
    .uses_dynamic_stack: false
    .vgpr_count:     36
    .vgpr_spill_count: 0
    .wavefront_size: 32
    .workgroup_processor_mode: 1
  - .args:
      - .actual_access:  read_only
        .address_space:  global
        .offset:         0
        .size:           8
        .value_kind:     global_buffer
      - .actual_access:  read_only
        .address_space:  global
        .offset:         8
        .size:           8
        .value_kind:     global_buffer
      - .actual_access:  write_only
        .address_space:  global
        .offset:         16
        .size:           8
        .value_kind:     global_buffer
      - .offset:         24
        .size:           4
        .value_kind:     by_value
      - .offset:         28
        .size:           4
        .value_kind:     by_value
      - .offset:         32
        .size:           4
        .value_kind:     by_value
      - .offset:         40
        .size:           4
        .value_kind:     hidden_block_count_x
      - .offset:         44
        .size:           4
        .value_kind:     hidden_block_count_y
      - .offset:         48
        .size:           4
        .value_kind:     hidden_block_count_z
      - .offset:         52
        .size:           2
        .value_kind:     hidden_group_size_x
      - .offset:         54
        .size:           2
        .value_kind:     hidden_group_size_y
      - .offset:         56
        .size:           2
        .value_kind:     hidden_group_size_z
      - .offset:         58
        .size:           2
        .value_kind:     hidden_remainder_x
      - .offset:         60
        .size:           2
        .value_kind:     hidden_remainder_y
      - .offset:         62
        .size:           2
        .value_kind:     hidden_remainder_z
      - .offset:         80
        .size:           8
        .value_kind:     hidden_global_offset_x
      - .offset:         88
        .size:           8
        .value_kind:     hidden_global_offset_y
      - .offset:         96
        .size:           8
        .value_kind:     hidden_global_offset_z
      - .offset:         104
        .size:           2
        .value_kind:     hidden_grid_dims
    .group_segment_fixed_size: 0
    .kernarg_segment_align: 8
    .kernarg_segment_size: 296
    .language:       OpenCL C
    .language_version:
      - 2
      - 0
    .max_flat_workgroup_size: 1024
    .name:           _ZL13mul_mat_vec_qIN3c104HalfELi256ELi8E13block_iq3_xxsLi1EXadL_ZL20vec_dot_iq3_xxs_q8_1PKvPK10block_q8_1RKiEEEvS4_S4_PT_iii
    .private_segment_fixed_size: 0
    .sgpr_count:     15
    .sgpr_spill_count: 0
    .symbol:         _ZL13mul_mat_vec_qIN3c104HalfELi256ELi8E13block_iq3_xxsLi1EXadL_ZL20vec_dot_iq3_xxs_q8_1PKvPK10block_q8_1RKiEEEvS4_S4_PT_iii.kd
    .uniform_work_group_size: 1
    .uses_dynamic_stack: false
    .vgpr_count:     62
    .vgpr_spill_count: 0
    .wavefront_size: 32
    .workgroup_processor_mode: 1
  - .args:
      - .actual_access:  read_only
        .address_space:  global
        .offset:         0
        .size:           8
        .value_kind:     global_buffer
      - .actual_access:  read_only
        .address_space:  global
        .offset:         8
        .size:           8
        .value_kind:     global_buffer
      - .actual_access:  write_only
        .address_space:  global
        .offset:         16
        .size:           8
        .value_kind:     global_buffer
      - .offset:         24
        .size:           4
        .value_kind:     by_value
      - .offset:         28
        .size:           4
        .value_kind:     by_value
      - .offset:         32
        .size:           4
        .value_kind:     by_value
      - .offset:         40
        .size:           4
        .value_kind:     hidden_block_count_x
      - .offset:         44
        .size:           4
        .value_kind:     hidden_block_count_y
      - .offset:         48
        .size:           4
        .value_kind:     hidden_block_count_z
      - .offset:         52
        .size:           2
        .value_kind:     hidden_group_size_x
      - .offset:         54
        .size:           2
        .value_kind:     hidden_group_size_y
      - .offset:         56
        .size:           2
        .value_kind:     hidden_group_size_z
      - .offset:         58
        .size:           2
        .value_kind:     hidden_remainder_x
      - .offset:         60
        .size:           2
        .value_kind:     hidden_remainder_y
      - .offset:         62
        .size:           2
        .value_kind:     hidden_remainder_z
      - .offset:         80
        .size:           8
        .value_kind:     hidden_global_offset_x
      - .offset:         88
        .size:           8
        .value_kind:     hidden_global_offset_y
      - .offset:         96
        .size:           8
        .value_kind:     hidden_global_offset_z
      - .offset:         104
        .size:           2
        .value_kind:     hidden_grid_dims
    .group_segment_fixed_size: 0
    .kernarg_segment_align: 8
    .kernarg_segment_size: 296
    .language:       OpenCL C
    .language_version:
      - 2
      - 0
    .max_flat_workgroup_size: 1024
    .name:           _ZL13mul_mat_vec_qIN3c104HalfELi256ELi8E11block_iq1_sLi1EXadL_ZL18vec_dot_iq1_s_q8_1PKvPK10block_q8_1RKiEEEvS4_S4_PT_iii
    .private_segment_fixed_size: 0
    .sgpr_count:     15
    .sgpr_spill_count: 0
    .symbol:         _ZL13mul_mat_vec_qIN3c104HalfELi256ELi8E11block_iq1_sLi1EXadL_ZL18vec_dot_iq1_s_q8_1PKvPK10block_q8_1RKiEEEvS4_S4_PT_iii.kd
    .uniform_work_group_size: 1
    .uses_dynamic_stack: false
    .vgpr_count:     27
    .vgpr_spill_count: 0
    .wavefront_size: 32
    .workgroup_processor_mode: 1
  - .args:
      - .actual_access:  read_only
        .address_space:  global
        .offset:         0
        .size:           8
        .value_kind:     global_buffer
      - .actual_access:  read_only
        .address_space:  global
        .offset:         8
        .size:           8
        .value_kind:     global_buffer
      - .actual_access:  write_only
        .address_space:  global
        .offset:         16
        .size:           8
        .value_kind:     global_buffer
      - .offset:         24
        .size:           4
        .value_kind:     by_value
      - .offset:         28
        .size:           4
        .value_kind:     by_value
      - .offset:         32
        .size:           4
        .value_kind:     by_value
      - .offset:         40
        .size:           4
        .value_kind:     hidden_block_count_x
      - .offset:         44
        .size:           4
        .value_kind:     hidden_block_count_y
      - .offset:         48
        .size:           4
        .value_kind:     hidden_block_count_z
      - .offset:         52
        .size:           2
        .value_kind:     hidden_group_size_x
      - .offset:         54
        .size:           2
        .value_kind:     hidden_group_size_y
      - .offset:         56
        .size:           2
        .value_kind:     hidden_group_size_z
      - .offset:         58
        .size:           2
        .value_kind:     hidden_remainder_x
      - .offset:         60
        .size:           2
        .value_kind:     hidden_remainder_y
      - .offset:         62
        .size:           2
        .value_kind:     hidden_remainder_z
      - .offset:         80
        .size:           8
        .value_kind:     hidden_global_offset_x
      - .offset:         88
        .size:           8
        .value_kind:     hidden_global_offset_y
      - .offset:         96
        .size:           8
        .value_kind:     hidden_global_offset_z
      - .offset:         104
        .size:           2
        .value_kind:     hidden_grid_dims
    .group_segment_fixed_size: 0
    .kernarg_segment_align: 8
    .kernarg_segment_size: 296
    .language:       OpenCL C
    .language_version:
      - 2
      - 0
    .max_flat_workgroup_size: 1024
    .name:           _ZL13mul_mat_vec_qIN3c104HalfELi32ELi4E12block_iq4_nlLi2EXadL_ZL19vec_dot_iq4_nl_q8_1PKvPK10block_q8_1RKiEEEvS4_S4_PT_iii
    .private_segment_fixed_size: 0
    .sgpr_count:     18
    .sgpr_spill_count: 0
    .symbol:         _ZL13mul_mat_vec_qIN3c104HalfELi32ELi4E12block_iq4_nlLi2EXadL_ZL19vec_dot_iq4_nl_q8_1PKvPK10block_q8_1RKiEEEvS4_S4_PT_iii.kd
    .uniform_work_group_size: 1
    .uses_dynamic_stack: false
    .vgpr_count:     31
    .vgpr_spill_count: 0
    .wavefront_size: 32
    .workgroup_processor_mode: 1
  - .args:
      - .actual_access:  read_only
        .address_space:  global
        .offset:         0
        .size:           8
        .value_kind:     global_buffer
      - .actual_access:  read_only
        .address_space:  global
        .offset:         8
        .size:           8
        .value_kind:     global_buffer
      - .actual_access:  write_only
        .address_space:  global
        .offset:         16
        .size:           8
        .value_kind:     global_buffer
      - .offset:         24
        .size:           4
        .value_kind:     by_value
      - .offset:         28
        .size:           4
        .value_kind:     by_value
      - .offset:         32
        .size:           4
        .value_kind:     by_value
      - .offset:         40
        .size:           4
        .value_kind:     hidden_block_count_x
      - .offset:         44
        .size:           4
        .value_kind:     hidden_block_count_y
      - .offset:         48
        .size:           4
        .value_kind:     hidden_block_count_z
      - .offset:         52
        .size:           2
        .value_kind:     hidden_group_size_x
      - .offset:         54
        .size:           2
        .value_kind:     hidden_group_size_y
      - .offset:         56
        .size:           2
        .value_kind:     hidden_group_size_z
      - .offset:         58
        .size:           2
        .value_kind:     hidden_remainder_x
      - .offset:         60
        .size:           2
        .value_kind:     hidden_remainder_y
      - .offset:         62
        .size:           2
        .value_kind:     hidden_remainder_z
      - .offset:         80
        .size:           8
        .value_kind:     hidden_global_offset_x
      - .offset:         88
        .size:           8
        .value_kind:     hidden_global_offset_y
      - .offset:         96
        .size:           8
        .value_kind:     hidden_global_offset_z
      - .offset:         104
        .size:           2
        .value_kind:     hidden_grid_dims
    .group_segment_fixed_size: 0
    .kernarg_segment_align: 8
    .kernarg_segment_size: 296
    .language:       OpenCL C
    .language_version:
      - 2
      - 0
    .max_flat_workgroup_size: 1024
    .name:           _ZL13mul_mat_vec_qIN3c104HalfELi256ELi8E11block_iq3_sLi1EXadL_ZL18vec_dot_iq3_s_q8_1PKvPK10block_q8_1RKiEEEvS4_S4_PT_iii
    .private_segment_fixed_size: 0
    .sgpr_count:     16
    .sgpr_spill_count: 0
    .symbol:         _ZL13mul_mat_vec_qIN3c104HalfELi256ELi8E11block_iq3_sLi1EXadL_ZL18vec_dot_iq3_s_q8_1PKvPK10block_q8_1RKiEEEvS4_S4_PT_iii.kd
    .uniform_work_group_size: 1
    .uses_dynamic_stack: false
    .vgpr_count:     42
    .vgpr_spill_count: 0
    .wavefront_size: 32
    .workgroup_processor_mode: 1
  - .args:
      - .actual_access:  read_only
        .address_space:  global
        .offset:         0
        .size:           8
        .value_kind:     global_buffer
      - .actual_access:  read_only
        .address_space:  global
        .offset:         8
        .size:           8
        .value_kind:     global_buffer
      - .actual_access:  write_only
        .address_space:  global
        .offset:         16
        .size:           8
        .value_kind:     global_buffer
      - .offset:         24
        .size:           4
        .value_kind:     by_value
      - .offset:         28
        .size:           4
        .value_kind:     by_value
      - .offset:         32
        .size:           4
        .value_kind:     by_value
      - .offset:         40
        .size:           4
        .value_kind:     hidden_block_count_x
      - .offset:         44
        .size:           4
        .value_kind:     hidden_block_count_y
      - .offset:         48
        .size:           4
        .value_kind:     hidden_block_count_z
      - .offset:         52
        .size:           2
        .value_kind:     hidden_group_size_x
      - .offset:         54
        .size:           2
        .value_kind:     hidden_group_size_y
      - .offset:         56
        .size:           2
        .value_kind:     hidden_group_size_z
      - .offset:         58
        .size:           2
        .value_kind:     hidden_remainder_x
      - .offset:         60
        .size:           2
        .value_kind:     hidden_remainder_y
      - .offset:         62
        .size:           2
        .value_kind:     hidden_remainder_z
      - .offset:         80
        .size:           8
        .value_kind:     hidden_global_offset_x
      - .offset:         88
        .size:           8
        .value_kind:     hidden_global_offset_y
      - .offset:         96
        .size:           8
        .value_kind:     hidden_global_offset_z
      - .offset:         104
        .size:           2
        .value_kind:     hidden_grid_dims
    .group_segment_fixed_size: 0
    .kernarg_segment_align: 8
    .kernarg_segment_size: 296
    .language:       OpenCL C
    .language_version:
      - 2
      - 0
    .max_flat_workgroup_size: 1024
    .name:           _ZL13mul_mat_vec_qIN3c104HalfELi256ELi8E11block_iq2_sLi1EXadL_ZL18vec_dot_iq2_s_q8_1PKvPK10block_q8_1RKiEEEvS4_S4_PT_iii
    .private_segment_fixed_size: 0
    .sgpr_count:     15
    .sgpr_spill_count: 0
    .symbol:         _ZL13mul_mat_vec_qIN3c104HalfELi256ELi8E11block_iq2_sLi1EXadL_ZL18vec_dot_iq2_s_q8_1PKvPK10block_q8_1RKiEEEvS4_S4_PT_iii.kd
    .uniform_work_group_size: 1
    .uses_dynamic_stack: false
    .vgpr_count:     64
    .vgpr_spill_count: 0
    .wavefront_size: 32
    .workgroup_processor_mode: 1
  - .args:
      - .actual_access:  read_only
        .address_space:  global
        .offset:         0
        .size:           8
        .value_kind:     global_buffer
      - .actual_access:  read_only
        .address_space:  global
        .offset:         8
        .size:           8
        .value_kind:     global_buffer
      - .actual_access:  write_only
        .address_space:  global
        .offset:         16
        .size:           8
        .value_kind:     global_buffer
      - .offset:         24
        .size:           4
        .value_kind:     by_value
      - .offset:         28
        .size:           4
        .value_kind:     by_value
      - .offset:         32
        .size:           4
        .value_kind:     by_value
      - .offset:         40
        .size:           4
        .value_kind:     hidden_block_count_x
      - .offset:         44
        .size:           4
        .value_kind:     hidden_block_count_y
      - .offset:         48
        .size:           4
        .value_kind:     hidden_block_count_z
      - .offset:         52
        .size:           2
        .value_kind:     hidden_group_size_x
      - .offset:         54
        .size:           2
        .value_kind:     hidden_group_size_y
      - .offset:         56
        .size:           2
        .value_kind:     hidden_group_size_z
      - .offset:         58
        .size:           2
        .value_kind:     hidden_remainder_x
      - .offset:         60
        .size:           2
        .value_kind:     hidden_remainder_y
      - .offset:         62
        .size:           2
        .value_kind:     hidden_remainder_z
      - .offset:         80
        .size:           8
        .value_kind:     hidden_global_offset_x
      - .offset:         88
        .size:           8
        .value_kind:     hidden_global_offset_y
      - .offset:         96
        .size:           8
        .value_kind:     hidden_global_offset_z
      - .offset:         104
        .size:           2
        .value_kind:     hidden_grid_dims
    .group_segment_fixed_size: 0
    .kernarg_segment_align: 8
    .kernarg_segment_size: 296
    .language:       OpenCL C
    .language_version:
      - 2
      - 0
    .max_flat_workgroup_size: 1024
    .name:           _ZL13mul_mat_vec_qIN3c104HalfELi256ELi8E12block_iq4_xsLi1EXadL_ZL19vec_dot_iq4_xs_q8_1PKvPK10block_q8_1RKiEEEvS4_S4_PT_iii
    .private_segment_fixed_size: 0
    .sgpr_count:     15
    .sgpr_spill_count: 0
    .symbol:         _ZL13mul_mat_vec_qIN3c104HalfELi256ELi8E12block_iq4_xsLi1EXadL_ZL19vec_dot_iq4_xs_q8_1PKvPK10block_q8_1RKiEEEvS4_S4_PT_iii.kd
    .uniform_work_group_size: 1
    .uses_dynamic_stack: false
    .vgpr_count:     58
    .vgpr_spill_count: 0
    .wavefront_size: 32
    .workgroup_processor_mode: 1
  - .args:
      - .actual_access:  read_only
        .address_space:  global
        .offset:         0
        .size:           8
        .value_kind:     global_buffer
      - .actual_access:  read_only
        .address_space:  global
        .offset:         8
        .size:           8
        .value_kind:     global_buffer
      - .actual_access:  write_only
        .address_space:  global
        .offset:         16
        .size:           8
        .value_kind:     global_buffer
      - .offset:         24
        .size:           4
        .value_kind:     by_value
      - .offset:         28
        .size:           4
        .value_kind:     by_value
      - .offset:         32
        .size:           4
        .value_kind:     by_value
      - .offset:         40
        .size:           4
        .value_kind:     hidden_block_count_x
      - .offset:         44
        .size:           4
        .value_kind:     hidden_block_count_y
      - .offset:         48
        .size:           4
        .value_kind:     hidden_block_count_z
      - .offset:         52
        .size:           2
        .value_kind:     hidden_group_size_x
      - .offset:         54
        .size:           2
        .value_kind:     hidden_group_size_y
      - .offset:         56
        .size:           2
        .value_kind:     hidden_group_size_z
      - .offset:         58
        .size:           2
        .value_kind:     hidden_remainder_x
      - .offset:         60
        .size:           2
        .value_kind:     hidden_remainder_y
      - .offset:         62
        .size:           2
        .value_kind:     hidden_remainder_z
      - .offset:         80
        .size:           8
        .value_kind:     hidden_global_offset_x
      - .offset:         88
        .size:           8
        .value_kind:     hidden_global_offset_y
      - .offset:         96
        .size:           8
        .value_kind:     hidden_global_offset_z
      - .offset:         104
        .size:           2
        .value_kind:     hidden_grid_dims
    .group_segment_fixed_size: 0
    .kernarg_segment_align: 8
    .kernarg_segment_size: 296
    .language:       OpenCL C
    .language_version:
      - 2
      - 0
    .max_flat_workgroup_size: 1024
    .name:           _ZL13mul_mat_vec_qIN3c104HalfELi256ELi8E11block_iq1_mLi1EXadL_ZL18vec_dot_iq1_m_q8_1PKvPK10block_q8_1RKiEEEvS4_S4_PT_iii
    .private_segment_fixed_size: 0
    .sgpr_count:     15
    .sgpr_spill_count: 0
    .symbol:         _ZL13mul_mat_vec_qIN3c104HalfELi256ELi8E11block_iq1_mLi1EXadL_ZL18vec_dot_iq1_m_q8_1PKvPK10block_q8_1RKiEEEvS4_S4_PT_iii.kd
    .uniform_work_group_size: 1
    .uses_dynamic_stack: false
    .vgpr_count:     43
    .vgpr_spill_count: 0
    .wavefront_size: 32
    .workgroup_processor_mode: 1
  - .args:
      - .actual_access:  read_only
        .address_space:  global
        .offset:         0
        .size:           8
        .value_kind:     global_buffer
      - .actual_access:  write_only
        .address_space:  global
        .offset:         8
        .size:           8
        .value_kind:     global_buffer
      - .offset:         16
        .size:           4
        .value_kind:     by_value
      - .offset:         20
        .size:           4
        .value_kind:     by_value
      - .offset:         24
        .size:           4
        .value_kind:     hidden_block_count_x
      - .offset:         28
        .size:           4
        .value_kind:     hidden_block_count_y
      - .offset:         32
        .size:           4
        .value_kind:     hidden_block_count_z
      - .offset:         36
        .size:           2
        .value_kind:     hidden_group_size_x
      - .offset:         38
        .size:           2
        .value_kind:     hidden_group_size_y
      - .offset:         40
        .size:           2
        .value_kind:     hidden_group_size_z
      - .offset:         42
        .size:           2
        .value_kind:     hidden_remainder_x
      - .offset:         44
        .size:           2
        .value_kind:     hidden_remainder_y
      - .offset:         46
        .size:           2
        .value_kind:     hidden_remainder_z
      - .offset:         64
        .size:           8
        .value_kind:     hidden_global_offset_x
      - .offset:         72
        .size:           8
        .value_kind:     hidden_global_offset_y
      - .offset:         80
        .size:           8
        .value_kind:     hidden_global_offset_z
      - .offset:         88
        .size:           2
        .value_kind:     hidden_grid_dims
    .group_segment_fixed_size: 0
    .kernarg_segment_align: 8
    .kernarg_segment_size: 280
    .language:       OpenCL C
    .language_version:
      - 2
      - 0
    .max_flat_workgroup_size: 1024
    .name:           _ZL13quantize_q8_1IN3c108BFloat16EEvPKT_Pvii
    .private_segment_fixed_size: 0
    .sgpr_count:     11
    .sgpr_spill_count: 0
    .symbol:         _ZL13quantize_q8_1IN3c108BFloat16EEvPKT_Pvii.kd
    .uniform_work_group_size: 1
    .uses_dynamic_stack: false
    .vgpr_count:     13
    .vgpr_spill_count: 0
    .wavefront_size: 32
    .workgroup_processor_mode: 1
  - .args:
      - .actual_access:  read_only
        .address_space:  global
        .offset:         0
        .size:           8
        .value_kind:     global_buffer
      - .actual_access:  read_only
        .address_space:  global
        .offset:         8
        .size:           8
        .value_kind:     global_buffer
      - .actual_access:  write_only
        .address_space:  global
        .offset:         16
        .size:           8
        .value_kind:     global_buffer
      - .offset:         24
        .size:           4
        .value_kind:     by_value
      - .offset:         28
        .size:           4
        .value_kind:     by_value
      - .offset:         32
        .size:           4
        .value_kind:     by_value
      - .offset:         40
        .size:           4
        .value_kind:     hidden_block_count_x
      - .offset:         44
        .size:           4
        .value_kind:     hidden_block_count_y
      - .offset:         48
        .size:           4
        .value_kind:     hidden_block_count_z
      - .offset:         52
        .size:           2
        .value_kind:     hidden_group_size_x
      - .offset:         54
        .size:           2
        .value_kind:     hidden_group_size_y
      - .offset:         56
        .size:           2
        .value_kind:     hidden_group_size_z
      - .offset:         58
        .size:           2
        .value_kind:     hidden_remainder_x
      - .offset:         60
        .size:           2
        .value_kind:     hidden_remainder_y
      - .offset:         62
        .size:           2
        .value_kind:     hidden_remainder_z
      - .offset:         80
        .size:           8
        .value_kind:     hidden_global_offset_x
      - .offset:         88
        .size:           8
        .value_kind:     hidden_global_offset_y
      - .offset:         96
        .size:           8
        .value_kind:     hidden_global_offset_z
      - .offset:         104
        .size:           2
        .value_kind:     hidden_grid_dims
    .group_segment_fixed_size: 0
    .kernarg_segment_align: 8
    .kernarg_segment_size: 296
    .language:       OpenCL C
    .language_version:
      - 2
      - 0
    .max_flat_workgroup_size: 1024
    .name:           _ZL13mul_mat_vec_qIN3c108BFloat16ELi32ELi4E10block_q4_0Li2EXadL_ZL17vec_dot_q4_0_q8_1PKvPK10block_q8_1RKiEEEvS4_S4_PT_iii
    .private_segment_fixed_size: 0
    .sgpr_count:     15
    .sgpr_spill_count: 0
    .symbol:         _ZL13mul_mat_vec_qIN3c108BFloat16ELi32ELi4E10block_q4_0Li2EXadL_ZL17vec_dot_q4_0_q8_1PKvPK10block_q8_1RKiEEEvS4_S4_PT_iii.kd
    .uniform_work_group_size: 1
    .uses_dynamic_stack: false
    .vgpr_count:     16
    .vgpr_spill_count: 0
    .wavefront_size: 32
    .workgroup_processor_mode: 1
  - .args:
      - .actual_access:  read_only
        .address_space:  global
        .offset:         0
        .size:           8
        .value_kind:     global_buffer
      - .actual_access:  read_only
        .address_space:  global
        .offset:         8
        .size:           8
        .value_kind:     global_buffer
      - .actual_access:  write_only
        .address_space:  global
        .offset:         16
        .size:           8
        .value_kind:     global_buffer
      - .offset:         24
        .size:           4
        .value_kind:     by_value
      - .offset:         28
        .size:           4
        .value_kind:     by_value
      - .offset:         32
        .size:           4
        .value_kind:     by_value
      - .offset:         40
        .size:           4
        .value_kind:     hidden_block_count_x
      - .offset:         44
        .size:           4
        .value_kind:     hidden_block_count_y
      - .offset:         48
        .size:           4
        .value_kind:     hidden_block_count_z
      - .offset:         52
        .size:           2
        .value_kind:     hidden_group_size_x
      - .offset:         54
        .size:           2
        .value_kind:     hidden_group_size_y
      - .offset:         56
        .size:           2
        .value_kind:     hidden_group_size_z
      - .offset:         58
        .size:           2
        .value_kind:     hidden_remainder_x
      - .offset:         60
        .size:           2
        .value_kind:     hidden_remainder_y
      - .offset:         62
        .size:           2
        .value_kind:     hidden_remainder_z
      - .offset:         80
        .size:           8
        .value_kind:     hidden_global_offset_x
      - .offset:         88
        .size:           8
        .value_kind:     hidden_global_offset_y
      - .offset:         96
        .size:           8
        .value_kind:     hidden_global_offset_z
      - .offset:         104
        .size:           2
        .value_kind:     hidden_grid_dims
    .group_segment_fixed_size: 0
    .kernarg_segment_align: 8
    .kernarg_segment_size: 296
    .language:       OpenCL C
    .language_version:
      - 2
      - 0
    .max_flat_workgroup_size: 1024
    .name:           _ZL13mul_mat_vec_qIN3c108BFloat16ELi32ELi4E10block_q4_1Li2EXadL_ZL17vec_dot_q4_1_q8_1PKvPK10block_q8_1RKiEEEvS4_S4_PT_iii
    .private_segment_fixed_size: 0
    .sgpr_count:     15
    .sgpr_spill_count: 0
    .symbol:         _ZL13mul_mat_vec_qIN3c108BFloat16ELi32ELi4E10block_q4_1Li2EXadL_ZL17vec_dot_q4_1_q8_1PKvPK10block_q8_1RKiEEEvS4_S4_PT_iii.kd
    .uniform_work_group_size: 1
    .uses_dynamic_stack: false
    .vgpr_count:     16
    .vgpr_spill_count: 0
    .wavefront_size: 32
    .workgroup_processor_mode: 1
  - .args:
      - .actual_access:  read_only
        .address_space:  global
        .offset:         0
        .size:           8
        .value_kind:     global_buffer
      - .actual_access:  read_only
        .address_space:  global
        .offset:         8
        .size:           8
        .value_kind:     global_buffer
      - .actual_access:  write_only
        .address_space:  global
        .offset:         16
        .size:           8
        .value_kind:     global_buffer
      - .offset:         24
        .size:           4
        .value_kind:     by_value
      - .offset:         28
        .size:           4
        .value_kind:     by_value
      - .offset:         32
        .size:           4
        .value_kind:     by_value
      - .offset:         40
        .size:           4
        .value_kind:     hidden_block_count_x
      - .offset:         44
        .size:           4
        .value_kind:     hidden_block_count_y
      - .offset:         48
        .size:           4
        .value_kind:     hidden_block_count_z
      - .offset:         52
        .size:           2
        .value_kind:     hidden_group_size_x
      - .offset:         54
        .size:           2
        .value_kind:     hidden_group_size_y
      - .offset:         56
        .size:           2
        .value_kind:     hidden_group_size_z
      - .offset:         58
        .size:           2
        .value_kind:     hidden_remainder_x
      - .offset:         60
        .size:           2
        .value_kind:     hidden_remainder_y
      - .offset:         62
        .size:           2
        .value_kind:     hidden_remainder_z
      - .offset:         80
        .size:           8
        .value_kind:     hidden_global_offset_x
      - .offset:         88
        .size:           8
        .value_kind:     hidden_global_offset_y
      - .offset:         96
        .size:           8
        .value_kind:     hidden_global_offset_z
      - .offset:         104
        .size:           2
        .value_kind:     hidden_grid_dims
    .group_segment_fixed_size: 0
    .kernarg_segment_align: 8
    .kernarg_segment_size: 296
    .language:       OpenCL C
    .language_version:
      - 2
      - 0
    .max_flat_workgroup_size: 1024
    .name:           _ZL13mul_mat_vec_qIN3c108BFloat16ELi32ELi4E10block_q5_0Li2EXadL_ZL17vec_dot_q5_0_q8_1PKvPK10block_q8_1RKiEEEvS4_S4_PT_iii
    .private_segment_fixed_size: 0
    .sgpr_count:     15
    .sgpr_spill_count: 0
    .symbol:         _ZL13mul_mat_vec_qIN3c108BFloat16ELi32ELi4E10block_q5_0Li2EXadL_ZL17vec_dot_q5_0_q8_1PKvPK10block_q8_1RKiEEEvS4_S4_PT_iii.kd
    .uniform_work_group_size: 1
    .uses_dynamic_stack: false
    .vgpr_count:     34
    .vgpr_spill_count: 0
    .wavefront_size: 32
    .workgroup_processor_mode: 1
  - .args:
      - .actual_access:  read_only
        .address_space:  global
        .offset:         0
        .size:           8
        .value_kind:     global_buffer
      - .actual_access:  read_only
        .address_space:  global
        .offset:         8
        .size:           8
        .value_kind:     global_buffer
      - .actual_access:  write_only
        .address_space:  global
        .offset:         16
        .size:           8
        .value_kind:     global_buffer
      - .offset:         24
        .size:           4
        .value_kind:     by_value
      - .offset:         28
        .size:           4
        .value_kind:     by_value
      - .offset:         32
        .size:           4
        .value_kind:     by_value
      - .offset:         40
        .size:           4
        .value_kind:     hidden_block_count_x
      - .offset:         44
        .size:           4
        .value_kind:     hidden_block_count_y
      - .offset:         48
        .size:           4
        .value_kind:     hidden_block_count_z
      - .offset:         52
        .size:           2
        .value_kind:     hidden_group_size_x
      - .offset:         54
        .size:           2
        .value_kind:     hidden_group_size_y
      - .offset:         56
        .size:           2
        .value_kind:     hidden_group_size_z
      - .offset:         58
        .size:           2
        .value_kind:     hidden_remainder_x
      - .offset:         60
        .size:           2
        .value_kind:     hidden_remainder_y
      - .offset:         62
        .size:           2
        .value_kind:     hidden_remainder_z
      - .offset:         80
        .size:           8
        .value_kind:     hidden_global_offset_x
      - .offset:         88
        .size:           8
        .value_kind:     hidden_global_offset_y
      - .offset:         96
        .size:           8
        .value_kind:     hidden_global_offset_z
      - .offset:         104
        .size:           2
        .value_kind:     hidden_grid_dims
    .group_segment_fixed_size: 0
    .kernarg_segment_align: 8
    .kernarg_segment_size: 296
    .language:       OpenCL C
    .language_version:
      - 2
      - 0
    .max_flat_workgroup_size: 1024
    .name:           _ZL13mul_mat_vec_qIN3c108BFloat16ELi32ELi4E10block_q5_1Li2EXadL_ZL17vec_dot_q5_1_q8_1PKvPK10block_q8_1RKiEEEvS4_S4_PT_iii
    .private_segment_fixed_size: 0
    .sgpr_count:     15
    .sgpr_spill_count: 0
    .symbol:         _ZL13mul_mat_vec_qIN3c108BFloat16ELi32ELi4E10block_q5_1Li2EXadL_ZL17vec_dot_q5_1_q8_1PKvPK10block_q8_1RKiEEEvS4_S4_PT_iii.kd
    .uniform_work_group_size: 1
    .uses_dynamic_stack: false
    .vgpr_count:     34
    .vgpr_spill_count: 0
    .wavefront_size: 32
    .workgroup_processor_mode: 1
  - .args:
      - .actual_access:  read_only
        .address_space:  global
        .offset:         0
        .size:           8
        .value_kind:     global_buffer
      - .actual_access:  read_only
        .address_space:  global
        .offset:         8
        .size:           8
        .value_kind:     global_buffer
      - .actual_access:  write_only
        .address_space:  global
        .offset:         16
        .size:           8
        .value_kind:     global_buffer
      - .offset:         24
        .size:           4
        .value_kind:     by_value
      - .offset:         28
        .size:           4
        .value_kind:     by_value
      - .offset:         32
        .size:           4
        .value_kind:     by_value
      - .offset:         40
        .size:           4
        .value_kind:     hidden_block_count_x
      - .offset:         44
        .size:           4
        .value_kind:     hidden_block_count_y
      - .offset:         48
        .size:           4
        .value_kind:     hidden_block_count_z
      - .offset:         52
        .size:           2
        .value_kind:     hidden_group_size_x
      - .offset:         54
        .size:           2
        .value_kind:     hidden_group_size_y
      - .offset:         56
        .size:           2
        .value_kind:     hidden_group_size_z
      - .offset:         58
        .size:           2
        .value_kind:     hidden_remainder_x
      - .offset:         60
        .size:           2
        .value_kind:     hidden_remainder_y
      - .offset:         62
        .size:           2
        .value_kind:     hidden_remainder_z
      - .offset:         80
        .size:           8
        .value_kind:     hidden_global_offset_x
      - .offset:         88
        .size:           8
        .value_kind:     hidden_global_offset_y
      - .offset:         96
        .size:           8
        .value_kind:     hidden_global_offset_z
      - .offset:         104
        .size:           2
        .value_kind:     hidden_grid_dims
    .group_segment_fixed_size: 0
    .kernarg_segment_align: 8
    .kernarg_segment_size: 296
    .language:       OpenCL C
    .language_version:
      - 2
      - 0
    .max_flat_workgroup_size: 1024
    .name:           _ZL13mul_mat_vec_qIN3c108BFloat16ELi32ELi8E10block_q8_0Li2EXadL_ZL17vec_dot_q8_0_q8_1PKvPK10block_q8_1RKiEEEvS4_S4_PT_iii
    .private_segment_fixed_size: 0
    .sgpr_count:     15
    .sgpr_spill_count: 0
    .symbol:         _ZL13mul_mat_vec_qIN3c108BFloat16ELi32ELi8E10block_q8_0Li2EXadL_ZL17vec_dot_q8_0_q8_1PKvPK10block_q8_1RKiEEEvS4_S4_PT_iii.kd
    .uniform_work_group_size: 1
    .uses_dynamic_stack: false
    .vgpr_count:     14
    .vgpr_spill_count: 0
    .wavefront_size: 32
    .workgroup_processor_mode: 1
  - .args:
      - .actual_access:  read_only
        .address_space:  global
        .offset:         0
        .size:           8
        .value_kind:     global_buffer
      - .actual_access:  read_only
        .address_space:  global
        .offset:         8
        .size:           8
        .value_kind:     global_buffer
      - .actual_access:  write_only
        .address_space:  global
        .offset:         16
        .size:           8
        .value_kind:     global_buffer
      - .offset:         24
        .size:           4
        .value_kind:     by_value
      - .offset:         28
        .size:           4
        .value_kind:     by_value
      - .offset:         32
        .size:           4
        .value_kind:     by_value
      - .offset:         40
        .size:           4
        .value_kind:     hidden_block_count_x
      - .offset:         44
        .size:           4
        .value_kind:     hidden_block_count_y
      - .offset:         48
        .size:           4
        .value_kind:     hidden_block_count_z
      - .offset:         52
        .size:           2
        .value_kind:     hidden_group_size_x
      - .offset:         54
        .size:           2
        .value_kind:     hidden_group_size_y
      - .offset:         56
        .size:           2
        .value_kind:     hidden_group_size_z
      - .offset:         58
        .size:           2
        .value_kind:     hidden_remainder_x
      - .offset:         60
        .size:           2
        .value_kind:     hidden_remainder_y
      - .offset:         62
        .size:           2
        .value_kind:     hidden_remainder_z
      - .offset:         80
        .size:           8
        .value_kind:     hidden_global_offset_x
      - .offset:         88
        .size:           8
        .value_kind:     hidden_global_offset_y
      - .offset:         96
        .size:           8
        .value_kind:     hidden_global_offset_z
      - .offset:         104
        .size:           2
        .value_kind:     hidden_grid_dims
    .group_segment_fixed_size: 0
    .kernarg_segment_align: 8
    .kernarg_segment_size: 296
    .language:       OpenCL C
    .language_version:
      - 2
      - 0
    .max_flat_workgroup_size: 1024
    .name:           _ZL13mul_mat_vec_qIN3c108BFloat16ELi256ELi16E10block_q2_KLi1EXadL_ZL17vec_dot_q2_K_q8_1PKvPK10block_q8_1RKiEEEvS4_S4_PT_iii
    .private_segment_fixed_size: 0
    .sgpr_count:     16
    .sgpr_spill_count: 0
    .symbol:         _ZL13mul_mat_vec_qIN3c108BFloat16ELi256ELi16E10block_q2_KLi1EXadL_ZL17vec_dot_q2_K_q8_1PKvPK10block_q8_1RKiEEEvS4_S4_PT_iii.kd
    .uniform_work_group_size: 1
    .uses_dynamic_stack: false
    .vgpr_count:     42
    .vgpr_spill_count: 0
    .wavefront_size: 32
    .workgroup_processor_mode: 1
  - .args:
      - .actual_access:  read_only
        .address_space:  global
        .offset:         0
        .size:           8
        .value_kind:     global_buffer
      - .actual_access:  read_only
        .address_space:  global
        .offset:         8
        .size:           8
        .value_kind:     global_buffer
      - .actual_access:  write_only
        .address_space:  global
        .offset:         16
        .size:           8
        .value_kind:     global_buffer
      - .offset:         24
        .size:           4
        .value_kind:     by_value
      - .offset:         28
        .size:           4
        .value_kind:     by_value
      - .offset:         32
        .size:           4
        .value_kind:     by_value
      - .offset:         40
        .size:           4
        .value_kind:     hidden_block_count_x
      - .offset:         44
        .size:           4
        .value_kind:     hidden_block_count_y
      - .offset:         48
        .size:           4
        .value_kind:     hidden_block_count_z
      - .offset:         52
        .size:           2
        .value_kind:     hidden_group_size_x
      - .offset:         54
        .size:           2
        .value_kind:     hidden_group_size_y
      - .offset:         56
        .size:           2
        .value_kind:     hidden_group_size_z
      - .offset:         58
        .size:           2
        .value_kind:     hidden_remainder_x
      - .offset:         60
        .size:           2
        .value_kind:     hidden_remainder_y
      - .offset:         62
        .size:           2
        .value_kind:     hidden_remainder_z
      - .offset:         80
        .size:           8
        .value_kind:     hidden_global_offset_x
      - .offset:         88
        .size:           8
        .value_kind:     hidden_global_offset_y
      - .offset:         96
        .size:           8
        .value_kind:     hidden_global_offset_z
      - .offset:         104
        .size:           2
        .value_kind:     hidden_grid_dims
    .group_segment_fixed_size: 0
    .kernarg_segment_align: 8
    .kernarg_segment_size: 296
    .language:       OpenCL C
    .language_version:
      - 2
      - 0
    .max_flat_workgroup_size: 1024
    .name:           _ZL13mul_mat_vec_qIN3c108BFloat16ELi256ELi16E10block_q3_KLi1EXadL_ZL17vec_dot_q3_K_q8_1PKvPK10block_q8_1RKiEEEvS4_S4_PT_iii
    .private_segment_fixed_size: 0
    .sgpr_count:     15
    .sgpr_spill_count: 0
    .symbol:         _ZL13mul_mat_vec_qIN3c108BFloat16ELi256ELi16E10block_q3_KLi1EXadL_ZL17vec_dot_q3_K_q8_1PKvPK10block_q8_1RKiEEEvS4_S4_PT_iii.kd
    .uniform_work_group_size: 1
    .uses_dynamic_stack: false
    .vgpr_count:     58
    .vgpr_spill_count: 0
    .wavefront_size: 32
    .workgroup_processor_mode: 1
  - .args:
      - .actual_access:  read_only
        .address_space:  global
        .offset:         0
        .size:           8
        .value_kind:     global_buffer
      - .actual_access:  read_only
        .address_space:  global
        .offset:         8
        .size:           8
        .value_kind:     global_buffer
      - .actual_access:  write_only
        .address_space:  global
        .offset:         16
        .size:           8
        .value_kind:     global_buffer
      - .offset:         24
        .size:           4
        .value_kind:     by_value
      - .offset:         28
        .size:           4
        .value_kind:     by_value
      - .offset:         32
        .size:           4
        .value_kind:     by_value
      - .offset:         40
        .size:           4
        .value_kind:     hidden_block_count_x
      - .offset:         44
        .size:           4
        .value_kind:     hidden_block_count_y
      - .offset:         48
        .size:           4
        .value_kind:     hidden_block_count_z
      - .offset:         52
        .size:           2
        .value_kind:     hidden_group_size_x
      - .offset:         54
        .size:           2
        .value_kind:     hidden_group_size_y
      - .offset:         56
        .size:           2
        .value_kind:     hidden_group_size_z
      - .offset:         58
        .size:           2
        .value_kind:     hidden_remainder_x
      - .offset:         60
        .size:           2
        .value_kind:     hidden_remainder_y
      - .offset:         62
        .size:           2
        .value_kind:     hidden_remainder_z
      - .offset:         80
        .size:           8
        .value_kind:     hidden_global_offset_x
      - .offset:         88
        .size:           8
        .value_kind:     hidden_global_offset_y
      - .offset:         96
        .size:           8
        .value_kind:     hidden_global_offset_z
      - .offset:         104
        .size:           2
        .value_kind:     hidden_grid_dims
    .group_segment_fixed_size: 0
    .kernarg_segment_align: 8
    .kernarg_segment_size: 296
    .language:       OpenCL C
    .language_version:
      - 2
      - 0
    .max_flat_workgroup_size: 1024
    .name:           _ZL13mul_mat_vec_qIN3c108BFloat16ELi256ELi32E10block_q4_KLi2EXadL_ZL17vec_dot_q4_K_q8_1PKvPK10block_q8_1RKiEEEvS4_S4_PT_iii
    .private_segment_fixed_size: 0
    .sgpr_count:     15
    .sgpr_spill_count: 0
    .symbol:         _ZL13mul_mat_vec_qIN3c108BFloat16ELi256ELi32E10block_q4_KLi2EXadL_ZL17vec_dot_q4_K_q8_1PKvPK10block_q8_1RKiEEEvS4_S4_PT_iii.kd
    .uniform_work_group_size: 1
    .uses_dynamic_stack: false
    .vgpr_count:     32
    .vgpr_spill_count: 0
    .wavefront_size: 32
    .workgroup_processor_mode: 1
  - .args:
      - .actual_access:  read_only
        .address_space:  global
        .offset:         0
        .size:           8
        .value_kind:     global_buffer
      - .actual_access:  read_only
        .address_space:  global
        .offset:         8
        .size:           8
        .value_kind:     global_buffer
      - .actual_access:  write_only
        .address_space:  global
        .offset:         16
        .size:           8
        .value_kind:     global_buffer
      - .offset:         24
        .size:           4
        .value_kind:     by_value
      - .offset:         28
        .size:           4
        .value_kind:     by_value
      - .offset:         32
        .size:           4
        .value_kind:     by_value
      - .offset:         40
        .size:           4
        .value_kind:     hidden_block_count_x
      - .offset:         44
        .size:           4
        .value_kind:     hidden_block_count_y
      - .offset:         48
        .size:           4
        .value_kind:     hidden_block_count_z
      - .offset:         52
        .size:           2
        .value_kind:     hidden_group_size_x
      - .offset:         54
        .size:           2
        .value_kind:     hidden_group_size_y
      - .offset:         56
        .size:           2
        .value_kind:     hidden_group_size_z
      - .offset:         58
        .size:           2
        .value_kind:     hidden_remainder_x
      - .offset:         60
        .size:           2
        .value_kind:     hidden_remainder_y
      - .offset:         62
        .size:           2
        .value_kind:     hidden_remainder_z
      - .offset:         80
        .size:           8
        .value_kind:     hidden_global_offset_x
      - .offset:         88
        .size:           8
        .value_kind:     hidden_global_offset_y
      - .offset:         96
        .size:           8
        .value_kind:     hidden_global_offset_z
      - .offset:         104
        .size:           2
        .value_kind:     hidden_grid_dims
    .group_segment_fixed_size: 0
    .kernarg_segment_align: 8
    .kernarg_segment_size: 296
    .language:       OpenCL C
    .language_version:
      - 2
      - 0
    .max_flat_workgroup_size: 1024
    .name:           _ZL13mul_mat_vec_qIN3c108BFloat16ELi256ELi32E10block_q5_KLi2EXadL_ZL17vec_dot_q5_K_q8_1PKvPK10block_q8_1RKiEEEvS4_S4_PT_iii
    .private_segment_fixed_size: 0
    .sgpr_count:     15
    .sgpr_spill_count: 0
    .symbol:         _ZL13mul_mat_vec_qIN3c108BFloat16ELi256ELi32E10block_q5_KLi2EXadL_ZL17vec_dot_q5_K_q8_1PKvPK10block_q8_1RKiEEEvS4_S4_PT_iii.kd
    .uniform_work_group_size: 1
    .uses_dynamic_stack: false
    .vgpr_count:     37
    .vgpr_spill_count: 0
    .wavefront_size: 32
    .workgroup_processor_mode: 1
  - .args:
      - .actual_access:  read_only
        .address_space:  global
        .offset:         0
        .size:           8
        .value_kind:     global_buffer
      - .actual_access:  read_only
        .address_space:  global
        .offset:         8
        .size:           8
        .value_kind:     global_buffer
      - .actual_access:  write_only
        .address_space:  global
        .offset:         16
        .size:           8
        .value_kind:     global_buffer
      - .offset:         24
        .size:           4
        .value_kind:     by_value
      - .offset:         28
        .size:           4
        .value_kind:     by_value
      - .offset:         32
        .size:           4
        .value_kind:     by_value
      - .offset:         40
        .size:           4
        .value_kind:     hidden_block_count_x
      - .offset:         44
        .size:           4
        .value_kind:     hidden_block_count_y
      - .offset:         48
        .size:           4
        .value_kind:     hidden_block_count_z
      - .offset:         52
        .size:           2
        .value_kind:     hidden_group_size_x
      - .offset:         54
        .size:           2
        .value_kind:     hidden_group_size_y
      - .offset:         56
        .size:           2
        .value_kind:     hidden_group_size_z
      - .offset:         58
        .size:           2
        .value_kind:     hidden_remainder_x
      - .offset:         60
        .size:           2
        .value_kind:     hidden_remainder_y
      - .offset:         62
        .size:           2
        .value_kind:     hidden_remainder_z
      - .offset:         80
        .size:           8
        .value_kind:     hidden_global_offset_x
      - .offset:         88
        .size:           8
        .value_kind:     hidden_global_offset_y
      - .offset:         96
        .size:           8
        .value_kind:     hidden_global_offset_z
      - .offset:         104
        .size:           2
        .value_kind:     hidden_grid_dims
    .group_segment_fixed_size: 0
    .kernarg_segment_align: 8
    .kernarg_segment_size: 296
    .language:       OpenCL C
    .language_version:
      - 2
      - 0
    .max_flat_workgroup_size: 1024
    .name:           _ZL13mul_mat_vec_qIN3c108BFloat16ELi256ELi32E10block_q6_KLi1EXadL_ZL17vec_dot_q6_K_q8_1PKvPK10block_q8_1RKiEEEvS4_S4_PT_iii
    .private_segment_fixed_size: 0
    .sgpr_count:     15
    .sgpr_spill_count: 0
    .symbol:         _ZL13mul_mat_vec_qIN3c108BFloat16ELi256ELi32E10block_q6_KLi1EXadL_ZL17vec_dot_q6_K_q8_1PKvPK10block_q8_1RKiEEEvS4_S4_PT_iii.kd
    .uniform_work_group_size: 1
    .uses_dynamic_stack: false
    .vgpr_count:     28
    .vgpr_spill_count: 0
    .wavefront_size: 32
    .workgroup_processor_mode: 1
  - .args:
      - .actual_access:  read_only
        .address_space:  global
        .offset:         0
        .size:           8
        .value_kind:     global_buffer
      - .actual_access:  read_only
        .address_space:  global
        .offset:         8
        .size:           8
        .value_kind:     global_buffer
      - .actual_access:  write_only
        .address_space:  global
        .offset:         16
        .size:           8
        .value_kind:     global_buffer
      - .offset:         24
        .size:           4
        .value_kind:     by_value
      - .offset:         28
        .size:           4
        .value_kind:     by_value
      - .offset:         32
        .size:           4
        .value_kind:     by_value
      - .offset:         40
        .size:           4
        .value_kind:     hidden_block_count_x
      - .offset:         44
        .size:           4
        .value_kind:     hidden_block_count_y
      - .offset:         48
        .size:           4
        .value_kind:     hidden_block_count_z
      - .offset:         52
        .size:           2
        .value_kind:     hidden_group_size_x
      - .offset:         54
        .size:           2
        .value_kind:     hidden_group_size_y
      - .offset:         56
        .size:           2
        .value_kind:     hidden_group_size_z
      - .offset:         58
        .size:           2
        .value_kind:     hidden_remainder_x
      - .offset:         60
        .size:           2
        .value_kind:     hidden_remainder_y
      - .offset:         62
        .size:           2
        .value_kind:     hidden_remainder_z
      - .offset:         80
        .size:           8
        .value_kind:     hidden_global_offset_x
      - .offset:         88
        .size:           8
        .value_kind:     hidden_global_offset_y
      - .offset:         96
        .size:           8
        .value_kind:     hidden_global_offset_z
      - .offset:         104
        .size:           2
        .value_kind:     hidden_grid_dims
    .group_segment_fixed_size: 0
    .kernarg_segment_align: 8
    .kernarg_segment_size: 296
    .language:       OpenCL C
    .language_version:
      - 2
      - 0
    .max_flat_workgroup_size: 1024
    .name:           _ZL13mul_mat_vec_qIN3c108BFloat16ELi256ELi8E13block_iq2_xxsLi1EXadL_ZL20vec_dot_iq2_xxs_q8_1PKvPK10block_q8_1RKiEEEvS4_S4_PT_iii
    .private_segment_fixed_size: 0
    .sgpr_count:     20
    .sgpr_spill_count: 0
    .symbol:         _ZL13mul_mat_vec_qIN3c108BFloat16ELi256ELi8E13block_iq2_xxsLi1EXadL_ZL20vec_dot_iq2_xxs_q8_1PKvPK10block_q8_1RKiEEEvS4_S4_PT_iii.kd
    .uniform_work_group_size: 1
    .uses_dynamic_stack: false
    .vgpr_count:     62
    .vgpr_spill_count: 0
    .wavefront_size: 32
    .workgroup_processor_mode: 1
  - .args:
      - .actual_access:  read_only
        .address_space:  global
        .offset:         0
        .size:           8
        .value_kind:     global_buffer
      - .actual_access:  read_only
        .address_space:  global
        .offset:         8
        .size:           8
        .value_kind:     global_buffer
      - .actual_access:  write_only
        .address_space:  global
        .offset:         16
        .size:           8
        .value_kind:     global_buffer
      - .offset:         24
        .size:           4
        .value_kind:     by_value
      - .offset:         28
        .size:           4
        .value_kind:     by_value
      - .offset:         32
        .size:           4
        .value_kind:     by_value
      - .offset:         40
        .size:           4
        .value_kind:     hidden_block_count_x
      - .offset:         44
        .size:           4
        .value_kind:     hidden_block_count_y
      - .offset:         48
        .size:           4
        .value_kind:     hidden_block_count_z
      - .offset:         52
        .size:           2
        .value_kind:     hidden_group_size_x
      - .offset:         54
        .size:           2
        .value_kind:     hidden_group_size_y
      - .offset:         56
        .size:           2
        .value_kind:     hidden_group_size_z
      - .offset:         58
        .size:           2
        .value_kind:     hidden_remainder_x
      - .offset:         60
        .size:           2
        .value_kind:     hidden_remainder_y
      - .offset:         62
        .size:           2
        .value_kind:     hidden_remainder_z
      - .offset:         80
        .size:           8
        .value_kind:     hidden_global_offset_x
      - .offset:         88
        .size:           8
        .value_kind:     hidden_global_offset_y
      - .offset:         96
        .size:           8
        .value_kind:     hidden_global_offset_z
      - .offset:         104
        .size:           2
        .value_kind:     hidden_grid_dims
    .group_segment_fixed_size: 0
    .kernarg_segment_align: 8
    .kernarg_segment_size: 296
    .language:       OpenCL C
    .language_version:
      - 2
      - 0
    .max_flat_workgroup_size: 1024
    .name:           _ZL13mul_mat_vec_qIN3c108BFloat16ELi256ELi8E12block_iq2_xsLi1EXadL_ZL19vec_dot_iq2_xs_q8_1PKvPK10block_q8_1RKiEEEvS4_S4_PT_iii
    .private_segment_fixed_size: 0
    .sgpr_count:     15
    .sgpr_spill_count: 0
    .symbol:         _ZL13mul_mat_vec_qIN3c108BFloat16ELi256ELi8E12block_iq2_xsLi1EXadL_ZL19vec_dot_iq2_xs_q8_1PKvPK10block_q8_1RKiEEEvS4_S4_PT_iii.kd
    .uniform_work_group_size: 1
    .uses_dynamic_stack: false
    .vgpr_count:     36
    .vgpr_spill_count: 0
    .wavefront_size: 32
    .workgroup_processor_mode: 1
  - .args:
      - .actual_access:  read_only
        .address_space:  global
        .offset:         0
        .size:           8
        .value_kind:     global_buffer
      - .actual_access:  read_only
        .address_space:  global
        .offset:         8
        .size:           8
        .value_kind:     global_buffer
      - .actual_access:  write_only
        .address_space:  global
        .offset:         16
        .size:           8
        .value_kind:     global_buffer
      - .offset:         24
        .size:           4
        .value_kind:     by_value
      - .offset:         28
        .size:           4
        .value_kind:     by_value
      - .offset:         32
        .size:           4
        .value_kind:     by_value
      - .offset:         40
        .size:           4
        .value_kind:     hidden_block_count_x
      - .offset:         44
        .size:           4
        .value_kind:     hidden_block_count_y
      - .offset:         48
        .size:           4
        .value_kind:     hidden_block_count_z
      - .offset:         52
        .size:           2
        .value_kind:     hidden_group_size_x
      - .offset:         54
        .size:           2
        .value_kind:     hidden_group_size_y
      - .offset:         56
        .size:           2
        .value_kind:     hidden_group_size_z
      - .offset:         58
        .size:           2
        .value_kind:     hidden_remainder_x
      - .offset:         60
        .size:           2
        .value_kind:     hidden_remainder_y
      - .offset:         62
        .size:           2
        .value_kind:     hidden_remainder_z
      - .offset:         80
        .size:           8
        .value_kind:     hidden_global_offset_x
      - .offset:         88
        .size:           8
        .value_kind:     hidden_global_offset_y
      - .offset:         96
        .size:           8
        .value_kind:     hidden_global_offset_z
      - .offset:         104
        .size:           2
        .value_kind:     hidden_grid_dims
    .group_segment_fixed_size: 0
    .kernarg_segment_align: 8
    .kernarg_segment_size: 296
    .language:       OpenCL C
    .language_version:
      - 2
      - 0
    .max_flat_workgroup_size: 1024
    .name:           _ZL13mul_mat_vec_qIN3c108BFloat16ELi256ELi8E13block_iq3_xxsLi1EXadL_ZL20vec_dot_iq3_xxs_q8_1PKvPK10block_q8_1RKiEEEvS4_S4_PT_iii
    .private_segment_fixed_size: 0
    .sgpr_count:     15
    .sgpr_spill_count: 0
    .symbol:         _ZL13mul_mat_vec_qIN3c108BFloat16ELi256ELi8E13block_iq3_xxsLi1EXadL_ZL20vec_dot_iq3_xxs_q8_1PKvPK10block_q8_1RKiEEEvS4_S4_PT_iii.kd
    .uniform_work_group_size: 1
    .uses_dynamic_stack: false
    .vgpr_count:     62
    .vgpr_spill_count: 0
    .wavefront_size: 32
    .workgroup_processor_mode: 1
  - .args:
      - .actual_access:  read_only
        .address_space:  global
        .offset:         0
        .size:           8
        .value_kind:     global_buffer
      - .actual_access:  read_only
        .address_space:  global
        .offset:         8
        .size:           8
        .value_kind:     global_buffer
      - .actual_access:  write_only
        .address_space:  global
        .offset:         16
        .size:           8
        .value_kind:     global_buffer
      - .offset:         24
        .size:           4
        .value_kind:     by_value
      - .offset:         28
        .size:           4
        .value_kind:     by_value
      - .offset:         32
        .size:           4
        .value_kind:     by_value
      - .offset:         40
        .size:           4
        .value_kind:     hidden_block_count_x
      - .offset:         44
        .size:           4
        .value_kind:     hidden_block_count_y
      - .offset:         48
        .size:           4
        .value_kind:     hidden_block_count_z
      - .offset:         52
        .size:           2
        .value_kind:     hidden_group_size_x
      - .offset:         54
        .size:           2
        .value_kind:     hidden_group_size_y
      - .offset:         56
        .size:           2
        .value_kind:     hidden_group_size_z
      - .offset:         58
        .size:           2
        .value_kind:     hidden_remainder_x
      - .offset:         60
        .size:           2
        .value_kind:     hidden_remainder_y
      - .offset:         62
        .size:           2
        .value_kind:     hidden_remainder_z
      - .offset:         80
        .size:           8
        .value_kind:     hidden_global_offset_x
      - .offset:         88
        .size:           8
        .value_kind:     hidden_global_offset_y
      - .offset:         96
        .size:           8
        .value_kind:     hidden_global_offset_z
      - .offset:         104
        .size:           2
        .value_kind:     hidden_grid_dims
    .group_segment_fixed_size: 0
    .kernarg_segment_align: 8
    .kernarg_segment_size: 296
    .language:       OpenCL C
    .language_version:
      - 2
      - 0
    .max_flat_workgroup_size: 1024
    .name:           _ZL13mul_mat_vec_qIN3c108BFloat16ELi256ELi8E11block_iq1_sLi1EXadL_ZL18vec_dot_iq1_s_q8_1PKvPK10block_q8_1RKiEEEvS4_S4_PT_iii
    .private_segment_fixed_size: 0
    .sgpr_count:     15
    .sgpr_spill_count: 0
    .symbol:         _ZL13mul_mat_vec_qIN3c108BFloat16ELi256ELi8E11block_iq1_sLi1EXadL_ZL18vec_dot_iq1_s_q8_1PKvPK10block_q8_1RKiEEEvS4_S4_PT_iii.kd
    .uniform_work_group_size: 1
    .uses_dynamic_stack: false
    .vgpr_count:     27
    .vgpr_spill_count: 0
    .wavefront_size: 32
    .workgroup_processor_mode: 1
  - .args:
      - .actual_access:  read_only
        .address_space:  global
        .offset:         0
        .size:           8
        .value_kind:     global_buffer
      - .actual_access:  read_only
        .address_space:  global
        .offset:         8
        .size:           8
        .value_kind:     global_buffer
      - .actual_access:  write_only
        .address_space:  global
        .offset:         16
        .size:           8
        .value_kind:     global_buffer
      - .offset:         24
        .size:           4
        .value_kind:     by_value
      - .offset:         28
        .size:           4
        .value_kind:     by_value
      - .offset:         32
        .size:           4
        .value_kind:     by_value
      - .offset:         40
        .size:           4
        .value_kind:     hidden_block_count_x
      - .offset:         44
        .size:           4
        .value_kind:     hidden_block_count_y
      - .offset:         48
        .size:           4
        .value_kind:     hidden_block_count_z
      - .offset:         52
        .size:           2
        .value_kind:     hidden_group_size_x
      - .offset:         54
        .size:           2
        .value_kind:     hidden_group_size_y
      - .offset:         56
        .size:           2
        .value_kind:     hidden_group_size_z
      - .offset:         58
        .size:           2
        .value_kind:     hidden_remainder_x
      - .offset:         60
        .size:           2
        .value_kind:     hidden_remainder_y
      - .offset:         62
        .size:           2
        .value_kind:     hidden_remainder_z
      - .offset:         80
        .size:           8
        .value_kind:     hidden_global_offset_x
      - .offset:         88
        .size:           8
        .value_kind:     hidden_global_offset_y
      - .offset:         96
        .size:           8
        .value_kind:     hidden_global_offset_z
      - .offset:         104
        .size:           2
        .value_kind:     hidden_grid_dims
    .group_segment_fixed_size: 0
    .kernarg_segment_align: 8
    .kernarg_segment_size: 296
    .language:       OpenCL C
    .language_version:
      - 2
      - 0
    .max_flat_workgroup_size: 1024
    .name:           _ZL13mul_mat_vec_qIN3c108BFloat16ELi32ELi4E12block_iq4_nlLi2EXadL_ZL19vec_dot_iq4_nl_q8_1PKvPK10block_q8_1RKiEEEvS4_S4_PT_iii
    .private_segment_fixed_size: 0
    .sgpr_count:     18
    .sgpr_spill_count: 0
    .symbol:         _ZL13mul_mat_vec_qIN3c108BFloat16ELi32ELi4E12block_iq4_nlLi2EXadL_ZL19vec_dot_iq4_nl_q8_1PKvPK10block_q8_1RKiEEEvS4_S4_PT_iii.kd
    .uniform_work_group_size: 1
    .uses_dynamic_stack: false
    .vgpr_count:     31
    .vgpr_spill_count: 0
    .wavefront_size: 32
    .workgroup_processor_mode: 1
  - .args:
      - .actual_access:  read_only
        .address_space:  global
        .offset:         0
        .size:           8
        .value_kind:     global_buffer
      - .actual_access:  read_only
        .address_space:  global
        .offset:         8
        .size:           8
        .value_kind:     global_buffer
      - .actual_access:  write_only
        .address_space:  global
        .offset:         16
        .size:           8
        .value_kind:     global_buffer
      - .offset:         24
        .size:           4
        .value_kind:     by_value
      - .offset:         28
        .size:           4
        .value_kind:     by_value
      - .offset:         32
        .size:           4
        .value_kind:     by_value
      - .offset:         40
        .size:           4
        .value_kind:     hidden_block_count_x
      - .offset:         44
        .size:           4
        .value_kind:     hidden_block_count_y
      - .offset:         48
        .size:           4
        .value_kind:     hidden_block_count_z
      - .offset:         52
        .size:           2
        .value_kind:     hidden_group_size_x
      - .offset:         54
        .size:           2
        .value_kind:     hidden_group_size_y
      - .offset:         56
        .size:           2
        .value_kind:     hidden_group_size_z
      - .offset:         58
        .size:           2
        .value_kind:     hidden_remainder_x
      - .offset:         60
        .size:           2
        .value_kind:     hidden_remainder_y
      - .offset:         62
        .size:           2
        .value_kind:     hidden_remainder_z
      - .offset:         80
        .size:           8
        .value_kind:     hidden_global_offset_x
      - .offset:         88
        .size:           8
        .value_kind:     hidden_global_offset_y
      - .offset:         96
        .size:           8
        .value_kind:     hidden_global_offset_z
      - .offset:         104
        .size:           2
        .value_kind:     hidden_grid_dims
    .group_segment_fixed_size: 0
    .kernarg_segment_align: 8
    .kernarg_segment_size: 296
    .language:       OpenCL C
    .language_version:
      - 2
      - 0
    .max_flat_workgroup_size: 1024
    .name:           _ZL13mul_mat_vec_qIN3c108BFloat16ELi256ELi8E11block_iq3_sLi1EXadL_ZL18vec_dot_iq3_s_q8_1PKvPK10block_q8_1RKiEEEvS4_S4_PT_iii
    .private_segment_fixed_size: 0
    .sgpr_count:     16
    .sgpr_spill_count: 0
    .symbol:         _ZL13mul_mat_vec_qIN3c108BFloat16ELi256ELi8E11block_iq3_sLi1EXadL_ZL18vec_dot_iq3_s_q8_1PKvPK10block_q8_1RKiEEEvS4_S4_PT_iii.kd
    .uniform_work_group_size: 1
    .uses_dynamic_stack: false
    .vgpr_count:     42
    .vgpr_spill_count: 0
    .wavefront_size: 32
    .workgroup_processor_mode: 1
  - .args:
      - .actual_access:  read_only
        .address_space:  global
        .offset:         0
        .size:           8
        .value_kind:     global_buffer
      - .actual_access:  read_only
        .address_space:  global
        .offset:         8
        .size:           8
        .value_kind:     global_buffer
      - .actual_access:  write_only
        .address_space:  global
        .offset:         16
        .size:           8
        .value_kind:     global_buffer
      - .offset:         24
        .size:           4
        .value_kind:     by_value
      - .offset:         28
        .size:           4
        .value_kind:     by_value
      - .offset:         32
        .size:           4
        .value_kind:     by_value
      - .offset:         40
        .size:           4
        .value_kind:     hidden_block_count_x
      - .offset:         44
        .size:           4
        .value_kind:     hidden_block_count_y
      - .offset:         48
        .size:           4
        .value_kind:     hidden_block_count_z
      - .offset:         52
        .size:           2
        .value_kind:     hidden_group_size_x
      - .offset:         54
        .size:           2
        .value_kind:     hidden_group_size_y
      - .offset:         56
        .size:           2
        .value_kind:     hidden_group_size_z
      - .offset:         58
        .size:           2
        .value_kind:     hidden_remainder_x
      - .offset:         60
        .size:           2
        .value_kind:     hidden_remainder_y
      - .offset:         62
        .size:           2
        .value_kind:     hidden_remainder_z
      - .offset:         80
        .size:           8
        .value_kind:     hidden_global_offset_x
      - .offset:         88
        .size:           8
        .value_kind:     hidden_global_offset_y
      - .offset:         96
        .size:           8
        .value_kind:     hidden_global_offset_z
      - .offset:         104
        .size:           2
        .value_kind:     hidden_grid_dims
    .group_segment_fixed_size: 0
    .kernarg_segment_align: 8
    .kernarg_segment_size: 296
    .language:       OpenCL C
    .language_version:
      - 2
      - 0
    .max_flat_workgroup_size: 1024
    .name:           _ZL13mul_mat_vec_qIN3c108BFloat16ELi256ELi8E11block_iq2_sLi1EXadL_ZL18vec_dot_iq2_s_q8_1PKvPK10block_q8_1RKiEEEvS4_S4_PT_iii
    .private_segment_fixed_size: 0
    .sgpr_count:     15
    .sgpr_spill_count: 0
    .symbol:         _ZL13mul_mat_vec_qIN3c108BFloat16ELi256ELi8E11block_iq2_sLi1EXadL_ZL18vec_dot_iq2_s_q8_1PKvPK10block_q8_1RKiEEEvS4_S4_PT_iii.kd
    .uniform_work_group_size: 1
    .uses_dynamic_stack: false
    .vgpr_count:     64
    .vgpr_spill_count: 0
    .wavefront_size: 32
    .workgroup_processor_mode: 1
  - .args:
      - .actual_access:  read_only
        .address_space:  global
        .offset:         0
        .size:           8
        .value_kind:     global_buffer
      - .actual_access:  read_only
        .address_space:  global
        .offset:         8
        .size:           8
        .value_kind:     global_buffer
      - .actual_access:  write_only
        .address_space:  global
        .offset:         16
        .size:           8
        .value_kind:     global_buffer
      - .offset:         24
        .size:           4
        .value_kind:     by_value
      - .offset:         28
        .size:           4
        .value_kind:     by_value
      - .offset:         32
        .size:           4
        .value_kind:     by_value
      - .offset:         40
        .size:           4
        .value_kind:     hidden_block_count_x
      - .offset:         44
        .size:           4
        .value_kind:     hidden_block_count_y
      - .offset:         48
        .size:           4
        .value_kind:     hidden_block_count_z
      - .offset:         52
        .size:           2
        .value_kind:     hidden_group_size_x
      - .offset:         54
        .size:           2
        .value_kind:     hidden_group_size_y
      - .offset:         56
        .size:           2
        .value_kind:     hidden_group_size_z
      - .offset:         58
        .size:           2
        .value_kind:     hidden_remainder_x
      - .offset:         60
        .size:           2
        .value_kind:     hidden_remainder_y
      - .offset:         62
        .size:           2
        .value_kind:     hidden_remainder_z
      - .offset:         80
        .size:           8
        .value_kind:     hidden_global_offset_x
      - .offset:         88
        .size:           8
        .value_kind:     hidden_global_offset_y
      - .offset:         96
        .size:           8
        .value_kind:     hidden_global_offset_z
      - .offset:         104
        .size:           2
        .value_kind:     hidden_grid_dims
    .group_segment_fixed_size: 0
    .kernarg_segment_align: 8
    .kernarg_segment_size: 296
    .language:       OpenCL C
    .language_version:
      - 2
      - 0
    .max_flat_workgroup_size: 1024
    .name:           _ZL13mul_mat_vec_qIN3c108BFloat16ELi256ELi8E12block_iq4_xsLi1EXadL_ZL19vec_dot_iq4_xs_q8_1PKvPK10block_q8_1RKiEEEvS4_S4_PT_iii
    .private_segment_fixed_size: 0
    .sgpr_count:     15
    .sgpr_spill_count: 0
    .symbol:         _ZL13mul_mat_vec_qIN3c108BFloat16ELi256ELi8E12block_iq4_xsLi1EXadL_ZL19vec_dot_iq4_xs_q8_1PKvPK10block_q8_1RKiEEEvS4_S4_PT_iii.kd
    .uniform_work_group_size: 1
    .uses_dynamic_stack: false
    .vgpr_count:     58
    .vgpr_spill_count: 0
    .wavefront_size: 32
    .workgroup_processor_mode: 1
  - .args:
      - .actual_access:  read_only
        .address_space:  global
        .offset:         0
        .size:           8
        .value_kind:     global_buffer
      - .actual_access:  read_only
        .address_space:  global
        .offset:         8
        .size:           8
        .value_kind:     global_buffer
      - .actual_access:  write_only
        .address_space:  global
        .offset:         16
        .size:           8
        .value_kind:     global_buffer
      - .offset:         24
        .size:           4
        .value_kind:     by_value
      - .offset:         28
        .size:           4
        .value_kind:     by_value
      - .offset:         32
        .size:           4
        .value_kind:     by_value
      - .offset:         40
        .size:           4
        .value_kind:     hidden_block_count_x
      - .offset:         44
        .size:           4
        .value_kind:     hidden_block_count_y
      - .offset:         48
        .size:           4
        .value_kind:     hidden_block_count_z
      - .offset:         52
        .size:           2
        .value_kind:     hidden_group_size_x
      - .offset:         54
        .size:           2
        .value_kind:     hidden_group_size_y
      - .offset:         56
        .size:           2
        .value_kind:     hidden_group_size_z
      - .offset:         58
        .size:           2
        .value_kind:     hidden_remainder_x
      - .offset:         60
        .size:           2
        .value_kind:     hidden_remainder_y
      - .offset:         62
        .size:           2
        .value_kind:     hidden_remainder_z
      - .offset:         80
        .size:           8
        .value_kind:     hidden_global_offset_x
      - .offset:         88
        .size:           8
        .value_kind:     hidden_global_offset_y
      - .offset:         96
        .size:           8
        .value_kind:     hidden_global_offset_z
      - .offset:         104
        .size:           2
        .value_kind:     hidden_grid_dims
    .group_segment_fixed_size: 0
    .kernarg_segment_align: 8
    .kernarg_segment_size: 296
    .language:       OpenCL C
    .language_version:
      - 2
      - 0
    .max_flat_workgroup_size: 1024
    .name:           _ZL13mul_mat_vec_qIN3c108BFloat16ELi256ELi8E11block_iq1_mLi1EXadL_ZL18vec_dot_iq1_m_q8_1PKvPK10block_q8_1RKiEEEvS4_S4_PT_iii
    .private_segment_fixed_size: 0
    .sgpr_count:     15
    .sgpr_spill_count: 0
    .symbol:         _ZL13mul_mat_vec_qIN3c108BFloat16ELi256ELi8E11block_iq1_mLi1EXadL_ZL18vec_dot_iq1_m_q8_1PKvPK10block_q8_1RKiEEEvS4_S4_PT_iii.kd
    .uniform_work_group_size: 1
    .uses_dynamic_stack: false
    .vgpr_count:     43
    .vgpr_spill_count: 0
    .wavefront_size: 32
    .workgroup_processor_mode: 1
  - .args:
      - .actual_access:  read_only
        .address_space:  global
        .offset:         0
        .size:           8
        .value_kind:     global_buffer
      - .actual_access:  read_only
        .address_space:  global
        .offset:         8
        .size:           8
        .value_kind:     global_buffer
      - .actual_access:  write_only
        .address_space:  global
        .offset:         16
        .size:           8
        .value_kind:     global_buffer
      - .offset:         24
        .size:           4
        .value_kind:     by_value
      - .offset:         28
        .size:           4
        .value_kind:     by_value
      - .offset:         32
        .size:           4
        .value_kind:     by_value
      - .offset:         36
        .size:           4
        .value_kind:     by_value
      - .offset:         40
        .size:           4
        .value_kind:     by_value
    .group_segment_fixed_size: 30336
    .kernarg_segment_align: 8
    .kernarg_segment_size: 44
    .language:       OpenCL C
    .language_version:
      - 2
      - 0
    .max_flat_workgroup_size: 256
    .name:           _ZL12mul_mat_q4_0IfLb0EEvPKvS1_PT_iiiii
    .private_segment_fixed_size: 0
    .sgpr_count:     17
    .sgpr_spill_count: 0
    .symbol:         _ZL12mul_mat_q4_0IfLb0EEvPKvS1_PT_iiiii.kd
    .uniform_work_group_size: 1
    .uses_dynamic_stack: false
    .vgpr_count:     163
    .vgpr_spill_count: 0
    .wavefront_size: 32
    .workgroup_processor_mode: 1
  - .args:
      - .actual_access:  read_only
        .address_space:  global
        .offset:         0
        .size:           8
        .value_kind:     global_buffer
      - .actual_access:  read_only
        .address_space:  global
        .offset:         8
        .size:           8
        .value_kind:     global_buffer
      - .actual_access:  write_only
        .address_space:  global
        .offset:         16
        .size:           8
        .value_kind:     global_buffer
      - .offset:         24
        .size:           4
        .value_kind:     by_value
      - .offset:         28
        .size:           4
        .value_kind:     by_value
      - .offset:         32
        .size:           4
        .value_kind:     by_value
      - .offset:         36
        .size:           4
        .value_kind:     by_value
      - .offset:         40
        .size:           4
        .value_kind:     by_value
    .group_segment_fixed_size: 30336
    .kernarg_segment_align: 8
    .kernarg_segment_size: 44
    .language:       OpenCL C
    .language_version:
      - 2
      - 0
    .max_flat_workgroup_size: 256
    .name:           _ZL12mul_mat_q4_0IfLb1EEvPKvS1_PT_iiiii
    .private_segment_fixed_size: 0
    .sgpr_count:     17
    .sgpr_spill_count: 0
    .symbol:         _ZL12mul_mat_q4_0IfLb1EEvPKvS1_PT_iiiii.kd
    .uniform_work_group_size: 1
    .uses_dynamic_stack: false
    .vgpr_count:     169
    .vgpr_spill_count: 0
    .wavefront_size: 32
    .workgroup_processor_mode: 1
  - .args:
      - .actual_access:  read_only
        .address_space:  global
        .offset:         0
        .size:           8
        .value_kind:     global_buffer
      - .actual_access:  read_only
        .address_space:  global
        .offset:         8
        .size:           8
        .value_kind:     global_buffer
      - .actual_access:  write_only
        .address_space:  global
        .offset:         16
        .size:           8
        .value_kind:     global_buffer
      - .offset:         24
        .size:           4
        .value_kind:     by_value
      - .offset:         28
        .size:           4
        .value_kind:     by_value
      - .offset:         32
        .size:           4
        .value_kind:     by_value
      - .offset:         36
        .size:           4
        .value_kind:     by_value
      - .offset:         40
        .size:           4
        .value_kind:     by_value
    .group_segment_fixed_size: 30336
    .kernarg_segment_align: 8
    .kernarg_segment_size: 44
    .language:       OpenCL C
    .language_version:
      - 2
      - 0
    .max_flat_workgroup_size: 256
    .name:           _ZL12mul_mat_q4_1IfLb0EEvPKvS1_PT_iiiii
    .private_segment_fixed_size: 0
    .sgpr_count:     17
    .sgpr_spill_count: 0
    .symbol:         _ZL12mul_mat_q4_1IfLb0EEvPKvS1_PT_iiiii.kd
    .uniform_work_group_size: 1
    .uses_dynamic_stack: false
    .vgpr_count:     163
    .vgpr_spill_count: 0
    .wavefront_size: 32
    .workgroup_processor_mode: 1
  - .args:
      - .actual_access:  read_only
        .address_space:  global
        .offset:         0
        .size:           8
        .value_kind:     global_buffer
      - .actual_access:  read_only
        .address_space:  global
        .offset:         8
        .size:           8
        .value_kind:     global_buffer
      - .actual_access:  write_only
        .address_space:  global
        .offset:         16
        .size:           8
        .value_kind:     global_buffer
      - .offset:         24
        .size:           4
        .value_kind:     by_value
      - .offset:         28
        .size:           4
        .value_kind:     by_value
      - .offset:         32
        .size:           4
        .value_kind:     by_value
      - .offset:         36
        .size:           4
        .value_kind:     by_value
      - .offset:         40
        .size:           4
        .value_kind:     by_value
    .group_segment_fixed_size: 30336
    .kernarg_segment_align: 8
    .kernarg_segment_size: 44
    .language:       OpenCL C
    .language_version:
      - 2
      - 0
    .max_flat_workgroup_size: 256
    .name:           _ZL12mul_mat_q4_1IfLb1EEvPKvS1_PT_iiiii
    .private_segment_fixed_size: 0
    .sgpr_count:     17
    .sgpr_spill_count: 0
    .symbol:         _ZL12mul_mat_q4_1IfLb1EEvPKvS1_PT_iiiii.kd
    .uniform_work_group_size: 1
    .uses_dynamic_stack: false
    .vgpr_count:     169
    .vgpr_spill_count: 0
    .wavefront_size: 32
    .workgroup_processor_mode: 1
  - .args:
      - .actual_access:  read_only
        .address_space:  global
        .offset:         0
        .size:           8
        .value_kind:     global_buffer
      - .actual_access:  read_only
        .address_space:  global
        .offset:         8
        .size:           8
        .value_kind:     global_buffer
      - .actual_access:  write_only
        .address_space:  global
        .offset:         16
        .size:           8
        .value_kind:     global_buffer
      - .offset:         24
        .size:           4
        .value_kind:     by_value
      - .offset:         28
        .size:           4
        .value_kind:     by_value
      - .offset:         32
        .size:           4
        .value_kind:     by_value
      - .offset:         36
        .size:           4
        .value_kind:     by_value
      - .offset:         40
        .size:           4
        .value_kind:     by_value
    .group_segment_fixed_size: 46720
    .kernarg_segment_align: 8
    .kernarg_segment_size: 44
    .language:       OpenCL C
    .language_version:
      - 2
      - 0
    .max_flat_workgroup_size: 256
    .name:           _ZL12mul_mat_q5_0IfLb0EEvPKvS1_PT_iiiii
    .private_segment_fixed_size: 0
    .sgpr_count:     17
    .sgpr_spill_count: 0
    .symbol:         _ZL12mul_mat_q5_0IfLb0EEvPKvS1_PT_iiiii.kd
    .uniform_work_group_size: 1
    .uses_dynamic_stack: false
    .vgpr_count:     200
    .vgpr_spill_count: 0
    .wavefront_size: 32
    .workgroup_processor_mode: 1
  - .args:
      - .actual_access:  read_only
        .address_space:  global
        .offset:         0
        .size:           8
        .value_kind:     global_buffer
      - .actual_access:  read_only
        .address_space:  global
        .offset:         8
        .size:           8
        .value_kind:     global_buffer
      - .actual_access:  write_only
        .address_space:  global
        .offset:         16
        .size:           8
        .value_kind:     global_buffer
      - .offset:         24
        .size:           4
        .value_kind:     by_value
      - .offset:         28
        .size:           4
        .value_kind:     by_value
      - .offset:         32
        .size:           4
        .value_kind:     by_value
      - .offset:         36
        .size:           4
        .value_kind:     by_value
      - .offset:         40
        .size:           4
        .value_kind:     by_value
    .group_segment_fixed_size: 46720
    .kernarg_segment_align: 8
    .kernarg_segment_size: 44
    .language:       OpenCL C
    .language_version:
      - 2
      - 0
    .max_flat_workgroup_size: 256
    .name:           _ZL12mul_mat_q5_0IfLb1EEvPKvS1_PT_iiiii
    .private_segment_fixed_size: 0
    .sgpr_count:     17
    .sgpr_spill_count: 0
    .symbol:         _ZL12mul_mat_q5_0IfLb1EEvPKvS1_PT_iiiii.kd
    .uniform_work_group_size: 1
    .uses_dynamic_stack: false
    .vgpr_count:     200
    .vgpr_spill_count: 0
    .wavefront_size: 32
    .workgroup_processor_mode: 1
  - .args:
      - .actual_access:  read_only
        .address_space:  global
        .offset:         0
        .size:           8
        .value_kind:     global_buffer
      - .actual_access:  read_only
        .address_space:  global
        .offset:         8
        .size:           8
        .value_kind:     global_buffer
      - .actual_access:  write_only
        .address_space:  global
        .offset:         16
        .size:           8
        .value_kind:     global_buffer
      - .offset:         24
        .size:           4
        .value_kind:     by_value
      - .offset:         28
        .size:           4
        .value_kind:     by_value
      - .offset:         32
        .size:           4
        .value_kind:     by_value
      - .offset:         36
        .size:           4
        .value_kind:     by_value
      - .offset:         40
        .size:           4
        .value_kind:     by_value
    .group_segment_fixed_size: 46720
    .kernarg_segment_align: 8
    .kernarg_segment_size: 44
    .language:       OpenCL C
    .language_version:
      - 2
      - 0
    .max_flat_workgroup_size: 256
    .name:           _ZL12mul_mat_q5_1IfLb0EEvPKvS1_PT_iiiii
    .private_segment_fixed_size: 0
    .sgpr_count:     17
    .sgpr_spill_count: 0
    .symbol:         _ZL12mul_mat_q5_1IfLb0EEvPKvS1_PT_iiiii.kd
    .uniform_work_group_size: 1
    .uses_dynamic_stack: false
    .vgpr_count:     222
    .vgpr_spill_count: 0
    .wavefront_size: 32
    .workgroup_processor_mode: 1
  - .args:
      - .actual_access:  read_only
        .address_space:  global
        .offset:         0
        .size:           8
        .value_kind:     global_buffer
      - .actual_access:  read_only
        .address_space:  global
        .offset:         8
        .size:           8
        .value_kind:     global_buffer
      - .actual_access:  write_only
        .address_space:  global
        .offset:         16
        .size:           8
        .value_kind:     global_buffer
      - .offset:         24
        .size:           4
        .value_kind:     by_value
      - .offset:         28
        .size:           4
        .value_kind:     by_value
      - .offset:         32
        .size:           4
        .value_kind:     by_value
      - .offset:         36
        .size:           4
        .value_kind:     by_value
      - .offset:         40
        .size:           4
        .value_kind:     by_value
    .group_segment_fixed_size: 46720
    .kernarg_segment_align: 8
    .kernarg_segment_size: 44
    .language:       OpenCL C
    .language_version:
      - 2
      - 0
    .max_flat_workgroup_size: 256
    .name:           _ZL12mul_mat_q5_1IfLb1EEvPKvS1_PT_iiiii
    .private_segment_fixed_size: 0
    .sgpr_count:     17
    .sgpr_spill_count: 0
    .symbol:         _ZL12mul_mat_q5_1IfLb1EEvPKvS1_PT_iiiii.kd
    .uniform_work_group_size: 1
    .uses_dynamic_stack: false
    .vgpr_count:     222
    .vgpr_spill_count: 0
    .wavefront_size: 32
    .workgroup_processor_mode: 1
  - .args:
      - .actual_access:  read_only
        .address_space:  global
        .offset:         0
        .size:           8
        .value_kind:     global_buffer
      - .actual_access:  read_only
        .address_space:  global
        .offset:         8
        .size:           8
        .value_kind:     global_buffer
      - .actual_access:  write_only
        .address_space:  global
        .offset:         16
        .size:           8
        .value_kind:     global_buffer
      - .offset:         24
        .size:           4
        .value_kind:     by_value
      - .offset:         28
        .size:           4
        .value_kind:     by_value
      - .offset:         32
        .size:           4
        .value_kind:     by_value
      - .offset:         36
        .size:           4
        .value_kind:     by_value
      - .offset:         40
        .size:           4
        .value_kind:     by_value
    .group_segment_fixed_size: 28224
    .kernarg_segment_align: 8
    .kernarg_segment_size: 44
    .language:       OpenCL C
    .language_version:
      - 2
      - 0
    .max_flat_workgroup_size: 256
    .name:           _ZL12mul_mat_q8_0IfLb0EEvPKvS1_PT_iiiii
    .private_segment_fixed_size: 0
    .sgpr_count:     17
    .sgpr_spill_count: 0
    .symbol:         _ZL12mul_mat_q8_0IfLb0EEvPKvS1_PT_iiiii.kd
    .uniform_work_group_size: 1
    .uses_dynamic_stack: false
    .vgpr_count:     143
    .vgpr_spill_count: 0
    .wavefront_size: 32
    .workgroup_processor_mode: 1
  - .args:
      - .actual_access:  read_only
        .address_space:  global
        .offset:         0
        .size:           8
        .value_kind:     global_buffer
      - .actual_access:  read_only
        .address_space:  global
        .offset:         8
        .size:           8
        .value_kind:     global_buffer
      - .actual_access:  write_only
        .address_space:  global
        .offset:         16
        .size:           8
        .value_kind:     global_buffer
      - .offset:         24
        .size:           4
        .value_kind:     by_value
      - .offset:         28
        .size:           4
        .value_kind:     by_value
      - .offset:         32
        .size:           4
        .value_kind:     by_value
      - .offset:         36
        .size:           4
        .value_kind:     by_value
      - .offset:         40
        .size:           4
        .value_kind:     by_value
    .group_segment_fixed_size: 28224
    .kernarg_segment_align: 8
    .kernarg_segment_size: 44
    .language:       OpenCL C
    .language_version:
      - 2
      - 0
    .max_flat_workgroup_size: 256
    .name:           _ZL12mul_mat_q8_0IfLb1EEvPKvS1_PT_iiiii
    .private_segment_fixed_size: 0
    .sgpr_count:     17
    .sgpr_spill_count: 0
    .symbol:         _ZL12mul_mat_q8_0IfLb1EEvPKvS1_PT_iiiii.kd
    .uniform_work_group_size: 1
    .uses_dynamic_stack: false
    .vgpr_count:     156
    .vgpr_spill_count: 0
    .wavefront_size: 32
    .workgroup_processor_mode: 1
  - .args:
      - .actual_access:  read_only
        .address_space:  global
        .offset:         0
        .size:           8
        .value_kind:     global_buffer
      - .actual_access:  read_only
        .address_space:  global
        .offset:         8
        .size:           8
        .value_kind:     global_buffer
      - .actual_access:  write_only
        .address_space:  global
        .offset:         16
        .size:           8
        .value_kind:     global_buffer
      - .offset:         24
        .size:           4
        .value_kind:     by_value
      - .offset:         28
        .size:           4
        .value_kind:     by_value
      - .offset:         32
        .size:           4
        .value_kind:     by_value
      - .offset:         36
        .size:           4
        .value_kind:     by_value
      - .offset:         40
        .size:           4
        .value_kind:     by_value
    .group_segment_fixed_size: 31392
    .kernarg_segment_align: 8
    .kernarg_segment_size: 44
    .language:       OpenCL C
    .language_version:
      - 2
      - 0
    .max_flat_workgroup_size: 256
    .name:           _ZL12mul_mat_q2_KIfLb0EEvPKvS1_PT_iiiii
    .private_segment_fixed_size: 12
    .sgpr_count:     22
    .sgpr_spill_count: 0
    .symbol:         _ZL12mul_mat_q2_KIfLb0EEvPKvS1_PT_iiiii.kd
    .uniform_work_group_size: 1
    .uses_dynamic_stack: false
    .vgpr_count:     256
    .vgpr_spill_count: 2
    .wavefront_size: 32
    .workgroup_processor_mode: 1
  - .args:
      - .actual_access:  read_only
        .address_space:  global
        .offset:         0
        .size:           8
        .value_kind:     global_buffer
      - .actual_access:  read_only
        .address_space:  global
        .offset:         8
        .size:           8
        .value_kind:     global_buffer
      - .actual_access:  write_only
        .address_space:  global
        .offset:         16
        .size:           8
        .value_kind:     global_buffer
      - .offset:         24
        .size:           4
        .value_kind:     by_value
      - .offset:         28
        .size:           4
        .value_kind:     by_value
      - .offset:         32
        .size:           4
        .value_kind:     by_value
      - .offset:         36
        .size:           4
        .value_kind:     by_value
      - .offset:         40
        .size:           4
        .value_kind:     by_value
    .group_segment_fixed_size: 31392
    .kernarg_segment_align: 8
    .kernarg_segment_size: 44
    .language:       OpenCL C
    .language_version:
      - 2
      - 0
    .max_flat_workgroup_size: 256
    .name:           _ZL12mul_mat_q2_KIfLb1EEvPKvS1_PT_iiiii
    .private_segment_fixed_size: 52
    .sgpr_count:     22
    .sgpr_spill_count: 0
    .symbol:         _ZL12mul_mat_q2_KIfLb1EEvPKvS1_PT_iiiii.kd
    .uniform_work_group_size: 1
    .uses_dynamic_stack: false
    .vgpr_count:     256
    .vgpr_spill_count: 12
    .wavefront_size: 32
    .workgroup_processor_mode: 1
  - .args:
      - .actual_access:  read_only
        .address_space:  global
        .offset:         0
        .size:           8
        .value_kind:     global_buffer
      - .actual_access:  read_only
        .address_space:  global
        .offset:         8
        .size:           8
        .value_kind:     global_buffer
      - .actual_access:  write_only
        .address_space:  global
        .offset:         16
        .size:           8
        .value_kind:     global_buffer
      - .offset:         24
        .size:           4
        .value_kind:     by_value
      - .offset:         28
        .size:           4
        .value_kind:     by_value
      - .offset:         32
        .size:           4
        .value_kind:     by_value
      - .offset:         36
        .size:           4
        .value_kind:     by_value
      - .offset:         40
        .size:           4
        .value_kind:     by_value
    .group_segment_fixed_size: 39840
    .kernarg_segment_align: 8
    .kernarg_segment_size: 44
    .language:       OpenCL C
    .language_version:
      - 2
      - 0
    .max_flat_workgroup_size: 256
    .name:           _ZL12mul_mat_q3_KIfLb0EEvPKvS1_PT_iiiii
    .private_segment_fixed_size: 0
    .sgpr_count:     23
    .sgpr_spill_count: 0
    .symbol:         _ZL12mul_mat_q3_KIfLb0EEvPKvS1_PT_iiiii.kd
    .uniform_work_group_size: 1
    .uses_dynamic_stack: false
    .vgpr_count:     240
    .vgpr_spill_count: 0
    .wavefront_size: 32
    .workgroup_processor_mode: 1
  - .args:
      - .actual_access:  read_only
        .address_space:  global
        .offset:         0
        .size:           8
        .value_kind:     global_buffer
      - .actual_access:  read_only
        .address_space:  global
        .offset:         8
        .size:           8
        .value_kind:     global_buffer
      - .actual_access:  write_only
        .address_space:  global
        .offset:         16
        .size:           8
        .value_kind:     global_buffer
      - .offset:         24
        .size:           4
        .value_kind:     by_value
      - .offset:         28
        .size:           4
        .value_kind:     by_value
      - .offset:         32
        .size:           4
        .value_kind:     by_value
      - .offset:         36
        .size:           4
        .value_kind:     by_value
      - .offset:         40
        .size:           4
        .value_kind:     by_value
    .group_segment_fixed_size: 39840
    .kernarg_segment_align: 8
    .kernarg_segment_size: 44
    .language:       OpenCL C
    .language_version:
      - 2
      - 0
    .max_flat_workgroup_size: 256
    .name:           _ZL12mul_mat_q3_KIfLb1EEvPKvS1_PT_iiiii
    .private_segment_fixed_size: 0
    .sgpr_count:     23
    .sgpr_spill_count: 0
    .symbol:         _ZL12mul_mat_q3_KIfLb1EEvPKvS1_PT_iiiii.kd
    .uniform_work_group_size: 1
    .uses_dynamic_stack: false
    .vgpr_count:     242
    .vgpr_spill_count: 0
    .wavefront_size: 32
    .workgroup_processor_mode: 1
  - .args:
      - .actual_access:  read_only
        .address_space:  global
        .offset:         0
        .size:           8
        .value_kind:     global_buffer
      - .actual_access:  read_only
        .address_space:  global
        .offset:         8
        .size:           8
        .value_kind:     global_buffer
      - .actual_access:  write_only
        .address_space:  global
        .offset:         16
        .size:           8
        .value_kind:     global_buffer
      - .offset:         24
        .size:           4
        .value_kind:     by_value
      - .offset:         28
        .size:           4
        .value_kind:     by_value
      - .offset:         32
        .size:           4
        .value_kind:     by_value
      - .offset:         36
        .size:           4
        .value_kind:     by_value
      - .offset:         40
        .size:           4
        .value_kind:     by_value
    .group_segment_fixed_size: 28752
    .kernarg_segment_align: 8
    .kernarg_segment_size: 44
    .language:       OpenCL C
    .language_version:
      - 2
      - 0
    .max_flat_workgroup_size: 256
    .name:           _ZL12mul_mat_q4_KIfLb0EEvPKvS1_PT_iiiii
    .private_segment_fixed_size: 0
    .sgpr_count:     19
    .sgpr_spill_count: 0
    .symbol:         _ZL12mul_mat_q4_KIfLb0EEvPKvS1_PT_iiiii.kd
    .uniform_work_group_size: 1
    .uses_dynamic_stack: false
    .vgpr_count:     255
    .vgpr_spill_count: 0
    .wavefront_size: 32
    .workgroup_processor_mode: 1
  - .args:
      - .actual_access:  read_only
        .address_space:  global
        .offset:         0
        .size:           8
        .value_kind:     global_buffer
      - .actual_access:  read_only
        .address_space:  global
        .offset:         8
        .size:           8
        .value_kind:     global_buffer
      - .actual_access:  write_only
        .address_space:  global
        .offset:         16
        .size:           8
        .value_kind:     global_buffer
      - .offset:         24
        .size:           4
        .value_kind:     by_value
      - .offset:         28
        .size:           4
        .value_kind:     by_value
      - .offset:         32
        .size:           4
        .value_kind:     by_value
      - .offset:         36
        .size:           4
        .value_kind:     by_value
      - .offset:         40
        .size:           4
        .value_kind:     by_value
    .group_segment_fixed_size: 28752
    .kernarg_segment_align: 8
    .kernarg_segment_size: 44
    .language:       OpenCL C
    .language_version:
      - 2
      - 0
    .max_flat_workgroup_size: 256
    .name:           _ZL12mul_mat_q4_KIfLb1EEvPKvS1_PT_iiiii
    .private_segment_fixed_size: 0
    .sgpr_count:     19
    .sgpr_spill_count: 0
    .symbol:         _ZL12mul_mat_q4_KIfLb1EEvPKvS1_PT_iiiii.kd
    .uniform_work_group_size: 1
    .uses_dynamic_stack: false
    .vgpr_count:     255
    .vgpr_spill_count: 0
    .wavefront_size: 32
    .workgroup_processor_mode: 1
  - .args:
      - .actual_access:  read_only
        .address_space:  global
        .offset:         0
        .size:           8
        .value_kind:     global_buffer
      - .actual_access:  read_only
        .address_space:  global
        .offset:         8
        .size:           8
        .value_kind:     global_buffer
      - .actual_access:  write_only
        .address_space:  global
        .offset:         16
        .size:           8
        .value_kind:     global_buffer
      - .offset:         24
        .size:           4
        .value_kind:     by_value
      - .offset:         28
        .size:           4
        .value_kind:     by_value
      - .offset:         32
        .size:           4
        .value_kind:     by_value
      - .offset:         36
        .size:           4
        .value_kind:     by_value
      - .offset:         40
        .size:           4
        .value_kind:     by_value
    .group_segment_fixed_size: 45136
    .kernarg_segment_align: 8
    .kernarg_segment_size: 44
    .language:       OpenCL C
    .language_version:
      - 2
      - 0
    .max_flat_workgroup_size: 256
    .name:           _ZL12mul_mat_q5_KIfLb0EEvPKvS1_PT_iiiii
    .private_segment_fixed_size: 0
    .sgpr_count:     19
    .sgpr_spill_count: 0
    .symbol:         _ZL12mul_mat_q5_KIfLb0EEvPKvS1_PT_iiiii.kd
    .uniform_work_group_size: 1
    .uses_dynamic_stack: false
    .vgpr_count:     244
    .vgpr_spill_count: 0
    .wavefront_size: 32
    .workgroup_processor_mode: 1
  - .args:
      - .actual_access:  read_only
        .address_space:  global
        .offset:         0
        .size:           8
        .value_kind:     global_buffer
      - .actual_access:  read_only
        .address_space:  global
        .offset:         8
        .size:           8
        .value_kind:     global_buffer
      - .actual_access:  write_only
        .address_space:  global
        .offset:         16
        .size:           8
        .value_kind:     global_buffer
      - .offset:         24
        .size:           4
        .value_kind:     by_value
      - .offset:         28
        .size:           4
        .value_kind:     by_value
      - .offset:         32
        .size:           4
        .value_kind:     by_value
      - .offset:         36
        .size:           4
        .value_kind:     by_value
      - .offset:         40
        .size:           4
        .value_kind:     by_value
    .group_segment_fixed_size: 45136
    .kernarg_segment_align: 8
    .kernarg_segment_size: 44
    .language:       OpenCL C
    .language_version:
      - 2
      - 0
    .max_flat_workgroup_size: 256
    .name:           _ZL12mul_mat_q5_KIfLb1EEvPKvS1_PT_iiiii
    .private_segment_fixed_size: 0
    .sgpr_count:     19
    .sgpr_spill_count: 0
    .symbol:         _ZL12mul_mat_q5_KIfLb1EEvPKvS1_PT_iiiii.kd
    .uniform_work_group_size: 1
    .uses_dynamic_stack: false
    .vgpr_count:     244
    .vgpr_spill_count: 0
    .wavefront_size: 32
    .workgroup_processor_mode: 1
  - .args:
      - .actual_access:  read_only
        .address_space:  global
        .offset:         0
        .size:           8
        .value_kind:     global_buffer
      - .actual_access:  read_only
        .address_space:  global
        .offset:         8
        .size:           8
        .value_kind:     global_buffer
      - .actual_access:  write_only
        .address_space:  global
        .offset:         16
        .size:           8
        .value_kind:     global_buffer
      - .offset:         24
        .size:           4
        .value_kind:     by_value
      - .offset:         28
        .size:           4
        .value_kind:     by_value
      - .offset:         32
        .size:           4
        .value_kind:     by_value
      - .offset:         36
        .size:           4
        .value_kind:     by_value
      - .offset:         40
        .size:           4
        .value_kind:     by_value
    .group_segment_fixed_size: 45136
    .kernarg_segment_align: 8
    .kernarg_segment_size: 44
    .language:       OpenCL C
    .language_version:
      - 2
      - 0
    .max_flat_workgroup_size: 256
    .name:           _ZL12mul_mat_q6_KIfLb0EEvPKvS1_PT_iiiii
    .private_segment_fixed_size: 136
    .sgpr_count:     26
    .sgpr_spill_count: 0
    .symbol:         _ZL12mul_mat_q6_KIfLb0EEvPKvS1_PT_iiiii.kd
    .uniform_work_group_size: 1
    .uses_dynamic_stack: false
    .vgpr_count:     256
    .vgpr_spill_count: 33
    .wavefront_size: 32
    .workgroup_processor_mode: 1
  - .args:
      - .actual_access:  read_only
        .address_space:  global
        .offset:         0
        .size:           8
        .value_kind:     global_buffer
      - .actual_access:  read_only
        .address_space:  global
        .offset:         8
        .size:           8
        .value_kind:     global_buffer
      - .actual_access:  write_only
        .address_space:  global
        .offset:         16
        .size:           8
        .value_kind:     global_buffer
      - .offset:         24
        .size:           4
        .value_kind:     by_value
      - .offset:         28
        .size:           4
        .value_kind:     by_value
      - .offset:         32
        .size:           4
        .value_kind:     by_value
      - .offset:         36
        .size:           4
        .value_kind:     by_value
      - .offset:         40
        .size:           4
        .value_kind:     by_value
    .group_segment_fixed_size: 45136
    .kernarg_segment_align: 8
    .kernarg_segment_size: 44
    .language:       OpenCL C
    .language_version:
      - 2
      - 0
    .max_flat_workgroup_size: 256
    .name:           _ZL12mul_mat_q6_KIfLb1EEvPKvS1_PT_iiiii
    .private_segment_fixed_size: 300
    .sgpr_count:     26
    .sgpr_spill_count: 0
    .symbol:         _ZL12mul_mat_q6_KIfLb1EEvPKvS1_PT_iiiii.kd
    .uniform_work_group_size: 1
    .uses_dynamic_stack: false
    .vgpr_count:     256
    .vgpr_spill_count: 74
    .wavefront_size: 32
    .workgroup_processor_mode: 1
  - .args:
      - .actual_access:  read_only
        .address_space:  global
        .offset:         0
        .size:           8
        .value_kind:     global_buffer
      - .actual_access:  read_only
        .address_space:  global
        .offset:         8
        .size:           8
        .value_kind:     global_buffer
      - .actual_access:  write_only
        .address_space:  global
        .offset:         16
        .size:           8
        .value_kind:     global_buffer
      - .offset:         24
        .size:           4
        .value_kind:     by_value
      - .offset:         28
        .size:           4
        .value_kind:     by_value
      - .offset:         32
        .size:           4
        .value_kind:     by_value
      - .offset:         36
        .size:           4
        .value_kind:     by_value
      - .offset:         40
        .size:           4
        .value_kind:     by_value
    .group_segment_fixed_size: 30336
    .kernarg_segment_align: 8
    .kernarg_segment_size: 44
    .language:       OpenCL C
    .language_version:
      - 2
      - 0
    .max_flat_workgroup_size: 256
    .name:           _ZL12mul_mat_q4_0IN3c104HalfELb0EEvPKvS3_PT_iiiii
    .private_segment_fixed_size: 0
    .sgpr_count:     17
    .sgpr_spill_count: 0
    .symbol:         _ZL12mul_mat_q4_0IN3c104HalfELb0EEvPKvS3_PT_iiiii.kd
    .uniform_work_group_size: 1
    .uses_dynamic_stack: false
    .vgpr_count:     159
    .vgpr_spill_count: 0
    .wavefront_size: 32
    .workgroup_processor_mode: 1
  - .args:
      - .actual_access:  read_only
        .address_space:  global
        .offset:         0
        .size:           8
        .value_kind:     global_buffer
      - .actual_access:  read_only
        .address_space:  global
        .offset:         8
        .size:           8
        .value_kind:     global_buffer
      - .actual_access:  write_only
        .address_space:  global
        .offset:         16
        .size:           8
        .value_kind:     global_buffer
      - .offset:         24
        .size:           4
        .value_kind:     by_value
      - .offset:         28
        .size:           4
        .value_kind:     by_value
      - .offset:         32
        .size:           4
        .value_kind:     by_value
      - .offset:         36
        .size:           4
        .value_kind:     by_value
      - .offset:         40
        .size:           4
        .value_kind:     by_value
    .group_segment_fixed_size: 30336
    .kernarg_segment_align: 8
    .kernarg_segment_size: 44
    .language:       OpenCL C
    .language_version:
      - 2
      - 0
    .max_flat_workgroup_size: 256
    .name:           _ZL12mul_mat_q4_0IN3c104HalfELb1EEvPKvS3_PT_iiiii
    .private_segment_fixed_size: 0
    .sgpr_count:     17
    .sgpr_spill_count: 0
    .symbol:         _ZL12mul_mat_q4_0IN3c104HalfELb1EEvPKvS3_PT_iiiii.kd
    .uniform_work_group_size: 1
    .uses_dynamic_stack: false
    .vgpr_count:     173
    .vgpr_spill_count: 0
    .wavefront_size: 32
    .workgroup_processor_mode: 1
  - .args:
      - .actual_access:  read_only
        .address_space:  global
        .offset:         0
        .size:           8
        .value_kind:     global_buffer
      - .actual_access:  read_only
        .address_space:  global
        .offset:         8
        .size:           8
        .value_kind:     global_buffer
      - .actual_access:  write_only
        .address_space:  global
        .offset:         16
        .size:           8
        .value_kind:     global_buffer
      - .offset:         24
        .size:           4
        .value_kind:     by_value
      - .offset:         28
        .size:           4
        .value_kind:     by_value
      - .offset:         32
        .size:           4
        .value_kind:     by_value
      - .offset:         36
        .size:           4
        .value_kind:     by_value
      - .offset:         40
        .size:           4
        .value_kind:     by_value
    .group_segment_fixed_size: 30336
    .kernarg_segment_align: 8
    .kernarg_segment_size: 44
    .language:       OpenCL C
    .language_version:
      - 2
      - 0
    .max_flat_workgroup_size: 256
    .name:           _ZL12mul_mat_q4_1IN3c104HalfELb0EEvPKvS3_PT_iiiii
    .private_segment_fixed_size: 0
    .sgpr_count:     17
    .sgpr_spill_count: 0
    .symbol:         _ZL12mul_mat_q4_1IN3c104HalfELb0EEvPKvS3_PT_iiiii.kd
    .uniform_work_group_size: 1
    .uses_dynamic_stack: false
    .vgpr_count:     163
    .vgpr_spill_count: 0
    .wavefront_size: 32
    .workgroup_processor_mode: 1
  - .args:
      - .actual_access:  read_only
        .address_space:  global
        .offset:         0
        .size:           8
        .value_kind:     global_buffer
      - .actual_access:  read_only
        .address_space:  global
        .offset:         8
        .size:           8
        .value_kind:     global_buffer
      - .actual_access:  write_only
        .address_space:  global
        .offset:         16
        .size:           8
        .value_kind:     global_buffer
      - .offset:         24
        .size:           4
        .value_kind:     by_value
      - .offset:         28
        .size:           4
        .value_kind:     by_value
      - .offset:         32
        .size:           4
        .value_kind:     by_value
      - .offset:         36
        .size:           4
        .value_kind:     by_value
      - .offset:         40
        .size:           4
        .value_kind:     by_value
    .group_segment_fixed_size: 30336
    .kernarg_segment_align: 8
    .kernarg_segment_size: 44
    .language:       OpenCL C
    .language_version:
      - 2
      - 0
    .max_flat_workgroup_size: 256
    .name:           _ZL12mul_mat_q4_1IN3c104HalfELb1EEvPKvS3_PT_iiiii
    .private_segment_fixed_size: 0
    .sgpr_count:     17
    .sgpr_spill_count: 0
    .symbol:         _ZL12mul_mat_q4_1IN3c104HalfELb1EEvPKvS3_PT_iiiii.kd
    .uniform_work_group_size: 1
    .uses_dynamic_stack: false
    .vgpr_count:     169
    .vgpr_spill_count: 0
    .wavefront_size: 32
    .workgroup_processor_mode: 1
  - .args:
      - .actual_access:  read_only
        .address_space:  global
        .offset:         0
        .size:           8
        .value_kind:     global_buffer
      - .actual_access:  read_only
        .address_space:  global
        .offset:         8
        .size:           8
        .value_kind:     global_buffer
      - .actual_access:  write_only
        .address_space:  global
        .offset:         16
        .size:           8
        .value_kind:     global_buffer
      - .offset:         24
        .size:           4
        .value_kind:     by_value
      - .offset:         28
        .size:           4
        .value_kind:     by_value
      - .offset:         32
        .size:           4
        .value_kind:     by_value
      - .offset:         36
        .size:           4
        .value_kind:     by_value
      - .offset:         40
        .size:           4
        .value_kind:     by_value
    .group_segment_fixed_size: 46720
    .kernarg_segment_align: 8
    .kernarg_segment_size: 44
    .language:       OpenCL C
    .language_version:
      - 2
      - 0
    .max_flat_workgroup_size: 256
    .name:           _ZL12mul_mat_q5_0IN3c104HalfELb0EEvPKvS3_PT_iiiii
    .private_segment_fixed_size: 0
    .sgpr_count:     17
    .sgpr_spill_count: 0
    .symbol:         _ZL12mul_mat_q5_0IN3c104HalfELb0EEvPKvS3_PT_iiiii.kd
    .uniform_work_group_size: 1
    .uses_dynamic_stack: false
    .vgpr_count:     200
    .vgpr_spill_count: 0
    .wavefront_size: 32
    .workgroup_processor_mode: 1
  - .args:
      - .actual_access:  read_only
        .address_space:  global
        .offset:         0
        .size:           8
        .value_kind:     global_buffer
      - .actual_access:  read_only
        .address_space:  global
        .offset:         8
        .size:           8
        .value_kind:     global_buffer
      - .actual_access:  write_only
        .address_space:  global
        .offset:         16
        .size:           8
        .value_kind:     global_buffer
      - .offset:         24
        .size:           4
        .value_kind:     by_value
      - .offset:         28
        .size:           4
        .value_kind:     by_value
      - .offset:         32
        .size:           4
        .value_kind:     by_value
      - .offset:         36
        .size:           4
        .value_kind:     by_value
      - .offset:         40
        .size:           4
        .value_kind:     by_value
    .group_segment_fixed_size: 46720
    .kernarg_segment_align: 8
    .kernarg_segment_size: 44
    .language:       OpenCL C
    .language_version:
      - 2
      - 0
    .max_flat_workgroup_size: 256
    .name:           _ZL12mul_mat_q5_0IN3c104HalfELb1EEvPKvS3_PT_iiiii
    .private_segment_fixed_size: 0
    .sgpr_count:     17
    .sgpr_spill_count: 0
    .symbol:         _ZL12mul_mat_q5_0IN3c104HalfELb1EEvPKvS3_PT_iiiii.kd
    .uniform_work_group_size: 1
    .uses_dynamic_stack: false
    .vgpr_count:     200
    .vgpr_spill_count: 0
    .wavefront_size: 32
    .workgroup_processor_mode: 1
  - .args:
      - .actual_access:  read_only
        .address_space:  global
        .offset:         0
        .size:           8
        .value_kind:     global_buffer
      - .actual_access:  read_only
        .address_space:  global
        .offset:         8
        .size:           8
        .value_kind:     global_buffer
      - .actual_access:  write_only
        .address_space:  global
        .offset:         16
        .size:           8
        .value_kind:     global_buffer
      - .offset:         24
        .size:           4
        .value_kind:     by_value
      - .offset:         28
        .size:           4
        .value_kind:     by_value
      - .offset:         32
        .size:           4
        .value_kind:     by_value
      - .offset:         36
        .size:           4
        .value_kind:     by_value
      - .offset:         40
        .size:           4
        .value_kind:     by_value
    .group_segment_fixed_size: 46720
    .kernarg_segment_align: 8
    .kernarg_segment_size: 44
    .language:       OpenCL C
    .language_version:
      - 2
      - 0
    .max_flat_workgroup_size: 256
    .name:           _ZL12mul_mat_q5_1IN3c104HalfELb0EEvPKvS3_PT_iiiii
    .private_segment_fixed_size: 0
    .sgpr_count:     17
    .sgpr_spill_count: 0
    .symbol:         _ZL12mul_mat_q5_1IN3c104HalfELb0EEvPKvS3_PT_iiiii.kd
    .uniform_work_group_size: 1
    .uses_dynamic_stack: false
    .vgpr_count:     222
    .vgpr_spill_count: 0
    .wavefront_size: 32
    .workgroup_processor_mode: 1
  - .args:
      - .actual_access:  read_only
        .address_space:  global
        .offset:         0
        .size:           8
        .value_kind:     global_buffer
      - .actual_access:  read_only
        .address_space:  global
        .offset:         8
        .size:           8
        .value_kind:     global_buffer
      - .actual_access:  write_only
        .address_space:  global
        .offset:         16
        .size:           8
        .value_kind:     global_buffer
      - .offset:         24
        .size:           4
        .value_kind:     by_value
      - .offset:         28
        .size:           4
        .value_kind:     by_value
      - .offset:         32
        .size:           4
        .value_kind:     by_value
      - .offset:         36
        .size:           4
        .value_kind:     by_value
      - .offset:         40
        .size:           4
        .value_kind:     by_value
    .group_segment_fixed_size: 46720
    .kernarg_segment_align: 8
    .kernarg_segment_size: 44
    .language:       OpenCL C
    .language_version:
      - 2
      - 0
    .max_flat_workgroup_size: 256
    .name:           _ZL12mul_mat_q5_1IN3c104HalfELb1EEvPKvS3_PT_iiiii
    .private_segment_fixed_size: 0
    .sgpr_count:     17
    .sgpr_spill_count: 0
    .symbol:         _ZL12mul_mat_q5_1IN3c104HalfELb1EEvPKvS3_PT_iiiii.kd
    .uniform_work_group_size: 1
    .uses_dynamic_stack: false
    .vgpr_count:     222
    .vgpr_spill_count: 0
    .wavefront_size: 32
    .workgroup_processor_mode: 1
  - .args:
      - .actual_access:  read_only
        .address_space:  global
        .offset:         0
        .size:           8
        .value_kind:     global_buffer
      - .actual_access:  read_only
        .address_space:  global
        .offset:         8
        .size:           8
        .value_kind:     global_buffer
      - .actual_access:  write_only
        .address_space:  global
        .offset:         16
        .size:           8
        .value_kind:     global_buffer
      - .offset:         24
        .size:           4
        .value_kind:     by_value
      - .offset:         28
        .size:           4
        .value_kind:     by_value
      - .offset:         32
        .size:           4
        .value_kind:     by_value
      - .offset:         36
        .size:           4
        .value_kind:     by_value
      - .offset:         40
        .size:           4
        .value_kind:     by_value
    .group_segment_fixed_size: 28224
    .kernarg_segment_align: 8
    .kernarg_segment_size: 44
    .language:       OpenCL C
    .language_version:
      - 2
      - 0
    .max_flat_workgroup_size: 256
    .name:           _ZL12mul_mat_q8_0IN3c104HalfELb0EEvPKvS3_PT_iiiii
    .private_segment_fixed_size: 0
    .sgpr_count:     17
    .sgpr_spill_count: 0
    .symbol:         _ZL12mul_mat_q8_0IN3c104HalfELb0EEvPKvS3_PT_iiiii.kd
    .uniform_work_group_size: 1
    .uses_dynamic_stack: false
    .vgpr_count:     143
    .vgpr_spill_count: 0
    .wavefront_size: 32
    .workgroup_processor_mode: 1
  - .args:
      - .actual_access:  read_only
        .address_space:  global
        .offset:         0
        .size:           8
        .value_kind:     global_buffer
      - .actual_access:  read_only
        .address_space:  global
        .offset:         8
        .size:           8
        .value_kind:     global_buffer
      - .actual_access:  write_only
        .address_space:  global
        .offset:         16
        .size:           8
        .value_kind:     global_buffer
      - .offset:         24
        .size:           4
        .value_kind:     by_value
      - .offset:         28
        .size:           4
        .value_kind:     by_value
      - .offset:         32
        .size:           4
        .value_kind:     by_value
      - .offset:         36
        .size:           4
        .value_kind:     by_value
      - .offset:         40
        .size:           4
        .value_kind:     by_value
    .group_segment_fixed_size: 28224
    .kernarg_segment_align: 8
    .kernarg_segment_size: 44
    .language:       OpenCL C
    .language_version:
      - 2
      - 0
    .max_flat_workgroup_size: 256
    .name:           _ZL12mul_mat_q8_0IN3c104HalfELb1EEvPKvS3_PT_iiiii
    .private_segment_fixed_size: 0
    .sgpr_count:     17
    .sgpr_spill_count: 0
    .symbol:         _ZL12mul_mat_q8_0IN3c104HalfELb1EEvPKvS3_PT_iiiii.kd
    .uniform_work_group_size: 1
    .uses_dynamic_stack: false
    .vgpr_count:     156
    .vgpr_spill_count: 0
    .wavefront_size: 32
    .workgroup_processor_mode: 1
  - .args:
      - .actual_access:  read_only
        .address_space:  global
        .offset:         0
        .size:           8
        .value_kind:     global_buffer
      - .actual_access:  read_only
        .address_space:  global
        .offset:         8
        .size:           8
        .value_kind:     global_buffer
      - .actual_access:  write_only
        .address_space:  global
        .offset:         16
        .size:           8
        .value_kind:     global_buffer
      - .offset:         24
        .size:           4
        .value_kind:     by_value
      - .offset:         28
        .size:           4
        .value_kind:     by_value
      - .offset:         32
        .size:           4
        .value_kind:     by_value
      - .offset:         36
        .size:           4
        .value_kind:     by_value
      - .offset:         40
        .size:           4
        .value_kind:     by_value
    .group_segment_fixed_size: 31392
    .kernarg_segment_align: 8
    .kernarg_segment_size: 44
    .language:       OpenCL C
    .language_version:
      - 2
      - 0
    .max_flat_workgroup_size: 256
    .name:           _ZL12mul_mat_q2_KIN3c104HalfELb0EEvPKvS3_PT_iiiii
    .private_segment_fixed_size: 12
    .sgpr_count:     22
    .sgpr_spill_count: 0
    .symbol:         _ZL12mul_mat_q2_KIN3c104HalfELb0EEvPKvS3_PT_iiiii.kd
    .uniform_work_group_size: 1
    .uses_dynamic_stack: false
    .vgpr_count:     256
    .vgpr_spill_count: 2
    .wavefront_size: 32
    .workgroup_processor_mode: 1
  - .args:
      - .actual_access:  read_only
        .address_space:  global
        .offset:         0
        .size:           8
        .value_kind:     global_buffer
      - .actual_access:  read_only
        .address_space:  global
        .offset:         8
        .size:           8
        .value_kind:     global_buffer
      - .actual_access:  write_only
        .address_space:  global
        .offset:         16
        .size:           8
        .value_kind:     global_buffer
      - .offset:         24
        .size:           4
        .value_kind:     by_value
      - .offset:         28
        .size:           4
        .value_kind:     by_value
      - .offset:         32
        .size:           4
        .value_kind:     by_value
      - .offset:         36
        .size:           4
        .value_kind:     by_value
      - .offset:         40
        .size:           4
        .value_kind:     by_value
    .group_segment_fixed_size: 31392
    .kernarg_segment_align: 8
    .kernarg_segment_size: 44
    .language:       OpenCL C
    .language_version:
      - 2
      - 0
    .max_flat_workgroup_size: 256
    .name:           _ZL12mul_mat_q2_KIN3c104HalfELb1EEvPKvS3_PT_iiiii
    .private_segment_fixed_size: 52
    .sgpr_count:     22
    .sgpr_spill_count: 0
    .symbol:         _ZL12mul_mat_q2_KIN3c104HalfELb1EEvPKvS3_PT_iiiii.kd
    .uniform_work_group_size: 1
    .uses_dynamic_stack: false
    .vgpr_count:     256
    .vgpr_spill_count: 12
    .wavefront_size: 32
    .workgroup_processor_mode: 1
  - .args:
      - .actual_access:  read_only
        .address_space:  global
        .offset:         0
        .size:           8
        .value_kind:     global_buffer
      - .actual_access:  read_only
        .address_space:  global
        .offset:         8
        .size:           8
        .value_kind:     global_buffer
      - .actual_access:  write_only
        .address_space:  global
        .offset:         16
        .size:           8
        .value_kind:     global_buffer
      - .offset:         24
        .size:           4
        .value_kind:     by_value
      - .offset:         28
        .size:           4
        .value_kind:     by_value
      - .offset:         32
        .size:           4
        .value_kind:     by_value
      - .offset:         36
        .size:           4
        .value_kind:     by_value
      - .offset:         40
        .size:           4
        .value_kind:     by_value
    .group_segment_fixed_size: 39840
    .kernarg_segment_align: 8
    .kernarg_segment_size: 44
    .language:       OpenCL C
    .language_version:
      - 2
      - 0
    .max_flat_workgroup_size: 256
    .name:           _ZL12mul_mat_q3_KIN3c104HalfELb0EEvPKvS3_PT_iiiii
    .private_segment_fixed_size: 0
    .sgpr_count:     23
    .sgpr_spill_count: 0
    .symbol:         _ZL12mul_mat_q3_KIN3c104HalfELb0EEvPKvS3_PT_iiiii.kd
    .uniform_work_group_size: 1
    .uses_dynamic_stack: false
    .vgpr_count:     224
    .vgpr_spill_count: 0
    .wavefront_size: 32
    .workgroup_processor_mode: 1
  - .args:
      - .actual_access:  read_only
        .address_space:  global
        .offset:         0
        .size:           8
        .value_kind:     global_buffer
      - .actual_access:  read_only
        .address_space:  global
        .offset:         8
        .size:           8
        .value_kind:     global_buffer
      - .actual_access:  write_only
        .address_space:  global
        .offset:         16
        .size:           8
        .value_kind:     global_buffer
      - .offset:         24
        .size:           4
        .value_kind:     by_value
      - .offset:         28
        .size:           4
        .value_kind:     by_value
      - .offset:         32
        .size:           4
        .value_kind:     by_value
      - .offset:         36
        .size:           4
        .value_kind:     by_value
      - .offset:         40
        .size:           4
        .value_kind:     by_value
    .group_segment_fixed_size: 39840
    .kernarg_segment_align: 8
    .kernarg_segment_size: 44
    .language:       OpenCL C
    .language_version:
      - 2
      - 0
    .max_flat_workgroup_size: 256
    .name:           _ZL12mul_mat_q3_KIN3c104HalfELb1EEvPKvS3_PT_iiiii
    .private_segment_fixed_size: 0
    .sgpr_count:     23
    .sgpr_spill_count: 0
    .symbol:         _ZL12mul_mat_q3_KIN3c104HalfELb1EEvPKvS3_PT_iiiii.kd
    .uniform_work_group_size: 1
    .uses_dynamic_stack: false
    .vgpr_count:     226
    .vgpr_spill_count: 0
    .wavefront_size: 32
    .workgroup_processor_mode: 1
  - .args:
      - .actual_access:  read_only
        .address_space:  global
        .offset:         0
        .size:           8
        .value_kind:     global_buffer
      - .actual_access:  read_only
        .address_space:  global
        .offset:         8
        .size:           8
        .value_kind:     global_buffer
      - .actual_access:  write_only
        .address_space:  global
        .offset:         16
        .size:           8
        .value_kind:     global_buffer
      - .offset:         24
        .size:           4
        .value_kind:     by_value
      - .offset:         28
        .size:           4
        .value_kind:     by_value
      - .offset:         32
        .size:           4
        .value_kind:     by_value
      - .offset:         36
        .size:           4
        .value_kind:     by_value
      - .offset:         40
        .size:           4
        .value_kind:     by_value
    .group_segment_fixed_size: 28752
    .kernarg_segment_align: 8
    .kernarg_segment_size: 44
    .language:       OpenCL C
    .language_version:
      - 2
      - 0
    .max_flat_workgroup_size: 256
    .name:           _ZL12mul_mat_q4_KIN3c104HalfELb0EEvPKvS3_PT_iiiii
    .private_segment_fixed_size: 160
    .sgpr_count:     26
    .sgpr_spill_count: 0
    .symbol:         _ZL12mul_mat_q4_KIN3c104HalfELb0EEvPKvS3_PT_iiiii.kd
    .uniform_work_group_size: 1
    .uses_dynamic_stack: false
    .vgpr_count:     256
    .vgpr_spill_count: 39
    .wavefront_size: 32
    .workgroup_processor_mode: 1
  - .args:
      - .actual_access:  read_only
        .address_space:  global
        .offset:         0
        .size:           8
        .value_kind:     global_buffer
      - .actual_access:  read_only
        .address_space:  global
        .offset:         8
        .size:           8
        .value_kind:     global_buffer
      - .actual_access:  write_only
        .address_space:  global
        .offset:         16
        .size:           8
        .value_kind:     global_buffer
      - .offset:         24
        .size:           4
        .value_kind:     by_value
      - .offset:         28
        .size:           4
        .value_kind:     by_value
      - .offset:         32
        .size:           4
        .value_kind:     by_value
      - .offset:         36
        .size:           4
        .value_kind:     by_value
      - .offset:         40
        .size:           4
        .value_kind:     by_value
    .group_segment_fixed_size: 28752
    .kernarg_segment_align: 8
    .kernarg_segment_size: 44
    .language:       OpenCL C
    .language_version:
      - 2
      - 0
    .max_flat_workgroup_size: 256
    .name:           _ZL12mul_mat_q4_KIN3c104HalfELb1EEvPKvS3_PT_iiiii
    .private_segment_fixed_size: 284
    .sgpr_count:     26
    .sgpr_spill_count: 0
    .symbol:         _ZL12mul_mat_q4_KIN3c104HalfELb1EEvPKvS3_PT_iiiii.kd
    .uniform_work_group_size: 1
    .uses_dynamic_stack: false
    .vgpr_count:     256
    .vgpr_spill_count: 70
    .wavefront_size: 32
    .workgroup_processor_mode: 1
  - .args:
      - .actual_access:  read_only
        .address_space:  global
        .offset:         0
        .size:           8
        .value_kind:     global_buffer
      - .actual_access:  read_only
        .address_space:  global
        .offset:         8
        .size:           8
        .value_kind:     global_buffer
      - .actual_access:  write_only
        .address_space:  global
        .offset:         16
        .size:           8
        .value_kind:     global_buffer
      - .offset:         24
        .size:           4
        .value_kind:     by_value
      - .offset:         28
        .size:           4
        .value_kind:     by_value
      - .offset:         32
        .size:           4
        .value_kind:     by_value
      - .offset:         36
        .size:           4
        .value_kind:     by_value
      - .offset:         40
        .size:           4
        .value_kind:     by_value
    .group_segment_fixed_size: 45136
    .kernarg_segment_align: 8
    .kernarg_segment_size: 44
    .language:       OpenCL C
    .language_version:
      - 2
      - 0
    .max_flat_workgroup_size: 256
    .name:           _ZL12mul_mat_q5_KIN3c104HalfELb0EEvPKvS3_PT_iiiii
    .private_segment_fixed_size: 0
    .sgpr_count:     19
    .sgpr_spill_count: 0
    .symbol:         _ZL12mul_mat_q5_KIN3c104HalfELb0EEvPKvS3_PT_iiiii.kd
    .uniform_work_group_size: 1
    .uses_dynamic_stack: false
    .vgpr_count:     252
    .vgpr_spill_count: 0
    .wavefront_size: 32
    .workgroup_processor_mode: 1
  - .args:
      - .actual_access:  read_only
        .address_space:  global
        .offset:         0
        .size:           8
        .value_kind:     global_buffer
      - .actual_access:  read_only
        .address_space:  global
        .offset:         8
        .size:           8
        .value_kind:     global_buffer
      - .actual_access:  write_only
        .address_space:  global
        .offset:         16
        .size:           8
        .value_kind:     global_buffer
      - .offset:         24
        .size:           4
        .value_kind:     by_value
      - .offset:         28
        .size:           4
        .value_kind:     by_value
      - .offset:         32
        .size:           4
        .value_kind:     by_value
      - .offset:         36
        .size:           4
        .value_kind:     by_value
      - .offset:         40
        .size:           4
        .value_kind:     by_value
    .group_segment_fixed_size: 45136
    .kernarg_segment_align: 8
    .kernarg_segment_size: 44
    .language:       OpenCL C
    .language_version:
      - 2
      - 0
    .max_flat_workgroup_size: 256
    .name:           _ZL12mul_mat_q5_KIN3c104HalfELb1EEvPKvS3_PT_iiiii
    .private_segment_fixed_size: 0
    .sgpr_count:     19
    .sgpr_spill_count: 0
    .symbol:         _ZL12mul_mat_q5_KIN3c104HalfELb1EEvPKvS3_PT_iiiii.kd
    .uniform_work_group_size: 1
    .uses_dynamic_stack: false
    .vgpr_count:     252
    .vgpr_spill_count: 0
    .wavefront_size: 32
    .workgroup_processor_mode: 1
  - .args:
      - .actual_access:  read_only
        .address_space:  global
        .offset:         0
        .size:           8
        .value_kind:     global_buffer
      - .actual_access:  read_only
        .address_space:  global
        .offset:         8
        .size:           8
        .value_kind:     global_buffer
      - .actual_access:  write_only
        .address_space:  global
        .offset:         16
        .size:           8
        .value_kind:     global_buffer
      - .offset:         24
        .size:           4
        .value_kind:     by_value
      - .offset:         28
        .size:           4
        .value_kind:     by_value
      - .offset:         32
        .size:           4
        .value_kind:     by_value
      - .offset:         36
        .size:           4
        .value_kind:     by_value
      - .offset:         40
        .size:           4
        .value_kind:     by_value
    .group_segment_fixed_size: 45136
    .kernarg_segment_align: 8
    .kernarg_segment_size: 44
    .language:       OpenCL C
    .language_version:
      - 2
      - 0
    .max_flat_workgroup_size: 256
    .name:           _ZL12mul_mat_q6_KIN3c104HalfELb0EEvPKvS3_PT_iiiii
    .private_segment_fixed_size: 104
    .sgpr_count:     26
    .sgpr_spill_count: 0
    .symbol:         _ZL12mul_mat_q6_KIN3c104HalfELb0EEvPKvS3_PT_iiiii.kd
    .uniform_work_group_size: 1
    .uses_dynamic_stack: false
    .vgpr_count:     256
    .vgpr_spill_count: 25
    .wavefront_size: 32
    .workgroup_processor_mode: 1
  - .args:
      - .actual_access:  read_only
        .address_space:  global
        .offset:         0
        .size:           8
        .value_kind:     global_buffer
      - .actual_access:  read_only
        .address_space:  global
        .offset:         8
        .size:           8
        .value_kind:     global_buffer
      - .actual_access:  write_only
        .address_space:  global
        .offset:         16
        .size:           8
        .value_kind:     global_buffer
      - .offset:         24
        .size:           4
        .value_kind:     by_value
      - .offset:         28
        .size:           4
        .value_kind:     by_value
      - .offset:         32
        .size:           4
        .value_kind:     by_value
      - .offset:         36
        .size:           4
        .value_kind:     by_value
      - .offset:         40
        .size:           4
        .value_kind:     by_value
    .group_segment_fixed_size: 45136
    .kernarg_segment_align: 8
    .kernarg_segment_size: 44
    .language:       OpenCL C
    .language_version:
      - 2
      - 0
    .max_flat_workgroup_size: 256
    .name:           _ZL12mul_mat_q6_KIN3c104HalfELb1EEvPKvS3_PT_iiiii
    .private_segment_fixed_size: 268
    .sgpr_count:     26
    .sgpr_spill_count: 0
    .symbol:         _ZL12mul_mat_q6_KIN3c104HalfELb1EEvPKvS3_PT_iiiii.kd
    .uniform_work_group_size: 1
    .uses_dynamic_stack: false
    .vgpr_count:     256
    .vgpr_spill_count: 66
    .wavefront_size: 32
    .workgroup_processor_mode: 1
  - .args:
      - .actual_access:  read_only
        .address_space:  global
        .offset:         0
        .size:           8
        .value_kind:     global_buffer
      - .actual_access:  read_only
        .address_space:  global
        .offset:         8
        .size:           8
        .value_kind:     global_buffer
      - .actual_access:  write_only
        .address_space:  global
        .offset:         16
        .size:           8
        .value_kind:     global_buffer
      - .offset:         24
        .size:           4
        .value_kind:     by_value
      - .offset:         28
        .size:           4
        .value_kind:     by_value
      - .offset:         32
        .size:           4
        .value_kind:     by_value
      - .offset:         36
        .size:           4
        .value_kind:     by_value
      - .offset:         40
        .size:           4
        .value_kind:     by_value
    .group_segment_fixed_size: 30336
    .kernarg_segment_align: 8
    .kernarg_segment_size: 44
    .language:       OpenCL C
    .language_version:
      - 2
      - 0
    .max_flat_workgroup_size: 256
    .name:           _ZL12mul_mat_q4_0IN3c108BFloat16ELb0EEvPKvS3_PT_iiiii
    .private_segment_fixed_size: 0
    .sgpr_count:     17
    .sgpr_spill_count: 0
    .symbol:         _ZL12mul_mat_q4_0IN3c108BFloat16ELb0EEvPKvS3_PT_iiiii.kd
    .uniform_work_group_size: 1
    .uses_dynamic_stack: false
    .vgpr_count:     163
    .vgpr_spill_count: 0
    .wavefront_size: 32
    .workgroup_processor_mode: 1
  - .args:
      - .actual_access:  read_only
        .address_space:  global
        .offset:         0
        .size:           8
        .value_kind:     global_buffer
      - .actual_access:  read_only
        .address_space:  global
        .offset:         8
        .size:           8
        .value_kind:     global_buffer
      - .actual_access:  write_only
        .address_space:  global
        .offset:         16
        .size:           8
        .value_kind:     global_buffer
      - .offset:         24
        .size:           4
        .value_kind:     by_value
      - .offset:         28
        .size:           4
        .value_kind:     by_value
      - .offset:         32
        .size:           4
        .value_kind:     by_value
      - .offset:         36
        .size:           4
        .value_kind:     by_value
      - .offset:         40
        .size:           4
        .value_kind:     by_value
    .group_segment_fixed_size: 30336
    .kernarg_segment_align: 8
    .kernarg_segment_size: 44
    .language:       OpenCL C
    .language_version:
      - 2
      - 0
    .max_flat_workgroup_size: 256
    .name:           _ZL12mul_mat_q4_0IN3c108BFloat16ELb1EEvPKvS3_PT_iiiii
    .private_segment_fixed_size: 0
    .sgpr_count:     17
    .sgpr_spill_count: 0
    .symbol:         _ZL12mul_mat_q4_0IN3c108BFloat16ELb1EEvPKvS3_PT_iiiii.kd
    .uniform_work_group_size: 1
    .uses_dynamic_stack: false
    .vgpr_count:     169
    .vgpr_spill_count: 0
    .wavefront_size: 32
    .workgroup_processor_mode: 1
  - .args:
      - .actual_access:  read_only
        .address_space:  global
        .offset:         0
        .size:           8
        .value_kind:     global_buffer
      - .actual_access:  read_only
        .address_space:  global
        .offset:         8
        .size:           8
        .value_kind:     global_buffer
      - .actual_access:  write_only
        .address_space:  global
        .offset:         16
        .size:           8
        .value_kind:     global_buffer
      - .offset:         24
        .size:           4
        .value_kind:     by_value
      - .offset:         28
        .size:           4
        .value_kind:     by_value
      - .offset:         32
        .size:           4
        .value_kind:     by_value
      - .offset:         36
        .size:           4
        .value_kind:     by_value
      - .offset:         40
        .size:           4
        .value_kind:     by_value
    .group_segment_fixed_size: 30336
    .kernarg_segment_align: 8
    .kernarg_segment_size: 44
    .language:       OpenCL C
    .language_version:
      - 2
      - 0
    .max_flat_workgroup_size: 256
    .name:           _ZL12mul_mat_q4_1IN3c108BFloat16ELb0EEvPKvS3_PT_iiiii
    .private_segment_fixed_size: 0
    .sgpr_count:     17
    .sgpr_spill_count: 0
    .symbol:         _ZL12mul_mat_q4_1IN3c108BFloat16ELb0EEvPKvS3_PT_iiiii.kd
    .uniform_work_group_size: 1
    .uses_dynamic_stack: false
    .vgpr_count:     163
    .vgpr_spill_count: 0
    .wavefront_size: 32
    .workgroup_processor_mode: 1
  - .args:
      - .actual_access:  read_only
        .address_space:  global
        .offset:         0
        .size:           8
        .value_kind:     global_buffer
      - .actual_access:  read_only
        .address_space:  global
        .offset:         8
        .size:           8
        .value_kind:     global_buffer
      - .actual_access:  write_only
        .address_space:  global
        .offset:         16
        .size:           8
        .value_kind:     global_buffer
      - .offset:         24
        .size:           4
        .value_kind:     by_value
      - .offset:         28
        .size:           4
        .value_kind:     by_value
      - .offset:         32
        .size:           4
        .value_kind:     by_value
      - .offset:         36
        .size:           4
        .value_kind:     by_value
      - .offset:         40
        .size:           4
        .value_kind:     by_value
    .group_segment_fixed_size: 30336
    .kernarg_segment_align: 8
    .kernarg_segment_size: 44
    .language:       OpenCL C
    .language_version:
      - 2
      - 0
    .max_flat_workgroup_size: 256
    .name:           _ZL12mul_mat_q4_1IN3c108BFloat16ELb1EEvPKvS3_PT_iiiii
    .private_segment_fixed_size: 0
    .sgpr_count:     17
    .sgpr_spill_count: 0
    .symbol:         _ZL12mul_mat_q4_1IN3c108BFloat16ELb1EEvPKvS3_PT_iiiii.kd
    .uniform_work_group_size: 1
    .uses_dynamic_stack: false
    .vgpr_count:     169
    .vgpr_spill_count: 0
    .wavefront_size: 32
    .workgroup_processor_mode: 1
  - .args:
      - .actual_access:  read_only
        .address_space:  global
        .offset:         0
        .size:           8
        .value_kind:     global_buffer
      - .actual_access:  read_only
        .address_space:  global
        .offset:         8
        .size:           8
        .value_kind:     global_buffer
      - .actual_access:  write_only
        .address_space:  global
        .offset:         16
        .size:           8
        .value_kind:     global_buffer
      - .offset:         24
        .size:           4
        .value_kind:     by_value
      - .offset:         28
        .size:           4
        .value_kind:     by_value
      - .offset:         32
        .size:           4
        .value_kind:     by_value
      - .offset:         36
        .size:           4
        .value_kind:     by_value
      - .offset:         40
        .size:           4
        .value_kind:     by_value
    .group_segment_fixed_size: 46720
    .kernarg_segment_align: 8
    .kernarg_segment_size: 44
    .language:       OpenCL C
    .language_version:
      - 2
      - 0
    .max_flat_workgroup_size: 256
    .name:           _ZL12mul_mat_q5_0IN3c108BFloat16ELb0EEvPKvS3_PT_iiiii
    .private_segment_fixed_size: 0
    .sgpr_count:     17
    .sgpr_spill_count: 0
    .symbol:         _ZL12mul_mat_q5_0IN3c108BFloat16ELb0EEvPKvS3_PT_iiiii.kd
    .uniform_work_group_size: 1
    .uses_dynamic_stack: false
    .vgpr_count:     200
    .vgpr_spill_count: 0
    .wavefront_size: 32
    .workgroup_processor_mode: 1
  - .args:
      - .actual_access:  read_only
        .address_space:  global
        .offset:         0
        .size:           8
        .value_kind:     global_buffer
      - .actual_access:  read_only
        .address_space:  global
        .offset:         8
        .size:           8
        .value_kind:     global_buffer
      - .actual_access:  write_only
        .address_space:  global
        .offset:         16
        .size:           8
        .value_kind:     global_buffer
      - .offset:         24
        .size:           4
        .value_kind:     by_value
      - .offset:         28
        .size:           4
        .value_kind:     by_value
      - .offset:         32
        .size:           4
        .value_kind:     by_value
      - .offset:         36
        .size:           4
        .value_kind:     by_value
      - .offset:         40
        .size:           4
        .value_kind:     by_value
    .group_segment_fixed_size: 46720
    .kernarg_segment_align: 8
    .kernarg_segment_size: 44
    .language:       OpenCL C
    .language_version:
      - 2
      - 0
    .max_flat_workgroup_size: 256
    .name:           _ZL12mul_mat_q5_0IN3c108BFloat16ELb1EEvPKvS3_PT_iiiii
    .private_segment_fixed_size: 0
    .sgpr_count:     17
    .sgpr_spill_count: 0
    .symbol:         _ZL12mul_mat_q5_0IN3c108BFloat16ELb1EEvPKvS3_PT_iiiii.kd
    .uniform_work_group_size: 1
    .uses_dynamic_stack: false
    .vgpr_count:     200
    .vgpr_spill_count: 0
    .wavefront_size: 32
    .workgroup_processor_mode: 1
  - .args:
      - .actual_access:  read_only
        .address_space:  global
        .offset:         0
        .size:           8
        .value_kind:     global_buffer
      - .actual_access:  read_only
        .address_space:  global
        .offset:         8
        .size:           8
        .value_kind:     global_buffer
      - .actual_access:  write_only
        .address_space:  global
        .offset:         16
        .size:           8
        .value_kind:     global_buffer
      - .offset:         24
        .size:           4
        .value_kind:     by_value
      - .offset:         28
        .size:           4
        .value_kind:     by_value
      - .offset:         32
        .size:           4
        .value_kind:     by_value
      - .offset:         36
        .size:           4
        .value_kind:     by_value
      - .offset:         40
        .size:           4
        .value_kind:     by_value
    .group_segment_fixed_size: 46720
    .kernarg_segment_align: 8
    .kernarg_segment_size: 44
    .language:       OpenCL C
    .language_version:
      - 2
      - 0
    .max_flat_workgroup_size: 256
    .name:           _ZL12mul_mat_q5_1IN3c108BFloat16ELb0EEvPKvS3_PT_iiiii
    .private_segment_fixed_size: 0
    .sgpr_count:     17
    .sgpr_spill_count: 0
    .symbol:         _ZL12mul_mat_q5_1IN3c108BFloat16ELb0EEvPKvS3_PT_iiiii.kd
    .uniform_work_group_size: 1
    .uses_dynamic_stack: false
    .vgpr_count:     222
    .vgpr_spill_count: 0
    .wavefront_size: 32
    .workgroup_processor_mode: 1
  - .args:
      - .actual_access:  read_only
        .address_space:  global
        .offset:         0
        .size:           8
        .value_kind:     global_buffer
      - .actual_access:  read_only
        .address_space:  global
        .offset:         8
        .size:           8
        .value_kind:     global_buffer
      - .actual_access:  write_only
        .address_space:  global
        .offset:         16
        .size:           8
        .value_kind:     global_buffer
      - .offset:         24
        .size:           4
        .value_kind:     by_value
      - .offset:         28
        .size:           4
        .value_kind:     by_value
      - .offset:         32
        .size:           4
        .value_kind:     by_value
      - .offset:         36
        .size:           4
        .value_kind:     by_value
      - .offset:         40
        .size:           4
        .value_kind:     by_value
    .group_segment_fixed_size: 46720
    .kernarg_segment_align: 8
    .kernarg_segment_size: 44
    .language:       OpenCL C
    .language_version:
      - 2
      - 0
    .max_flat_workgroup_size: 256
    .name:           _ZL12mul_mat_q5_1IN3c108BFloat16ELb1EEvPKvS3_PT_iiiii
    .private_segment_fixed_size: 0
    .sgpr_count:     17
    .sgpr_spill_count: 0
    .symbol:         _ZL12mul_mat_q5_1IN3c108BFloat16ELb1EEvPKvS3_PT_iiiii.kd
    .uniform_work_group_size: 1
    .uses_dynamic_stack: false
    .vgpr_count:     222
    .vgpr_spill_count: 0
    .wavefront_size: 32
    .workgroup_processor_mode: 1
  - .args:
      - .actual_access:  read_only
        .address_space:  global
        .offset:         0
        .size:           8
        .value_kind:     global_buffer
      - .actual_access:  read_only
        .address_space:  global
        .offset:         8
        .size:           8
        .value_kind:     global_buffer
      - .actual_access:  write_only
        .address_space:  global
        .offset:         16
        .size:           8
        .value_kind:     global_buffer
      - .offset:         24
        .size:           4
        .value_kind:     by_value
      - .offset:         28
        .size:           4
        .value_kind:     by_value
      - .offset:         32
        .size:           4
        .value_kind:     by_value
      - .offset:         36
        .size:           4
        .value_kind:     by_value
      - .offset:         40
        .size:           4
        .value_kind:     by_value
    .group_segment_fixed_size: 28224
    .kernarg_segment_align: 8
    .kernarg_segment_size: 44
    .language:       OpenCL C
    .language_version:
      - 2
      - 0
    .max_flat_workgroup_size: 256
    .name:           _ZL12mul_mat_q8_0IN3c108BFloat16ELb0EEvPKvS3_PT_iiiii
    .private_segment_fixed_size: 0
    .sgpr_count:     17
    .sgpr_spill_count: 0
    .symbol:         _ZL12mul_mat_q8_0IN3c108BFloat16ELb0EEvPKvS3_PT_iiiii.kd
    .uniform_work_group_size: 1
    .uses_dynamic_stack: false
    .vgpr_count:     143
    .vgpr_spill_count: 0
    .wavefront_size: 32
    .workgroup_processor_mode: 1
  - .args:
      - .actual_access:  read_only
        .address_space:  global
        .offset:         0
        .size:           8
        .value_kind:     global_buffer
      - .actual_access:  read_only
        .address_space:  global
        .offset:         8
        .size:           8
        .value_kind:     global_buffer
      - .actual_access:  write_only
        .address_space:  global
        .offset:         16
        .size:           8
        .value_kind:     global_buffer
      - .offset:         24
        .size:           4
        .value_kind:     by_value
      - .offset:         28
        .size:           4
        .value_kind:     by_value
      - .offset:         32
        .size:           4
        .value_kind:     by_value
      - .offset:         36
        .size:           4
        .value_kind:     by_value
      - .offset:         40
        .size:           4
        .value_kind:     by_value
    .group_segment_fixed_size: 28224
    .kernarg_segment_align: 8
    .kernarg_segment_size: 44
    .language:       OpenCL C
    .language_version:
      - 2
      - 0
    .max_flat_workgroup_size: 256
    .name:           _ZL12mul_mat_q8_0IN3c108BFloat16ELb1EEvPKvS3_PT_iiiii
    .private_segment_fixed_size: 0
    .sgpr_count:     17
    .sgpr_spill_count: 0
    .symbol:         _ZL12mul_mat_q8_0IN3c108BFloat16ELb1EEvPKvS3_PT_iiiii.kd
    .uniform_work_group_size: 1
    .uses_dynamic_stack: false
    .vgpr_count:     156
    .vgpr_spill_count: 0
    .wavefront_size: 32
    .workgroup_processor_mode: 1
  - .args:
      - .actual_access:  read_only
        .address_space:  global
        .offset:         0
        .size:           8
        .value_kind:     global_buffer
      - .actual_access:  read_only
        .address_space:  global
        .offset:         8
        .size:           8
        .value_kind:     global_buffer
      - .actual_access:  write_only
        .address_space:  global
        .offset:         16
        .size:           8
        .value_kind:     global_buffer
      - .offset:         24
        .size:           4
        .value_kind:     by_value
      - .offset:         28
        .size:           4
        .value_kind:     by_value
      - .offset:         32
        .size:           4
        .value_kind:     by_value
      - .offset:         36
        .size:           4
        .value_kind:     by_value
      - .offset:         40
        .size:           4
        .value_kind:     by_value
    .group_segment_fixed_size: 31392
    .kernarg_segment_align: 8
    .kernarg_segment_size: 44
    .language:       OpenCL C
    .language_version:
      - 2
      - 0
    .max_flat_workgroup_size: 256
    .name:           _ZL12mul_mat_q2_KIN3c108BFloat16ELb0EEvPKvS3_PT_iiiii
    .private_segment_fixed_size: 12
    .sgpr_count:     22
    .sgpr_spill_count: 0
    .symbol:         _ZL12mul_mat_q2_KIN3c108BFloat16ELb0EEvPKvS3_PT_iiiii.kd
    .uniform_work_group_size: 1
    .uses_dynamic_stack: false
    .vgpr_count:     256
    .vgpr_spill_count: 2
    .wavefront_size: 32
    .workgroup_processor_mode: 1
  - .args:
      - .actual_access:  read_only
        .address_space:  global
        .offset:         0
        .size:           8
        .value_kind:     global_buffer
      - .actual_access:  read_only
        .address_space:  global
        .offset:         8
        .size:           8
        .value_kind:     global_buffer
      - .actual_access:  write_only
        .address_space:  global
        .offset:         16
        .size:           8
        .value_kind:     global_buffer
      - .offset:         24
        .size:           4
        .value_kind:     by_value
      - .offset:         28
        .size:           4
        .value_kind:     by_value
      - .offset:         32
        .size:           4
        .value_kind:     by_value
      - .offset:         36
        .size:           4
        .value_kind:     by_value
      - .offset:         40
        .size:           4
        .value_kind:     by_value
    .group_segment_fixed_size: 31392
    .kernarg_segment_align: 8
    .kernarg_segment_size: 44
    .language:       OpenCL C
    .language_version:
      - 2
      - 0
    .max_flat_workgroup_size: 256
    .name:           _ZL12mul_mat_q2_KIN3c108BFloat16ELb1EEvPKvS3_PT_iiiii
    .private_segment_fixed_size: 52
    .sgpr_count:     22
    .sgpr_spill_count: 0
    .symbol:         _ZL12mul_mat_q2_KIN3c108BFloat16ELb1EEvPKvS3_PT_iiiii.kd
    .uniform_work_group_size: 1
    .uses_dynamic_stack: false
    .vgpr_count:     256
    .vgpr_spill_count: 12
    .wavefront_size: 32
    .workgroup_processor_mode: 1
  - .args:
      - .actual_access:  read_only
        .address_space:  global
        .offset:         0
        .size:           8
        .value_kind:     global_buffer
      - .actual_access:  read_only
        .address_space:  global
        .offset:         8
        .size:           8
        .value_kind:     global_buffer
      - .actual_access:  write_only
        .address_space:  global
        .offset:         16
        .size:           8
        .value_kind:     global_buffer
      - .offset:         24
        .size:           4
        .value_kind:     by_value
      - .offset:         28
        .size:           4
        .value_kind:     by_value
      - .offset:         32
        .size:           4
        .value_kind:     by_value
      - .offset:         36
        .size:           4
        .value_kind:     by_value
      - .offset:         40
        .size:           4
        .value_kind:     by_value
    .group_segment_fixed_size: 39840
    .kernarg_segment_align: 8
    .kernarg_segment_size: 44
    .language:       OpenCL C
    .language_version:
      - 2
      - 0
    .max_flat_workgroup_size: 256
    .name:           _ZL12mul_mat_q3_KIN3c108BFloat16ELb0EEvPKvS3_PT_iiiii
    .private_segment_fixed_size: 0
    .sgpr_count:     23
    .sgpr_spill_count: 0
    .symbol:         _ZL12mul_mat_q3_KIN3c108BFloat16ELb0EEvPKvS3_PT_iiiii.kd
    .uniform_work_group_size: 1
    .uses_dynamic_stack: false
    .vgpr_count:     240
    .vgpr_spill_count: 0
    .wavefront_size: 32
    .workgroup_processor_mode: 1
  - .args:
      - .actual_access:  read_only
        .address_space:  global
        .offset:         0
        .size:           8
        .value_kind:     global_buffer
      - .actual_access:  read_only
        .address_space:  global
        .offset:         8
        .size:           8
        .value_kind:     global_buffer
      - .actual_access:  write_only
        .address_space:  global
        .offset:         16
        .size:           8
        .value_kind:     global_buffer
      - .offset:         24
        .size:           4
        .value_kind:     by_value
      - .offset:         28
        .size:           4
        .value_kind:     by_value
      - .offset:         32
        .size:           4
        .value_kind:     by_value
      - .offset:         36
        .size:           4
        .value_kind:     by_value
      - .offset:         40
        .size:           4
        .value_kind:     by_value
    .group_segment_fixed_size: 39840
    .kernarg_segment_align: 8
    .kernarg_segment_size: 44
    .language:       OpenCL C
    .language_version:
      - 2
      - 0
    .max_flat_workgroup_size: 256
    .name:           _ZL12mul_mat_q3_KIN3c108BFloat16ELb1EEvPKvS3_PT_iiiii
    .private_segment_fixed_size: 0
    .sgpr_count:     23
    .sgpr_spill_count: 0
    .symbol:         _ZL12mul_mat_q3_KIN3c108BFloat16ELb1EEvPKvS3_PT_iiiii.kd
    .uniform_work_group_size: 1
    .uses_dynamic_stack: false
    .vgpr_count:     242
    .vgpr_spill_count: 0
    .wavefront_size: 32
    .workgroup_processor_mode: 1
  - .args:
      - .actual_access:  read_only
        .address_space:  global
        .offset:         0
        .size:           8
        .value_kind:     global_buffer
      - .actual_access:  read_only
        .address_space:  global
        .offset:         8
        .size:           8
        .value_kind:     global_buffer
      - .actual_access:  write_only
        .address_space:  global
        .offset:         16
        .size:           8
        .value_kind:     global_buffer
      - .offset:         24
        .size:           4
        .value_kind:     by_value
      - .offset:         28
        .size:           4
        .value_kind:     by_value
      - .offset:         32
        .size:           4
        .value_kind:     by_value
      - .offset:         36
        .size:           4
        .value_kind:     by_value
      - .offset:         40
        .size:           4
        .value_kind:     by_value
    .group_segment_fixed_size: 28752
    .kernarg_segment_align: 8
    .kernarg_segment_size: 44
    .language:       OpenCL C
    .language_version:
      - 2
      - 0
    .max_flat_workgroup_size: 256
    .name:           _ZL12mul_mat_q4_KIN3c108BFloat16ELb0EEvPKvS3_PT_iiiii
    .private_segment_fixed_size: 0
    .sgpr_count:     19
    .sgpr_spill_count: 0
    .symbol:         _ZL12mul_mat_q4_KIN3c108BFloat16ELb0EEvPKvS3_PT_iiiii.kd
    .uniform_work_group_size: 1
    .uses_dynamic_stack: false
    .vgpr_count:     255
    .vgpr_spill_count: 0
    .wavefront_size: 32
    .workgroup_processor_mode: 1
  - .args:
      - .actual_access:  read_only
        .address_space:  global
        .offset:         0
        .size:           8
        .value_kind:     global_buffer
      - .actual_access:  read_only
        .address_space:  global
        .offset:         8
        .size:           8
        .value_kind:     global_buffer
      - .actual_access:  write_only
        .address_space:  global
        .offset:         16
        .size:           8
        .value_kind:     global_buffer
      - .offset:         24
        .size:           4
        .value_kind:     by_value
      - .offset:         28
        .size:           4
        .value_kind:     by_value
      - .offset:         32
        .size:           4
        .value_kind:     by_value
      - .offset:         36
        .size:           4
        .value_kind:     by_value
      - .offset:         40
        .size:           4
        .value_kind:     by_value
    .group_segment_fixed_size: 28752
    .kernarg_segment_align: 8
    .kernarg_segment_size: 44
    .language:       OpenCL C
    .language_version:
      - 2
      - 0
    .max_flat_workgroup_size: 256
    .name:           _ZL12mul_mat_q4_KIN3c108BFloat16ELb1EEvPKvS3_PT_iiiii
    .private_segment_fixed_size: 0
    .sgpr_count:     19
    .sgpr_spill_count: 0
    .symbol:         _ZL12mul_mat_q4_KIN3c108BFloat16ELb1EEvPKvS3_PT_iiiii.kd
    .uniform_work_group_size: 1
    .uses_dynamic_stack: false
    .vgpr_count:     255
    .vgpr_spill_count: 0
    .wavefront_size: 32
    .workgroup_processor_mode: 1
  - .args:
      - .actual_access:  read_only
        .address_space:  global
        .offset:         0
        .size:           8
        .value_kind:     global_buffer
      - .actual_access:  read_only
        .address_space:  global
        .offset:         8
        .size:           8
        .value_kind:     global_buffer
      - .actual_access:  write_only
        .address_space:  global
        .offset:         16
        .size:           8
        .value_kind:     global_buffer
      - .offset:         24
        .size:           4
        .value_kind:     by_value
      - .offset:         28
        .size:           4
        .value_kind:     by_value
      - .offset:         32
        .size:           4
        .value_kind:     by_value
      - .offset:         36
        .size:           4
        .value_kind:     by_value
      - .offset:         40
        .size:           4
        .value_kind:     by_value
    .group_segment_fixed_size: 45136
    .kernarg_segment_align: 8
    .kernarg_segment_size: 44
    .language:       OpenCL C
    .language_version:
      - 2
      - 0
    .max_flat_workgroup_size: 256
    .name:           _ZL12mul_mat_q5_KIN3c108BFloat16ELb0EEvPKvS3_PT_iiiii
    .private_segment_fixed_size: 0
    .sgpr_count:     19
    .sgpr_spill_count: 0
    .symbol:         _ZL12mul_mat_q5_KIN3c108BFloat16ELb0EEvPKvS3_PT_iiiii.kd
    .uniform_work_group_size: 1
    .uses_dynamic_stack: false
    .vgpr_count:     244
    .vgpr_spill_count: 0
    .wavefront_size: 32
    .workgroup_processor_mode: 1
  - .args:
      - .actual_access:  read_only
        .address_space:  global
        .offset:         0
        .size:           8
        .value_kind:     global_buffer
      - .actual_access:  read_only
        .address_space:  global
        .offset:         8
        .size:           8
        .value_kind:     global_buffer
      - .actual_access:  write_only
        .address_space:  global
        .offset:         16
        .size:           8
        .value_kind:     global_buffer
      - .offset:         24
        .size:           4
        .value_kind:     by_value
      - .offset:         28
        .size:           4
        .value_kind:     by_value
      - .offset:         32
        .size:           4
        .value_kind:     by_value
      - .offset:         36
        .size:           4
        .value_kind:     by_value
      - .offset:         40
        .size:           4
        .value_kind:     by_value
    .group_segment_fixed_size: 45136
    .kernarg_segment_align: 8
    .kernarg_segment_size: 44
    .language:       OpenCL C
    .language_version:
      - 2
      - 0
    .max_flat_workgroup_size: 256
    .name:           _ZL12mul_mat_q5_KIN3c108BFloat16ELb1EEvPKvS3_PT_iiiii
    .private_segment_fixed_size: 0
    .sgpr_count:     19
    .sgpr_spill_count: 0
    .symbol:         _ZL12mul_mat_q5_KIN3c108BFloat16ELb1EEvPKvS3_PT_iiiii.kd
    .uniform_work_group_size: 1
    .uses_dynamic_stack: false
    .vgpr_count:     244
    .vgpr_spill_count: 0
    .wavefront_size: 32
    .workgroup_processor_mode: 1
  - .args:
      - .actual_access:  read_only
        .address_space:  global
        .offset:         0
        .size:           8
        .value_kind:     global_buffer
      - .actual_access:  read_only
        .address_space:  global
        .offset:         8
        .size:           8
        .value_kind:     global_buffer
      - .actual_access:  write_only
        .address_space:  global
        .offset:         16
        .size:           8
        .value_kind:     global_buffer
      - .offset:         24
        .size:           4
        .value_kind:     by_value
      - .offset:         28
        .size:           4
        .value_kind:     by_value
      - .offset:         32
        .size:           4
        .value_kind:     by_value
      - .offset:         36
        .size:           4
        .value_kind:     by_value
      - .offset:         40
        .size:           4
        .value_kind:     by_value
    .group_segment_fixed_size: 45136
    .kernarg_segment_align: 8
    .kernarg_segment_size: 44
    .language:       OpenCL C
    .language_version:
      - 2
      - 0
    .max_flat_workgroup_size: 256
    .name:           _ZL12mul_mat_q6_KIN3c108BFloat16ELb0EEvPKvS3_PT_iiiii
    .private_segment_fixed_size: 136
    .sgpr_count:     26
    .sgpr_spill_count: 0
    .symbol:         _ZL12mul_mat_q6_KIN3c108BFloat16ELb0EEvPKvS3_PT_iiiii.kd
    .uniform_work_group_size: 1
    .uses_dynamic_stack: false
    .vgpr_count:     256
    .vgpr_spill_count: 33
    .wavefront_size: 32
    .workgroup_processor_mode: 1
  - .args:
      - .actual_access:  read_only
        .address_space:  global
        .offset:         0
        .size:           8
        .value_kind:     global_buffer
      - .actual_access:  read_only
        .address_space:  global
        .offset:         8
        .size:           8
        .value_kind:     global_buffer
      - .actual_access:  write_only
        .address_space:  global
        .offset:         16
        .size:           8
        .value_kind:     global_buffer
      - .offset:         24
        .size:           4
        .value_kind:     by_value
      - .offset:         28
        .size:           4
        .value_kind:     by_value
      - .offset:         32
        .size:           4
        .value_kind:     by_value
      - .offset:         36
        .size:           4
        .value_kind:     by_value
      - .offset:         40
        .size:           4
        .value_kind:     by_value
    .group_segment_fixed_size: 45136
    .kernarg_segment_align: 8
    .kernarg_segment_size: 44
    .language:       OpenCL C
    .language_version:
      - 2
      - 0
    .max_flat_workgroup_size: 256
    .name:           _ZL12mul_mat_q6_KIN3c108BFloat16ELb1EEvPKvS3_PT_iiiii
    .private_segment_fixed_size: 300
    .sgpr_count:     26
    .sgpr_spill_count: 0
    .symbol:         _ZL12mul_mat_q6_KIN3c108BFloat16ELb1EEvPKvS3_PT_iiiii.kd
    .uniform_work_group_size: 1
    .uses_dynamic_stack: false
    .vgpr_count:     256
    .vgpr_spill_count: 74
    .wavefront_size: 32
    .workgroup_processor_mode: 1
  - .args:
      - .actual_access:  read_only
        .address_space:  global
        .offset:         0
        .size:           8
        .value_kind:     global_buffer
      - .actual_access:  read_only
        .address_space:  global
        .offset:         8
        .size:           8
        .value_kind:     global_buffer
      - .actual_access:  write_only
        .address_space:  global
        .offset:         16
        .size:           8
        .value_kind:     global_buffer
      - .address_space:  global
        .offset:         24
        .size:           8
        .value_kind:     global_buffer
      - .address_space:  global
        .offset:         32
        .size:           8
        .value_kind:     global_buffer
      - .address_space:  global
        .offset:         40
        .size:           8
        .value_kind:     global_buffer
      - .offset:         48
        .size:           4
        .value_kind:     by_value
      - .offset:         52
        .size:           4
        .value_kind:     by_value
      - .offset:         56
        .size:           4
        .value_kind:     by_value
      - .offset:         60
        .size:           4
        .value_kind:     by_value
      - .offset:         64
        .size:           4
        .value_kind:     by_value
      - .offset:         68
        .size:           4
        .value_kind:     by_value
      - .offset:         72
        .size:           4
        .value_kind:     by_value
    .group_segment_fixed_size: 22272
    .kernarg_segment_align: 8
    .kernarg_segment_size: 76
    .language:       OpenCL C
    .language_version:
      - 2
      - 0
    .max_flat_workgroup_size: 256
    .name:           _ZL8moe_q4_0IfLb0EEvPKvS1_PT_PKiS5_S5_iiiiiii
    .private_segment_fixed_size: 0
    .sgpr_count:     21
    .sgpr_spill_count: 0
    .symbol:         _ZL8moe_q4_0IfLb0EEvPKvS1_PT_PKiS5_S5_iiiiiii.kd
    .uniform_work_group_size: 1
    .uses_dynamic_stack: false
    .vgpr_count:     111
    .vgpr_spill_count: 0
    .wavefront_size: 32
    .workgroup_processor_mode: 1
  - .args:
      - .actual_access:  read_only
        .address_space:  global
        .offset:         0
        .size:           8
        .value_kind:     global_buffer
      - .actual_access:  read_only
        .address_space:  global
        .offset:         8
        .size:           8
        .value_kind:     global_buffer
      - .actual_access:  write_only
        .address_space:  global
        .offset:         16
        .size:           8
        .value_kind:     global_buffer
      - .address_space:  global
        .offset:         24
        .size:           8
        .value_kind:     global_buffer
      - .address_space:  global
        .offset:         32
        .size:           8
        .value_kind:     global_buffer
      - .address_space:  global
        .offset:         40
        .size:           8
        .value_kind:     global_buffer
      - .offset:         48
        .size:           4
        .value_kind:     by_value
      - .offset:         52
        .size:           4
        .value_kind:     by_value
      - .offset:         56
        .size:           4
        .value_kind:     by_value
      - .offset:         60
        .size:           4
        .value_kind:     by_value
      - .offset:         64
        .size:           4
        .value_kind:     by_value
      - .offset:         68
        .size:           4
        .value_kind:     by_value
      - .offset:         72
        .size:           4
        .value_kind:     by_value
    .group_segment_fixed_size: 22272
    .kernarg_segment_align: 8
    .kernarg_segment_size: 76
    .language:       OpenCL C
    .language_version:
      - 2
      - 0
    .max_flat_workgroup_size: 256
    .name:           _ZL8moe_q4_0IfLb1EEvPKvS1_PT_PKiS5_S5_iiiiiii
    .private_segment_fixed_size: 0
    .sgpr_count:     21
    .sgpr_spill_count: 0
    .symbol:         _ZL8moe_q4_0IfLb1EEvPKvS1_PT_PKiS5_S5_iiiiiii.kd
    .uniform_work_group_size: 1
    .uses_dynamic_stack: false
    .vgpr_count:     125
    .vgpr_spill_count: 0
    .wavefront_size: 32
    .workgroup_processor_mode: 1
  - .args:
      - .actual_access:  read_only
        .address_space:  global
        .offset:         0
        .size:           8
        .value_kind:     global_buffer
      - .actual_access:  read_only
        .address_space:  global
        .offset:         8
        .size:           8
        .value_kind:     global_buffer
      - .actual_access:  write_only
        .address_space:  global
        .offset:         16
        .size:           8
        .value_kind:     global_buffer
      - .address_space:  global
        .offset:         24
        .size:           8
        .value_kind:     global_buffer
      - .address_space:  global
        .offset:         32
        .size:           8
        .value_kind:     global_buffer
      - .address_space:  global
        .offset:         40
        .size:           8
        .value_kind:     global_buffer
      - .offset:         48
        .size:           4
        .value_kind:     by_value
      - .offset:         52
        .size:           4
        .value_kind:     by_value
      - .offset:         56
        .size:           4
        .value_kind:     by_value
      - .offset:         60
        .size:           4
        .value_kind:     by_value
      - .offset:         64
        .size:           4
        .value_kind:     by_value
      - .offset:         68
        .size:           4
        .value_kind:     by_value
      - .offset:         72
        .size:           4
        .value_kind:     by_value
    .group_segment_fixed_size: 22272
    .kernarg_segment_align: 8
    .kernarg_segment_size: 76
    .language:       OpenCL C
    .language_version:
      - 2
      - 0
    .max_flat_workgroup_size: 256
    .name:           _ZL8moe_q4_1IfLb0EEvPKvS1_PT_PKiS5_S5_iiiiiii
    .private_segment_fixed_size: 0
    .sgpr_count:     21
    .sgpr_spill_count: 0
    .symbol:         _ZL8moe_q4_1IfLb0EEvPKvS1_PT_PKiS5_S5_iiiiiii.kd
    .uniform_work_group_size: 1
    .uses_dynamic_stack: false
    .vgpr_count:     111
    .vgpr_spill_count: 0
    .wavefront_size: 32
    .workgroup_processor_mode: 1
  - .args:
      - .actual_access:  read_only
        .address_space:  global
        .offset:         0
        .size:           8
        .value_kind:     global_buffer
      - .actual_access:  read_only
        .address_space:  global
        .offset:         8
        .size:           8
        .value_kind:     global_buffer
      - .actual_access:  write_only
        .address_space:  global
        .offset:         16
        .size:           8
        .value_kind:     global_buffer
      - .address_space:  global
        .offset:         24
        .size:           8
        .value_kind:     global_buffer
      - .address_space:  global
        .offset:         32
        .size:           8
        .value_kind:     global_buffer
      - .address_space:  global
        .offset:         40
        .size:           8
        .value_kind:     global_buffer
      - .offset:         48
        .size:           4
        .value_kind:     by_value
      - .offset:         52
        .size:           4
        .value_kind:     by_value
      - .offset:         56
        .size:           4
        .value_kind:     by_value
      - .offset:         60
        .size:           4
        .value_kind:     by_value
      - .offset:         64
        .size:           4
        .value_kind:     by_value
      - .offset:         68
        .size:           4
        .value_kind:     by_value
      - .offset:         72
        .size:           4
        .value_kind:     by_value
    .group_segment_fixed_size: 22272
    .kernarg_segment_align: 8
    .kernarg_segment_size: 76
    .language:       OpenCL C
    .language_version:
      - 2
      - 0
    .max_flat_workgroup_size: 256
    .name:           _ZL8moe_q4_1IfLb1EEvPKvS1_PT_PKiS5_S5_iiiiiii
    .private_segment_fixed_size: 0
    .sgpr_count:     21
    .sgpr_spill_count: 0
    .symbol:         _ZL8moe_q4_1IfLb1EEvPKvS1_PT_PKiS5_S5_iiiiiii.kd
    .uniform_work_group_size: 1
    .uses_dynamic_stack: false
    .vgpr_count:     125
    .vgpr_spill_count: 0
    .wavefront_size: 32
    .workgroup_processor_mode: 1
  - .args:
      - .actual_access:  read_only
        .address_space:  global
        .offset:         0
        .size:           8
        .value_kind:     global_buffer
      - .actual_access:  read_only
        .address_space:  global
        .offset:         8
        .size:           8
        .value_kind:     global_buffer
      - .actual_access:  write_only
        .address_space:  global
        .offset:         16
        .size:           8
        .value_kind:     global_buffer
      - .address_space:  global
        .offset:         24
        .size:           8
        .value_kind:     global_buffer
      - .address_space:  global
        .offset:         32
        .size:           8
        .value_kind:     global_buffer
      - .address_space:  global
        .offset:         40
        .size:           8
        .value_kind:     global_buffer
      - .offset:         48
        .size:           4
        .value_kind:     by_value
      - .offset:         52
        .size:           4
        .value_kind:     by_value
      - .offset:         56
        .size:           4
        .value_kind:     by_value
      - .offset:         60
        .size:           4
        .value_kind:     by_value
      - .offset:         64
        .size:           4
        .value_kind:     by_value
      - .offset:         68
        .size:           4
        .value_kind:     by_value
      - .offset:         72
        .size:           4
        .value_kind:     by_value
    .group_segment_fixed_size: 38656
    .kernarg_segment_align: 8
    .kernarg_segment_size: 76
    .language:       OpenCL C
    .language_version:
      - 2
      - 0
    .max_flat_workgroup_size: 256
    .name:           _ZL8moe_q5_0IfLb0EEvPKvS1_PT_PKiS5_S5_iiiiiii
    .private_segment_fixed_size: 0
    .sgpr_count:     23
    .sgpr_spill_count: 0
    .symbol:         _ZL8moe_q5_0IfLb0EEvPKvS1_PT_PKiS5_S5_iiiiiii.kd
    .uniform_work_group_size: 1
    .uses_dynamic_stack: false
    .vgpr_count:     185
    .vgpr_spill_count: 0
    .wavefront_size: 32
    .workgroup_processor_mode: 1
  - .args:
      - .actual_access:  read_only
        .address_space:  global
        .offset:         0
        .size:           8
        .value_kind:     global_buffer
      - .actual_access:  read_only
        .address_space:  global
        .offset:         8
        .size:           8
        .value_kind:     global_buffer
      - .actual_access:  write_only
        .address_space:  global
        .offset:         16
        .size:           8
        .value_kind:     global_buffer
      - .address_space:  global
        .offset:         24
        .size:           8
        .value_kind:     global_buffer
      - .address_space:  global
        .offset:         32
        .size:           8
        .value_kind:     global_buffer
      - .address_space:  global
        .offset:         40
        .size:           8
        .value_kind:     global_buffer
      - .offset:         48
        .size:           4
        .value_kind:     by_value
      - .offset:         52
        .size:           4
        .value_kind:     by_value
      - .offset:         56
        .size:           4
        .value_kind:     by_value
      - .offset:         60
        .size:           4
        .value_kind:     by_value
      - .offset:         64
        .size:           4
        .value_kind:     by_value
      - .offset:         68
        .size:           4
        .value_kind:     by_value
      - .offset:         72
        .size:           4
        .value_kind:     by_value
    .group_segment_fixed_size: 38656
    .kernarg_segment_align: 8
    .kernarg_segment_size: 76
    .language:       OpenCL C
    .language_version:
      - 2
      - 0
    .max_flat_workgroup_size: 256
    .name:           _ZL8moe_q5_0IfLb1EEvPKvS1_PT_PKiS5_S5_iiiiiii
    .private_segment_fixed_size: 0
    .sgpr_count:     22
    .sgpr_spill_count: 0
    .symbol:         _ZL8moe_q5_0IfLb1EEvPKvS1_PT_PKiS5_S5_iiiiiii.kd
    .uniform_work_group_size: 1
    .uses_dynamic_stack: false
    .vgpr_count:     185
    .vgpr_spill_count: 0
    .wavefront_size: 32
    .workgroup_processor_mode: 1
  - .args:
      - .actual_access:  read_only
        .address_space:  global
        .offset:         0
        .size:           8
        .value_kind:     global_buffer
      - .actual_access:  read_only
        .address_space:  global
        .offset:         8
        .size:           8
        .value_kind:     global_buffer
      - .actual_access:  write_only
        .address_space:  global
        .offset:         16
        .size:           8
        .value_kind:     global_buffer
      - .address_space:  global
        .offset:         24
        .size:           8
        .value_kind:     global_buffer
      - .address_space:  global
        .offset:         32
        .size:           8
        .value_kind:     global_buffer
      - .address_space:  global
        .offset:         40
        .size:           8
        .value_kind:     global_buffer
      - .offset:         48
        .size:           4
        .value_kind:     by_value
      - .offset:         52
        .size:           4
        .value_kind:     by_value
      - .offset:         56
        .size:           4
        .value_kind:     by_value
      - .offset:         60
        .size:           4
        .value_kind:     by_value
      - .offset:         64
        .size:           4
        .value_kind:     by_value
      - .offset:         68
        .size:           4
        .value_kind:     by_value
      - .offset:         72
        .size:           4
        .value_kind:     by_value
    .group_segment_fixed_size: 38656
    .kernarg_segment_align: 8
    .kernarg_segment_size: 76
    .language:       OpenCL C
    .language_version:
      - 2
      - 0
    .max_flat_workgroup_size: 256
    .name:           _ZL8moe_q5_1IfLb0EEvPKvS1_PT_PKiS5_S5_iiiiiii
    .private_segment_fixed_size: 0
    .sgpr_count:     21
    .sgpr_spill_count: 0
    .symbol:         _ZL8moe_q5_1IfLb0EEvPKvS1_PT_PKiS5_S5_iiiiiii.kd
    .uniform_work_group_size: 1
    .uses_dynamic_stack: false
    .vgpr_count:     179
    .vgpr_spill_count: 0
    .wavefront_size: 32
    .workgroup_processor_mode: 1
  - .args:
      - .actual_access:  read_only
        .address_space:  global
        .offset:         0
        .size:           8
        .value_kind:     global_buffer
      - .actual_access:  read_only
        .address_space:  global
        .offset:         8
        .size:           8
        .value_kind:     global_buffer
      - .actual_access:  write_only
        .address_space:  global
        .offset:         16
        .size:           8
        .value_kind:     global_buffer
      - .address_space:  global
        .offset:         24
        .size:           8
        .value_kind:     global_buffer
      - .address_space:  global
        .offset:         32
        .size:           8
        .value_kind:     global_buffer
      - .address_space:  global
        .offset:         40
        .size:           8
        .value_kind:     global_buffer
      - .offset:         48
        .size:           4
        .value_kind:     by_value
      - .offset:         52
        .size:           4
        .value_kind:     by_value
      - .offset:         56
        .size:           4
        .value_kind:     by_value
      - .offset:         60
        .size:           4
        .value_kind:     by_value
      - .offset:         64
        .size:           4
        .value_kind:     by_value
      - .offset:         68
        .size:           4
        .value_kind:     by_value
      - .offset:         72
        .size:           4
        .value_kind:     by_value
    .group_segment_fixed_size: 38656
    .kernarg_segment_align: 8
    .kernarg_segment_size: 76
    .language:       OpenCL C
    .language_version:
      - 2
      - 0
    .max_flat_workgroup_size: 256
    .name:           _ZL8moe_q5_1IfLb1EEvPKvS1_PT_PKiS5_S5_iiiiiii
    .private_segment_fixed_size: 0
    .sgpr_count:     21
    .sgpr_spill_count: 0
    .symbol:         _ZL8moe_q5_1IfLb1EEvPKvS1_PT_PKiS5_S5_iiiiiii.kd
    .uniform_work_group_size: 1
    .uses_dynamic_stack: false
    .vgpr_count:     159
    .vgpr_spill_count: 0
    .wavefront_size: 32
    .workgroup_processor_mode: 1
  - .args:
      - .actual_access:  read_only
        .address_space:  global
        .offset:         0
        .size:           8
        .value_kind:     global_buffer
      - .actual_access:  read_only
        .address_space:  global
        .offset:         8
        .size:           8
        .value_kind:     global_buffer
      - .actual_access:  write_only
        .address_space:  global
        .offset:         16
        .size:           8
        .value_kind:     global_buffer
      - .address_space:  global
        .offset:         24
        .size:           8
        .value_kind:     global_buffer
      - .address_space:  global
        .offset:         32
        .size:           8
        .value_kind:     global_buffer
      - .address_space:  global
        .offset:         40
        .size:           8
        .value_kind:     global_buffer
      - .offset:         48
        .size:           4
        .value_kind:     by_value
      - .offset:         52
        .size:           4
        .value_kind:     by_value
      - .offset:         56
        .size:           4
        .value_kind:     by_value
      - .offset:         60
        .size:           4
        .value_kind:     by_value
      - .offset:         64
        .size:           4
        .value_kind:     by_value
      - .offset:         68
        .size:           4
        .value_kind:     by_value
      - .offset:         72
        .size:           4
        .value_kind:     by_value
    .group_segment_fixed_size: 20160
    .kernarg_segment_align: 8
    .kernarg_segment_size: 76
    .language:       OpenCL C
    .language_version:
      - 2
      - 0
    .max_flat_workgroup_size: 256
    .name:           _ZL8moe_q8_0IfLb0EEvPKvS1_PT_PKiS5_S5_iiiiiii
    .private_segment_fixed_size: 0
    .sgpr_count:     20
    .sgpr_spill_count: 0
    .symbol:         _ZL8moe_q8_0IfLb0EEvPKvS1_PT_PKiS5_S5_iiiiiii.kd
    .uniform_work_group_size: 1
    .uses_dynamic_stack: false
    .vgpr_count:     111
    .vgpr_spill_count: 0
    .wavefront_size: 32
    .workgroup_processor_mode: 1
  - .args:
      - .actual_access:  read_only
        .address_space:  global
        .offset:         0
        .size:           8
        .value_kind:     global_buffer
      - .actual_access:  read_only
        .address_space:  global
        .offset:         8
        .size:           8
        .value_kind:     global_buffer
      - .actual_access:  write_only
        .address_space:  global
        .offset:         16
        .size:           8
        .value_kind:     global_buffer
      - .address_space:  global
        .offset:         24
        .size:           8
        .value_kind:     global_buffer
      - .address_space:  global
        .offset:         32
        .size:           8
        .value_kind:     global_buffer
      - .address_space:  global
        .offset:         40
        .size:           8
        .value_kind:     global_buffer
      - .offset:         48
        .size:           4
        .value_kind:     by_value
      - .offset:         52
        .size:           4
        .value_kind:     by_value
      - .offset:         56
        .size:           4
        .value_kind:     by_value
      - .offset:         60
        .size:           4
        .value_kind:     by_value
      - .offset:         64
        .size:           4
        .value_kind:     by_value
      - .offset:         68
        .size:           4
        .value_kind:     by_value
      - .offset:         72
        .size:           4
        .value_kind:     by_value
    .group_segment_fixed_size: 20160
    .kernarg_segment_align: 8
    .kernarg_segment_size: 76
    .language:       OpenCL C
    .language_version:
      - 2
      - 0
    .max_flat_workgroup_size: 256
    .name:           _ZL8moe_q8_0IfLb1EEvPKvS1_PT_PKiS5_S5_iiiiiii
    .private_segment_fixed_size: 0
    .sgpr_count:     21
    .sgpr_spill_count: 0
    .symbol:         _ZL8moe_q8_0IfLb1EEvPKvS1_PT_PKiS5_S5_iiiiiii.kd
    .uniform_work_group_size: 1
    .uses_dynamic_stack: false
    .vgpr_count:     112
    .vgpr_spill_count: 0
    .wavefront_size: 32
    .workgroup_processor_mode: 1
  - .args:
      - .actual_access:  read_only
        .address_space:  global
        .offset:         0
        .size:           8
        .value_kind:     global_buffer
      - .actual_access:  read_only
        .address_space:  global
        .offset:         8
        .size:           8
        .value_kind:     global_buffer
      - .actual_access:  write_only
        .address_space:  global
        .offset:         16
        .size:           8
        .value_kind:     global_buffer
      - .address_space:  global
        .offset:         24
        .size:           8
        .value_kind:     global_buffer
      - .address_space:  global
        .offset:         32
        .size:           8
        .value_kind:     global_buffer
      - .address_space:  global
        .offset:         40
        .size:           8
        .value_kind:     global_buffer
      - .offset:         48
        .size:           4
        .value_kind:     by_value
      - .offset:         52
        .size:           4
        .value_kind:     by_value
      - .offset:         56
        .size:           4
        .value_kind:     by_value
      - .offset:         60
        .size:           4
        .value_kind:     by_value
      - .offset:         64
        .size:           4
        .value_kind:     by_value
      - .offset:         68
        .size:           4
        .value_kind:     by_value
      - .offset:         72
        .size:           4
        .value_kind:     by_value
    .group_segment_fixed_size: 23328
    .kernarg_segment_align: 8
    .kernarg_segment_size: 76
    .language:       OpenCL C
    .language_version:
      - 2
      - 0
    .max_flat_workgroup_size: 256
    .name:           _ZL8moe_q2_KIfLb0EEvPKvS1_PT_PKiS5_S5_iiiiiii
    .private_segment_fixed_size: 0
    .sgpr_count:     25
    .sgpr_spill_count: 0
    .symbol:         _ZL8moe_q2_KIfLb0EEvPKvS1_PT_PKiS5_S5_iiiiiii.kd
    .uniform_work_group_size: 1
    .uses_dynamic_stack: false
    .vgpr_count:     144
    .vgpr_spill_count: 0
    .wavefront_size: 32
    .workgroup_processor_mode: 1
  - .args:
      - .actual_access:  read_only
        .address_space:  global
        .offset:         0
        .size:           8
        .value_kind:     global_buffer
      - .actual_access:  read_only
        .address_space:  global
        .offset:         8
        .size:           8
        .value_kind:     global_buffer
      - .actual_access:  write_only
        .address_space:  global
        .offset:         16
        .size:           8
        .value_kind:     global_buffer
      - .address_space:  global
        .offset:         24
        .size:           8
        .value_kind:     global_buffer
      - .address_space:  global
        .offset:         32
        .size:           8
        .value_kind:     global_buffer
      - .address_space:  global
        .offset:         40
        .size:           8
        .value_kind:     global_buffer
      - .offset:         48
        .size:           4
        .value_kind:     by_value
      - .offset:         52
        .size:           4
        .value_kind:     by_value
      - .offset:         56
        .size:           4
        .value_kind:     by_value
      - .offset:         60
        .size:           4
        .value_kind:     by_value
      - .offset:         64
        .size:           4
        .value_kind:     by_value
      - .offset:         68
        .size:           4
        .value_kind:     by_value
      - .offset:         72
        .size:           4
        .value_kind:     by_value
    .group_segment_fixed_size: 23328
    .kernarg_segment_align: 8
    .kernarg_segment_size: 76
    .language:       OpenCL C
    .language_version:
      - 2
      - 0
    .max_flat_workgroup_size: 256
    .name:           _ZL8moe_q2_KIfLb1EEvPKvS1_PT_PKiS5_S5_iiiiiii
    .private_segment_fixed_size: 0
    .sgpr_count:     25
    .sgpr_spill_count: 0
    .symbol:         _ZL8moe_q2_KIfLb1EEvPKvS1_PT_PKiS5_S5_iiiiiii.kd
    .uniform_work_group_size: 1
    .uses_dynamic_stack: false
    .vgpr_count:     159
    .vgpr_spill_count: 0
    .wavefront_size: 32
    .workgroup_processor_mode: 1
  - .args:
      - .actual_access:  read_only
        .address_space:  global
        .offset:         0
        .size:           8
        .value_kind:     global_buffer
      - .actual_access:  read_only
        .address_space:  global
        .offset:         8
        .size:           8
        .value_kind:     global_buffer
      - .actual_access:  write_only
        .address_space:  global
        .offset:         16
        .size:           8
        .value_kind:     global_buffer
      - .address_space:  global
        .offset:         24
        .size:           8
        .value_kind:     global_buffer
      - .address_space:  global
        .offset:         32
        .size:           8
        .value_kind:     global_buffer
      - .address_space:  global
        .offset:         40
        .size:           8
        .value_kind:     global_buffer
      - .offset:         48
        .size:           4
        .value_kind:     by_value
      - .offset:         52
        .size:           4
        .value_kind:     by_value
      - .offset:         56
        .size:           4
        .value_kind:     by_value
      - .offset:         60
        .size:           4
        .value_kind:     by_value
      - .offset:         64
        .size:           4
        .value_kind:     by_value
      - .offset:         68
        .size:           4
        .value_kind:     by_value
      - .offset:         72
        .size:           4
        .value_kind:     by_value
    .group_segment_fixed_size: 31776
    .kernarg_segment_align: 8
    .kernarg_segment_size: 76
    .language:       OpenCL C
    .language_version:
      - 2
      - 0
    .max_flat_workgroup_size: 256
    .name:           _ZL8moe_q3_KIfLb0EEvPKvS1_PT_PKiS5_S5_iiiiiii
    .private_segment_fixed_size: 0
    .sgpr_count:     28
    .sgpr_spill_count: 0
    .symbol:         _ZL8moe_q3_KIfLb0EEvPKvS1_PT_PKiS5_S5_iiiiiii.kd
    .uniform_work_group_size: 1
    .uses_dynamic_stack: false
    .vgpr_count:     248
    .vgpr_spill_count: 0
    .wavefront_size: 32
    .workgroup_processor_mode: 1
  - .args:
      - .actual_access:  read_only
        .address_space:  global
        .offset:         0
        .size:           8
        .value_kind:     global_buffer
      - .actual_access:  read_only
        .address_space:  global
        .offset:         8
        .size:           8
        .value_kind:     global_buffer
      - .actual_access:  write_only
        .address_space:  global
        .offset:         16
        .size:           8
        .value_kind:     global_buffer
      - .address_space:  global
        .offset:         24
        .size:           8
        .value_kind:     global_buffer
      - .address_space:  global
        .offset:         32
        .size:           8
        .value_kind:     global_buffer
      - .address_space:  global
        .offset:         40
        .size:           8
        .value_kind:     global_buffer
      - .offset:         48
        .size:           4
        .value_kind:     by_value
      - .offset:         52
        .size:           4
        .value_kind:     by_value
      - .offset:         56
        .size:           4
        .value_kind:     by_value
      - .offset:         60
        .size:           4
        .value_kind:     by_value
      - .offset:         64
        .size:           4
        .value_kind:     by_value
      - .offset:         68
        .size:           4
        .value_kind:     by_value
      - .offset:         72
        .size:           4
        .value_kind:     by_value
    .group_segment_fixed_size: 31776
    .kernarg_segment_align: 8
    .kernarg_segment_size: 76
    .language:       OpenCL C
    .language_version:
      - 2
      - 0
    .max_flat_workgroup_size: 256
    .name:           _ZL8moe_q3_KIfLb1EEvPKvS1_PT_PKiS5_S5_iiiiiii
    .private_segment_fixed_size: 0
    .sgpr_count:     28
    .sgpr_spill_count: 0
    .symbol:         _ZL8moe_q3_KIfLb1EEvPKvS1_PT_PKiS5_S5_iiiiiii.kd
    .uniform_work_group_size: 1
    .uses_dynamic_stack: false
    .vgpr_count:     207
    .vgpr_spill_count: 0
    .wavefront_size: 32
    .workgroup_processor_mode: 1
  - .args:
      - .actual_access:  read_only
        .address_space:  global
        .offset:         0
        .size:           8
        .value_kind:     global_buffer
      - .actual_access:  read_only
        .address_space:  global
        .offset:         8
        .size:           8
        .value_kind:     global_buffer
      - .actual_access:  write_only
        .address_space:  global
        .offset:         16
        .size:           8
        .value_kind:     global_buffer
      - .address_space:  global
        .offset:         24
        .size:           8
        .value_kind:     global_buffer
      - .address_space:  global
        .offset:         32
        .size:           8
        .value_kind:     global_buffer
      - .address_space:  global
        .offset:         40
        .size:           8
        .value_kind:     global_buffer
      - .offset:         48
        .size:           4
        .value_kind:     by_value
      - .offset:         52
        .size:           4
        .value_kind:     by_value
      - .offset:         56
        .size:           4
        .value_kind:     by_value
      - .offset:         60
        .size:           4
        .value_kind:     by_value
      - .offset:         64
        .size:           4
        .value_kind:     by_value
      - .offset:         68
        .size:           4
        .value_kind:     by_value
      - .offset:         72
        .size:           4
        .value_kind:     by_value
    .group_segment_fixed_size: 20688
    .kernarg_segment_align: 8
    .kernarg_segment_size: 76
    .language:       OpenCL C
    .language_version:
      - 2
      - 0
    .max_flat_workgroup_size: 256
    .name:           _ZL8moe_q4_KIfLb0EEvPKvS1_PT_PKiS5_S5_iiiiiii
    .private_segment_fixed_size: 0
    .sgpr_count:     26
    .sgpr_spill_count: 0
    .symbol:         _ZL8moe_q4_KIfLb0EEvPKvS1_PT_PKiS5_S5_iiiiiii.kd
    .uniform_work_group_size: 1
    .uses_dynamic_stack: false
    .vgpr_count:     159
    .vgpr_spill_count: 0
    .wavefront_size: 32
    .workgroup_processor_mode: 1
  - .args:
      - .actual_access:  read_only
        .address_space:  global
        .offset:         0
        .size:           8
        .value_kind:     global_buffer
      - .actual_access:  read_only
        .address_space:  global
        .offset:         8
        .size:           8
        .value_kind:     global_buffer
      - .actual_access:  write_only
        .address_space:  global
        .offset:         16
        .size:           8
        .value_kind:     global_buffer
      - .address_space:  global
        .offset:         24
        .size:           8
        .value_kind:     global_buffer
      - .address_space:  global
        .offset:         32
        .size:           8
        .value_kind:     global_buffer
      - .address_space:  global
        .offset:         40
        .size:           8
        .value_kind:     global_buffer
      - .offset:         48
        .size:           4
        .value_kind:     by_value
      - .offset:         52
        .size:           4
        .value_kind:     by_value
      - .offset:         56
        .size:           4
        .value_kind:     by_value
      - .offset:         60
        .size:           4
        .value_kind:     by_value
      - .offset:         64
        .size:           4
        .value_kind:     by_value
      - .offset:         68
        .size:           4
        .value_kind:     by_value
      - .offset:         72
        .size:           4
        .value_kind:     by_value
    .group_segment_fixed_size: 20688
    .kernarg_segment_align: 8
    .kernarg_segment_size: 76
    .language:       OpenCL C
    .language_version:
      - 2
      - 0
    .max_flat_workgroup_size: 256
    .name:           _ZL8moe_q4_KIfLb1EEvPKvS1_PT_PKiS5_S5_iiiiiii
    .private_segment_fixed_size: 0
    .sgpr_count:     22
    .sgpr_spill_count: 0
    .symbol:         _ZL8moe_q4_KIfLb1EEvPKvS1_PT_PKiS5_S5_iiiiiii.kd
    .uniform_work_group_size: 1
    .uses_dynamic_stack: false
    .vgpr_count:     157
    .vgpr_spill_count: 0
    .wavefront_size: 32
    .workgroup_processor_mode: 1
  - .args:
      - .actual_access:  read_only
        .address_space:  global
        .offset:         0
        .size:           8
        .value_kind:     global_buffer
      - .actual_access:  read_only
        .address_space:  global
        .offset:         8
        .size:           8
        .value_kind:     global_buffer
      - .actual_access:  write_only
        .address_space:  global
        .offset:         16
        .size:           8
        .value_kind:     global_buffer
      - .address_space:  global
        .offset:         24
        .size:           8
        .value_kind:     global_buffer
      - .address_space:  global
        .offset:         32
        .size:           8
        .value_kind:     global_buffer
      - .address_space:  global
        .offset:         40
        .size:           8
        .value_kind:     global_buffer
      - .offset:         48
        .size:           4
        .value_kind:     by_value
      - .offset:         52
        .size:           4
        .value_kind:     by_value
      - .offset:         56
        .size:           4
        .value_kind:     by_value
      - .offset:         60
        .size:           4
        .value_kind:     by_value
      - .offset:         64
        .size:           4
        .value_kind:     by_value
      - .offset:         68
        .size:           4
        .value_kind:     by_value
      - .offset:         72
        .size:           4
        .value_kind:     by_value
    .group_segment_fixed_size: 37072
    .kernarg_segment_align: 8
    .kernarg_segment_size: 76
    .language:       OpenCL C
    .language_version:
      - 2
      - 0
    .max_flat_workgroup_size: 256
    .name:           _ZL8moe_q5_KIfLb0EEvPKvS1_PT_PKiS5_S5_iiiiiii
    .private_segment_fixed_size: 0
    .sgpr_count:     26
    .sgpr_spill_count: 0
    .symbol:         _ZL8moe_q5_KIfLb0EEvPKvS1_PT_PKiS5_S5_iiiiiii.kd
    .uniform_work_group_size: 1
    .uses_dynamic_stack: false
    .vgpr_count:     192
    .vgpr_spill_count: 0
    .wavefront_size: 32
    .workgroup_processor_mode: 1
  - .args:
      - .actual_access:  read_only
        .address_space:  global
        .offset:         0
        .size:           8
        .value_kind:     global_buffer
      - .actual_access:  read_only
        .address_space:  global
        .offset:         8
        .size:           8
        .value_kind:     global_buffer
      - .actual_access:  write_only
        .address_space:  global
        .offset:         16
        .size:           8
        .value_kind:     global_buffer
      - .address_space:  global
        .offset:         24
        .size:           8
        .value_kind:     global_buffer
      - .address_space:  global
        .offset:         32
        .size:           8
        .value_kind:     global_buffer
      - .address_space:  global
        .offset:         40
        .size:           8
        .value_kind:     global_buffer
      - .offset:         48
        .size:           4
        .value_kind:     by_value
      - .offset:         52
        .size:           4
        .value_kind:     by_value
      - .offset:         56
        .size:           4
        .value_kind:     by_value
      - .offset:         60
        .size:           4
        .value_kind:     by_value
      - .offset:         64
        .size:           4
        .value_kind:     by_value
      - .offset:         68
        .size:           4
        .value_kind:     by_value
      - .offset:         72
        .size:           4
        .value_kind:     by_value
    .group_segment_fixed_size: 37072
    .kernarg_segment_align: 8
    .kernarg_segment_size: 76
    .language:       OpenCL C
    .language_version:
      - 2
      - 0
    .max_flat_workgroup_size: 256
    .name:           _ZL8moe_q5_KIfLb1EEvPKvS1_PT_PKiS5_S5_iiiiiii
    .private_segment_fixed_size: 0
    .sgpr_count:     26
    .sgpr_spill_count: 0
    .symbol:         _ZL8moe_q5_KIfLb1EEvPKvS1_PT_PKiS5_S5_iiiiiii.kd
    .uniform_work_group_size: 1
    .uses_dynamic_stack: false
    .vgpr_count:     198
    .vgpr_spill_count: 0
    .wavefront_size: 32
    .workgroup_processor_mode: 1
  - .args:
      - .actual_access:  read_only
        .address_space:  global
        .offset:         0
        .size:           8
        .value_kind:     global_buffer
      - .actual_access:  read_only
        .address_space:  global
        .offset:         8
        .size:           8
        .value_kind:     global_buffer
      - .actual_access:  write_only
        .address_space:  global
        .offset:         16
        .size:           8
        .value_kind:     global_buffer
      - .address_space:  global
        .offset:         24
        .size:           8
        .value_kind:     global_buffer
      - .address_space:  global
        .offset:         32
        .size:           8
        .value_kind:     global_buffer
      - .address_space:  global
        .offset:         40
        .size:           8
        .value_kind:     global_buffer
      - .offset:         48
        .size:           4
        .value_kind:     by_value
      - .offset:         52
        .size:           4
        .value_kind:     by_value
      - .offset:         56
        .size:           4
        .value_kind:     by_value
      - .offset:         60
        .size:           4
        .value_kind:     by_value
      - .offset:         64
        .size:           4
        .value_kind:     by_value
      - .offset:         68
        .size:           4
        .value_kind:     by_value
      - .offset:         72
        .size:           4
        .value_kind:     by_value
    .group_segment_fixed_size: 37072
    .kernarg_segment_align: 8
    .kernarg_segment_size: 76
    .language:       OpenCL C
    .language_version:
      - 2
      - 0
    .max_flat_workgroup_size: 256
    .name:           _ZL8moe_q6_KIfLb0EEvPKvS1_PT_PKiS5_S5_iiiiiii
    .private_segment_fixed_size: 0
    .sgpr_count:     24
    .sgpr_spill_count: 0
    .symbol:         _ZL8moe_q6_KIfLb0EEvPKvS1_PT_PKiS5_S5_iiiiiii.kd
    .uniform_work_group_size: 1
    .uses_dynamic_stack: false
    .vgpr_count:     187
    .vgpr_spill_count: 0
    .wavefront_size: 32
    .workgroup_processor_mode: 1
  - .args:
      - .actual_access:  read_only
        .address_space:  global
        .offset:         0
        .size:           8
        .value_kind:     global_buffer
      - .actual_access:  read_only
        .address_space:  global
        .offset:         8
        .size:           8
        .value_kind:     global_buffer
      - .actual_access:  write_only
        .address_space:  global
        .offset:         16
        .size:           8
        .value_kind:     global_buffer
      - .address_space:  global
        .offset:         24
        .size:           8
        .value_kind:     global_buffer
      - .address_space:  global
        .offset:         32
        .size:           8
        .value_kind:     global_buffer
      - .address_space:  global
        .offset:         40
        .size:           8
        .value_kind:     global_buffer
      - .offset:         48
        .size:           4
        .value_kind:     by_value
      - .offset:         52
        .size:           4
        .value_kind:     by_value
      - .offset:         56
        .size:           4
        .value_kind:     by_value
      - .offset:         60
        .size:           4
        .value_kind:     by_value
      - .offset:         64
        .size:           4
        .value_kind:     by_value
      - .offset:         68
        .size:           4
        .value_kind:     by_value
      - .offset:         72
        .size:           4
        .value_kind:     by_value
    .group_segment_fixed_size: 37072
    .kernarg_segment_align: 8
    .kernarg_segment_size: 76
    .language:       OpenCL C
    .language_version:
      - 2
      - 0
    .max_flat_workgroup_size: 256
    .name:           _ZL8moe_q6_KIfLb1EEvPKvS1_PT_PKiS5_S5_iiiiiii
    .private_segment_fixed_size: 0
    .sgpr_count:     24
    .sgpr_spill_count: 0
    .symbol:         _ZL8moe_q6_KIfLb1EEvPKvS1_PT_PKiS5_S5_iiiiiii.kd
    .uniform_work_group_size: 1
    .uses_dynamic_stack: false
    .vgpr_count:     188
    .vgpr_spill_count: 0
    .wavefront_size: 32
    .workgroup_processor_mode: 1
  - .args:
      - .actual_access:  read_only
        .address_space:  global
        .offset:         0
        .size:           8
        .value_kind:     global_buffer
      - .actual_access:  read_only
        .address_space:  global
        .offset:         8
        .size:           8
        .value_kind:     global_buffer
      - .actual_access:  write_only
        .address_space:  global
        .offset:         16
        .size:           8
        .value_kind:     global_buffer
      - .address_space:  global
        .offset:         24
        .size:           8
        .value_kind:     global_buffer
      - .address_space:  global
        .offset:         32
        .size:           8
        .value_kind:     global_buffer
      - .address_space:  global
        .offset:         40
        .size:           8
        .value_kind:     global_buffer
      - .offset:         48
        .size:           4
        .value_kind:     by_value
      - .offset:         52
        .size:           4
        .value_kind:     by_value
      - .offset:         56
        .size:           4
        .value_kind:     by_value
      - .offset:         60
        .size:           4
        .value_kind:     by_value
      - .offset:         64
        .size:           4
        .value_kind:     by_value
      - .offset:         68
        .size:           4
        .value_kind:     by_value
      - .offset:         72
        .size:           4
        .value_kind:     by_value
    .group_segment_fixed_size: 22272
    .kernarg_segment_align: 8
    .kernarg_segment_size: 76
    .language:       OpenCL C
    .language_version:
      - 2
      - 0
    .max_flat_workgroup_size: 256
    .name:           _ZL8moe_q4_0IN3c104HalfELb0EEvPKvS3_PT_PKiS7_S7_iiiiiii
    .private_segment_fixed_size: 0
    .sgpr_count:     21
    .sgpr_spill_count: 0
    .symbol:         _ZL8moe_q4_0IN3c104HalfELb0EEvPKvS3_PT_PKiS7_S7_iiiiiii.kd
    .uniform_work_group_size: 1
    .uses_dynamic_stack: false
    .vgpr_count:     111
    .vgpr_spill_count: 0
    .wavefront_size: 32
    .workgroup_processor_mode: 1
  - .args:
      - .actual_access:  read_only
        .address_space:  global
        .offset:         0
        .size:           8
        .value_kind:     global_buffer
      - .actual_access:  read_only
        .address_space:  global
        .offset:         8
        .size:           8
        .value_kind:     global_buffer
      - .actual_access:  write_only
        .address_space:  global
        .offset:         16
        .size:           8
        .value_kind:     global_buffer
      - .address_space:  global
        .offset:         24
        .size:           8
        .value_kind:     global_buffer
      - .address_space:  global
        .offset:         32
        .size:           8
        .value_kind:     global_buffer
      - .address_space:  global
        .offset:         40
        .size:           8
        .value_kind:     global_buffer
      - .offset:         48
        .size:           4
        .value_kind:     by_value
      - .offset:         52
        .size:           4
        .value_kind:     by_value
      - .offset:         56
        .size:           4
        .value_kind:     by_value
      - .offset:         60
        .size:           4
        .value_kind:     by_value
      - .offset:         64
        .size:           4
        .value_kind:     by_value
      - .offset:         68
        .size:           4
        .value_kind:     by_value
      - .offset:         72
        .size:           4
        .value_kind:     by_value
    .group_segment_fixed_size: 22272
    .kernarg_segment_align: 8
    .kernarg_segment_size: 76
    .language:       OpenCL C
    .language_version:
      - 2
      - 0
    .max_flat_workgroup_size: 256
    .name:           _ZL8moe_q4_0IN3c104HalfELb1EEvPKvS3_PT_PKiS7_S7_iiiiiii
    .private_segment_fixed_size: 0
    .sgpr_count:     21
    .sgpr_spill_count: 0
    .symbol:         _ZL8moe_q4_0IN3c104HalfELb1EEvPKvS3_PT_PKiS7_S7_iiiiiii.kd
    .uniform_work_group_size: 1
    .uses_dynamic_stack: false
    .vgpr_count:     125
    .vgpr_spill_count: 0
    .wavefront_size: 32
    .workgroup_processor_mode: 1
  - .args:
      - .actual_access:  read_only
        .address_space:  global
        .offset:         0
        .size:           8
        .value_kind:     global_buffer
      - .actual_access:  read_only
        .address_space:  global
        .offset:         8
        .size:           8
        .value_kind:     global_buffer
      - .actual_access:  write_only
        .address_space:  global
        .offset:         16
        .size:           8
        .value_kind:     global_buffer
      - .address_space:  global
        .offset:         24
        .size:           8
        .value_kind:     global_buffer
      - .address_space:  global
        .offset:         32
        .size:           8
        .value_kind:     global_buffer
      - .address_space:  global
        .offset:         40
        .size:           8
        .value_kind:     global_buffer
      - .offset:         48
        .size:           4
        .value_kind:     by_value
      - .offset:         52
        .size:           4
        .value_kind:     by_value
      - .offset:         56
        .size:           4
        .value_kind:     by_value
      - .offset:         60
        .size:           4
        .value_kind:     by_value
      - .offset:         64
        .size:           4
        .value_kind:     by_value
      - .offset:         68
        .size:           4
        .value_kind:     by_value
      - .offset:         72
        .size:           4
        .value_kind:     by_value
    .group_segment_fixed_size: 22272
    .kernarg_segment_align: 8
    .kernarg_segment_size: 76
    .language:       OpenCL C
    .language_version:
      - 2
      - 0
    .max_flat_workgroup_size: 256
    .name:           _ZL8moe_q4_1IN3c104HalfELb0EEvPKvS3_PT_PKiS7_S7_iiiiiii
    .private_segment_fixed_size: 0
    .sgpr_count:     21
    .sgpr_spill_count: 0
    .symbol:         _ZL8moe_q4_1IN3c104HalfELb0EEvPKvS3_PT_PKiS7_S7_iiiiiii.kd
    .uniform_work_group_size: 1
    .uses_dynamic_stack: false
    .vgpr_count:     111
    .vgpr_spill_count: 0
    .wavefront_size: 32
    .workgroup_processor_mode: 1
  - .args:
      - .actual_access:  read_only
        .address_space:  global
        .offset:         0
        .size:           8
        .value_kind:     global_buffer
      - .actual_access:  read_only
        .address_space:  global
        .offset:         8
        .size:           8
        .value_kind:     global_buffer
      - .actual_access:  write_only
        .address_space:  global
        .offset:         16
        .size:           8
        .value_kind:     global_buffer
      - .address_space:  global
        .offset:         24
        .size:           8
        .value_kind:     global_buffer
      - .address_space:  global
        .offset:         32
        .size:           8
        .value_kind:     global_buffer
      - .address_space:  global
        .offset:         40
        .size:           8
        .value_kind:     global_buffer
      - .offset:         48
        .size:           4
        .value_kind:     by_value
      - .offset:         52
        .size:           4
        .value_kind:     by_value
      - .offset:         56
        .size:           4
        .value_kind:     by_value
      - .offset:         60
        .size:           4
        .value_kind:     by_value
      - .offset:         64
        .size:           4
        .value_kind:     by_value
      - .offset:         68
        .size:           4
        .value_kind:     by_value
      - .offset:         72
        .size:           4
        .value_kind:     by_value
    .group_segment_fixed_size: 22272
    .kernarg_segment_align: 8
    .kernarg_segment_size: 76
    .language:       OpenCL C
    .language_version:
      - 2
      - 0
    .max_flat_workgroup_size: 256
    .name:           _ZL8moe_q4_1IN3c104HalfELb1EEvPKvS3_PT_PKiS7_S7_iiiiiii
    .private_segment_fixed_size: 0
    .sgpr_count:     21
    .sgpr_spill_count: 0
    .symbol:         _ZL8moe_q4_1IN3c104HalfELb1EEvPKvS3_PT_PKiS7_S7_iiiiiii.kd
    .uniform_work_group_size: 1
    .uses_dynamic_stack: false
    .vgpr_count:     125
    .vgpr_spill_count: 0
    .wavefront_size: 32
    .workgroup_processor_mode: 1
  - .args:
      - .actual_access:  read_only
        .address_space:  global
        .offset:         0
        .size:           8
        .value_kind:     global_buffer
      - .actual_access:  read_only
        .address_space:  global
        .offset:         8
        .size:           8
        .value_kind:     global_buffer
      - .actual_access:  write_only
        .address_space:  global
        .offset:         16
        .size:           8
        .value_kind:     global_buffer
      - .address_space:  global
        .offset:         24
        .size:           8
        .value_kind:     global_buffer
      - .address_space:  global
        .offset:         32
        .size:           8
        .value_kind:     global_buffer
      - .address_space:  global
        .offset:         40
        .size:           8
        .value_kind:     global_buffer
      - .offset:         48
        .size:           4
        .value_kind:     by_value
      - .offset:         52
        .size:           4
        .value_kind:     by_value
      - .offset:         56
        .size:           4
        .value_kind:     by_value
      - .offset:         60
        .size:           4
        .value_kind:     by_value
      - .offset:         64
        .size:           4
        .value_kind:     by_value
      - .offset:         68
        .size:           4
        .value_kind:     by_value
      - .offset:         72
        .size:           4
        .value_kind:     by_value
    .group_segment_fixed_size: 38656
    .kernarg_segment_align: 8
    .kernarg_segment_size: 76
    .language:       OpenCL C
    .language_version:
      - 2
      - 0
    .max_flat_workgroup_size: 256
    .name:           _ZL8moe_q5_0IN3c104HalfELb0EEvPKvS3_PT_PKiS7_S7_iiiiiii
    .private_segment_fixed_size: 0
    .sgpr_count:     23
    .sgpr_spill_count: 0
    .symbol:         _ZL8moe_q5_0IN3c104HalfELb0EEvPKvS3_PT_PKiS7_S7_iiiiiii.kd
    .uniform_work_group_size: 1
    .uses_dynamic_stack: false
    .vgpr_count:     185
    .vgpr_spill_count: 0
    .wavefront_size: 32
    .workgroup_processor_mode: 1
  - .args:
      - .actual_access:  read_only
        .address_space:  global
        .offset:         0
        .size:           8
        .value_kind:     global_buffer
      - .actual_access:  read_only
        .address_space:  global
        .offset:         8
        .size:           8
        .value_kind:     global_buffer
      - .actual_access:  write_only
        .address_space:  global
        .offset:         16
        .size:           8
        .value_kind:     global_buffer
      - .address_space:  global
        .offset:         24
        .size:           8
        .value_kind:     global_buffer
      - .address_space:  global
        .offset:         32
        .size:           8
        .value_kind:     global_buffer
      - .address_space:  global
        .offset:         40
        .size:           8
        .value_kind:     global_buffer
      - .offset:         48
        .size:           4
        .value_kind:     by_value
      - .offset:         52
        .size:           4
        .value_kind:     by_value
      - .offset:         56
        .size:           4
        .value_kind:     by_value
      - .offset:         60
        .size:           4
        .value_kind:     by_value
      - .offset:         64
        .size:           4
        .value_kind:     by_value
      - .offset:         68
        .size:           4
        .value_kind:     by_value
      - .offset:         72
        .size:           4
        .value_kind:     by_value
    .group_segment_fixed_size: 38656
    .kernarg_segment_align: 8
    .kernarg_segment_size: 76
    .language:       OpenCL C
    .language_version:
      - 2
      - 0
    .max_flat_workgroup_size: 256
    .name:           _ZL8moe_q5_0IN3c104HalfELb1EEvPKvS3_PT_PKiS7_S7_iiiiiii
    .private_segment_fixed_size: 0
    .sgpr_count:     22
    .sgpr_spill_count: 0
    .symbol:         _ZL8moe_q5_0IN3c104HalfELb1EEvPKvS3_PT_PKiS7_S7_iiiiiii.kd
    .uniform_work_group_size: 1
    .uses_dynamic_stack: false
    .vgpr_count:     185
    .vgpr_spill_count: 0
    .wavefront_size: 32
    .workgroup_processor_mode: 1
  - .args:
      - .actual_access:  read_only
        .address_space:  global
        .offset:         0
        .size:           8
        .value_kind:     global_buffer
      - .actual_access:  read_only
        .address_space:  global
        .offset:         8
        .size:           8
        .value_kind:     global_buffer
      - .actual_access:  write_only
        .address_space:  global
        .offset:         16
        .size:           8
        .value_kind:     global_buffer
      - .address_space:  global
        .offset:         24
        .size:           8
        .value_kind:     global_buffer
      - .address_space:  global
        .offset:         32
        .size:           8
        .value_kind:     global_buffer
      - .address_space:  global
        .offset:         40
        .size:           8
        .value_kind:     global_buffer
      - .offset:         48
        .size:           4
        .value_kind:     by_value
      - .offset:         52
        .size:           4
        .value_kind:     by_value
      - .offset:         56
        .size:           4
        .value_kind:     by_value
      - .offset:         60
        .size:           4
        .value_kind:     by_value
      - .offset:         64
        .size:           4
        .value_kind:     by_value
      - .offset:         68
        .size:           4
        .value_kind:     by_value
      - .offset:         72
        .size:           4
        .value_kind:     by_value
    .group_segment_fixed_size: 38656
    .kernarg_segment_align: 8
    .kernarg_segment_size: 76
    .language:       OpenCL C
    .language_version:
      - 2
      - 0
    .max_flat_workgroup_size: 256
    .name:           _ZL8moe_q5_1IN3c104HalfELb0EEvPKvS3_PT_PKiS7_S7_iiiiiii
    .private_segment_fixed_size: 0
    .sgpr_count:     21
    .sgpr_spill_count: 0
    .symbol:         _ZL8moe_q5_1IN3c104HalfELb0EEvPKvS3_PT_PKiS7_S7_iiiiiii.kd
    .uniform_work_group_size: 1
    .uses_dynamic_stack: false
    .vgpr_count:     179
    .vgpr_spill_count: 0
    .wavefront_size: 32
    .workgroup_processor_mode: 1
  - .args:
      - .actual_access:  read_only
        .address_space:  global
        .offset:         0
        .size:           8
        .value_kind:     global_buffer
      - .actual_access:  read_only
        .address_space:  global
        .offset:         8
        .size:           8
        .value_kind:     global_buffer
      - .actual_access:  write_only
        .address_space:  global
        .offset:         16
        .size:           8
        .value_kind:     global_buffer
      - .address_space:  global
        .offset:         24
        .size:           8
        .value_kind:     global_buffer
      - .address_space:  global
        .offset:         32
        .size:           8
        .value_kind:     global_buffer
      - .address_space:  global
        .offset:         40
        .size:           8
        .value_kind:     global_buffer
      - .offset:         48
        .size:           4
        .value_kind:     by_value
      - .offset:         52
        .size:           4
        .value_kind:     by_value
      - .offset:         56
        .size:           4
        .value_kind:     by_value
      - .offset:         60
        .size:           4
        .value_kind:     by_value
      - .offset:         64
        .size:           4
        .value_kind:     by_value
      - .offset:         68
        .size:           4
        .value_kind:     by_value
      - .offset:         72
        .size:           4
        .value_kind:     by_value
    .group_segment_fixed_size: 38656
    .kernarg_segment_align: 8
    .kernarg_segment_size: 76
    .language:       OpenCL C
    .language_version:
      - 2
      - 0
    .max_flat_workgroup_size: 256
    .name:           _ZL8moe_q5_1IN3c104HalfELb1EEvPKvS3_PT_PKiS7_S7_iiiiiii
    .private_segment_fixed_size: 0
    .sgpr_count:     21
    .sgpr_spill_count: 0
    .symbol:         _ZL8moe_q5_1IN3c104HalfELb1EEvPKvS3_PT_PKiS7_S7_iiiiiii.kd
    .uniform_work_group_size: 1
    .uses_dynamic_stack: false
    .vgpr_count:     159
    .vgpr_spill_count: 0
    .wavefront_size: 32
    .workgroup_processor_mode: 1
  - .args:
      - .actual_access:  read_only
        .address_space:  global
        .offset:         0
        .size:           8
        .value_kind:     global_buffer
      - .actual_access:  read_only
        .address_space:  global
        .offset:         8
        .size:           8
        .value_kind:     global_buffer
      - .actual_access:  write_only
        .address_space:  global
        .offset:         16
        .size:           8
        .value_kind:     global_buffer
      - .address_space:  global
        .offset:         24
        .size:           8
        .value_kind:     global_buffer
      - .address_space:  global
        .offset:         32
        .size:           8
        .value_kind:     global_buffer
      - .address_space:  global
        .offset:         40
        .size:           8
        .value_kind:     global_buffer
      - .offset:         48
        .size:           4
        .value_kind:     by_value
      - .offset:         52
        .size:           4
        .value_kind:     by_value
      - .offset:         56
        .size:           4
        .value_kind:     by_value
      - .offset:         60
        .size:           4
        .value_kind:     by_value
      - .offset:         64
        .size:           4
        .value_kind:     by_value
      - .offset:         68
        .size:           4
        .value_kind:     by_value
      - .offset:         72
        .size:           4
        .value_kind:     by_value
    .group_segment_fixed_size: 20160
    .kernarg_segment_align: 8
    .kernarg_segment_size: 76
    .language:       OpenCL C
    .language_version:
      - 2
      - 0
    .max_flat_workgroup_size: 256
    .name:           _ZL8moe_q8_0IN3c104HalfELb0EEvPKvS3_PT_PKiS7_S7_iiiiiii
    .private_segment_fixed_size: 0
    .sgpr_count:     20
    .sgpr_spill_count: 0
    .symbol:         _ZL8moe_q8_0IN3c104HalfELb0EEvPKvS3_PT_PKiS7_S7_iiiiiii.kd
    .uniform_work_group_size: 1
    .uses_dynamic_stack: false
    .vgpr_count:     111
    .vgpr_spill_count: 0
    .wavefront_size: 32
    .workgroup_processor_mode: 1
  - .args:
      - .actual_access:  read_only
        .address_space:  global
        .offset:         0
        .size:           8
        .value_kind:     global_buffer
      - .actual_access:  read_only
        .address_space:  global
        .offset:         8
        .size:           8
        .value_kind:     global_buffer
      - .actual_access:  write_only
        .address_space:  global
        .offset:         16
        .size:           8
        .value_kind:     global_buffer
      - .address_space:  global
        .offset:         24
        .size:           8
        .value_kind:     global_buffer
      - .address_space:  global
        .offset:         32
        .size:           8
        .value_kind:     global_buffer
      - .address_space:  global
        .offset:         40
        .size:           8
        .value_kind:     global_buffer
      - .offset:         48
        .size:           4
        .value_kind:     by_value
      - .offset:         52
        .size:           4
        .value_kind:     by_value
      - .offset:         56
        .size:           4
        .value_kind:     by_value
      - .offset:         60
        .size:           4
        .value_kind:     by_value
      - .offset:         64
        .size:           4
        .value_kind:     by_value
      - .offset:         68
        .size:           4
        .value_kind:     by_value
      - .offset:         72
        .size:           4
        .value_kind:     by_value
    .group_segment_fixed_size: 20160
    .kernarg_segment_align: 8
    .kernarg_segment_size: 76
    .language:       OpenCL C
    .language_version:
      - 2
      - 0
    .max_flat_workgroup_size: 256
    .name:           _ZL8moe_q8_0IN3c104HalfELb1EEvPKvS3_PT_PKiS7_S7_iiiiiii
    .private_segment_fixed_size: 0
    .sgpr_count:     21
    .sgpr_spill_count: 0
    .symbol:         _ZL8moe_q8_0IN3c104HalfELb1EEvPKvS3_PT_PKiS7_S7_iiiiiii.kd
    .uniform_work_group_size: 1
    .uses_dynamic_stack: false
    .vgpr_count:     112
    .vgpr_spill_count: 0
    .wavefront_size: 32
    .workgroup_processor_mode: 1
  - .args:
      - .actual_access:  read_only
        .address_space:  global
        .offset:         0
        .size:           8
        .value_kind:     global_buffer
      - .actual_access:  read_only
        .address_space:  global
        .offset:         8
        .size:           8
        .value_kind:     global_buffer
      - .actual_access:  write_only
        .address_space:  global
        .offset:         16
        .size:           8
        .value_kind:     global_buffer
      - .address_space:  global
        .offset:         24
        .size:           8
        .value_kind:     global_buffer
      - .address_space:  global
        .offset:         32
        .size:           8
        .value_kind:     global_buffer
      - .address_space:  global
        .offset:         40
        .size:           8
        .value_kind:     global_buffer
      - .offset:         48
        .size:           4
        .value_kind:     by_value
      - .offset:         52
        .size:           4
        .value_kind:     by_value
      - .offset:         56
        .size:           4
        .value_kind:     by_value
      - .offset:         60
        .size:           4
        .value_kind:     by_value
      - .offset:         64
        .size:           4
        .value_kind:     by_value
      - .offset:         68
        .size:           4
        .value_kind:     by_value
      - .offset:         72
        .size:           4
        .value_kind:     by_value
    .group_segment_fixed_size: 23328
    .kernarg_segment_align: 8
    .kernarg_segment_size: 76
    .language:       OpenCL C
    .language_version:
      - 2
      - 0
    .max_flat_workgroup_size: 256
    .name:           _ZL8moe_q2_KIN3c104HalfELb0EEvPKvS3_PT_PKiS7_S7_iiiiiii
    .private_segment_fixed_size: 0
    .sgpr_count:     25
    .sgpr_spill_count: 0
    .symbol:         _ZL8moe_q2_KIN3c104HalfELb0EEvPKvS3_PT_PKiS7_S7_iiiiiii.kd
    .uniform_work_group_size: 1
    .uses_dynamic_stack: false
    .vgpr_count:     144
    .vgpr_spill_count: 0
    .wavefront_size: 32
    .workgroup_processor_mode: 1
  - .args:
      - .actual_access:  read_only
        .address_space:  global
        .offset:         0
        .size:           8
        .value_kind:     global_buffer
      - .actual_access:  read_only
        .address_space:  global
        .offset:         8
        .size:           8
        .value_kind:     global_buffer
      - .actual_access:  write_only
        .address_space:  global
        .offset:         16
        .size:           8
        .value_kind:     global_buffer
      - .address_space:  global
        .offset:         24
        .size:           8
        .value_kind:     global_buffer
      - .address_space:  global
        .offset:         32
        .size:           8
        .value_kind:     global_buffer
      - .address_space:  global
        .offset:         40
        .size:           8
        .value_kind:     global_buffer
      - .offset:         48
        .size:           4
        .value_kind:     by_value
      - .offset:         52
        .size:           4
        .value_kind:     by_value
      - .offset:         56
        .size:           4
        .value_kind:     by_value
      - .offset:         60
        .size:           4
        .value_kind:     by_value
      - .offset:         64
        .size:           4
        .value_kind:     by_value
      - .offset:         68
        .size:           4
        .value_kind:     by_value
      - .offset:         72
        .size:           4
        .value_kind:     by_value
    .group_segment_fixed_size: 23328
    .kernarg_segment_align: 8
    .kernarg_segment_size: 76
    .language:       OpenCL C
    .language_version:
      - 2
      - 0
    .max_flat_workgroup_size: 256
    .name:           _ZL8moe_q2_KIN3c104HalfELb1EEvPKvS3_PT_PKiS7_S7_iiiiiii
    .private_segment_fixed_size: 0
    .sgpr_count:     25
    .sgpr_spill_count: 0
    .symbol:         _ZL8moe_q2_KIN3c104HalfELb1EEvPKvS3_PT_PKiS7_S7_iiiiiii.kd
    .uniform_work_group_size: 1
    .uses_dynamic_stack: false
    .vgpr_count:     159
    .vgpr_spill_count: 0
    .wavefront_size: 32
    .workgroup_processor_mode: 1
  - .args:
      - .actual_access:  read_only
        .address_space:  global
        .offset:         0
        .size:           8
        .value_kind:     global_buffer
      - .actual_access:  read_only
        .address_space:  global
        .offset:         8
        .size:           8
        .value_kind:     global_buffer
      - .actual_access:  write_only
        .address_space:  global
        .offset:         16
        .size:           8
        .value_kind:     global_buffer
      - .address_space:  global
        .offset:         24
        .size:           8
        .value_kind:     global_buffer
      - .address_space:  global
        .offset:         32
        .size:           8
        .value_kind:     global_buffer
      - .address_space:  global
        .offset:         40
        .size:           8
        .value_kind:     global_buffer
      - .offset:         48
        .size:           4
        .value_kind:     by_value
      - .offset:         52
        .size:           4
        .value_kind:     by_value
      - .offset:         56
        .size:           4
        .value_kind:     by_value
      - .offset:         60
        .size:           4
        .value_kind:     by_value
      - .offset:         64
        .size:           4
        .value_kind:     by_value
      - .offset:         68
        .size:           4
        .value_kind:     by_value
      - .offset:         72
        .size:           4
        .value_kind:     by_value
    .group_segment_fixed_size: 31776
    .kernarg_segment_align: 8
    .kernarg_segment_size: 76
    .language:       OpenCL C
    .language_version:
      - 2
      - 0
    .max_flat_workgroup_size: 256
    .name:           _ZL8moe_q3_KIN3c104HalfELb0EEvPKvS3_PT_PKiS7_S7_iiiiiii
    .private_segment_fixed_size: 0
    .sgpr_count:     28
    .sgpr_spill_count: 0
    .symbol:         _ZL8moe_q3_KIN3c104HalfELb0EEvPKvS3_PT_PKiS7_S7_iiiiiii.kd
    .uniform_work_group_size: 1
    .uses_dynamic_stack: false
    .vgpr_count:     248
    .vgpr_spill_count: 0
    .wavefront_size: 32
    .workgroup_processor_mode: 1
  - .args:
      - .actual_access:  read_only
        .address_space:  global
        .offset:         0
        .size:           8
        .value_kind:     global_buffer
      - .actual_access:  read_only
        .address_space:  global
        .offset:         8
        .size:           8
        .value_kind:     global_buffer
      - .actual_access:  write_only
        .address_space:  global
        .offset:         16
        .size:           8
        .value_kind:     global_buffer
      - .address_space:  global
        .offset:         24
        .size:           8
        .value_kind:     global_buffer
      - .address_space:  global
        .offset:         32
        .size:           8
        .value_kind:     global_buffer
      - .address_space:  global
        .offset:         40
        .size:           8
        .value_kind:     global_buffer
      - .offset:         48
        .size:           4
        .value_kind:     by_value
      - .offset:         52
        .size:           4
        .value_kind:     by_value
      - .offset:         56
        .size:           4
        .value_kind:     by_value
      - .offset:         60
        .size:           4
        .value_kind:     by_value
      - .offset:         64
        .size:           4
        .value_kind:     by_value
      - .offset:         68
        .size:           4
        .value_kind:     by_value
      - .offset:         72
        .size:           4
        .value_kind:     by_value
    .group_segment_fixed_size: 31776
    .kernarg_segment_align: 8
    .kernarg_segment_size: 76
    .language:       OpenCL C
    .language_version:
      - 2
      - 0
    .max_flat_workgroup_size: 256
    .name:           _ZL8moe_q3_KIN3c104HalfELb1EEvPKvS3_PT_PKiS7_S7_iiiiiii
    .private_segment_fixed_size: 0
    .sgpr_count:     28
    .sgpr_spill_count: 0
    .symbol:         _ZL8moe_q3_KIN3c104HalfELb1EEvPKvS3_PT_PKiS7_S7_iiiiiii.kd
    .uniform_work_group_size: 1
    .uses_dynamic_stack: false
    .vgpr_count:     207
    .vgpr_spill_count: 0
    .wavefront_size: 32
    .workgroup_processor_mode: 1
  - .args:
      - .actual_access:  read_only
        .address_space:  global
        .offset:         0
        .size:           8
        .value_kind:     global_buffer
      - .actual_access:  read_only
        .address_space:  global
        .offset:         8
        .size:           8
        .value_kind:     global_buffer
      - .actual_access:  write_only
        .address_space:  global
        .offset:         16
        .size:           8
        .value_kind:     global_buffer
      - .address_space:  global
        .offset:         24
        .size:           8
        .value_kind:     global_buffer
      - .address_space:  global
        .offset:         32
        .size:           8
        .value_kind:     global_buffer
      - .address_space:  global
        .offset:         40
        .size:           8
        .value_kind:     global_buffer
      - .offset:         48
        .size:           4
        .value_kind:     by_value
      - .offset:         52
        .size:           4
        .value_kind:     by_value
      - .offset:         56
        .size:           4
        .value_kind:     by_value
      - .offset:         60
        .size:           4
        .value_kind:     by_value
      - .offset:         64
        .size:           4
        .value_kind:     by_value
      - .offset:         68
        .size:           4
        .value_kind:     by_value
      - .offset:         72
        .size:           4
        .value_kind:     by_value
    .group_segment_fixed_size: 20688
    .kernarg_segment_align: 8
    .kernarg_segment_size: 76
    .language:       OpenCL C
    .language_version:
      - 2
      - 0
    .max_flat_workgroup_size: 256
    .name:           _ZL8moe_q4_KIN3c104HalfELb0EEvPKvS3_PT_PKiS7_S7_iiiiiii
    .private_segment_fixed_size: 0
    .sgpr_count:     26
    .sgpr_spill_count: 0
    .symbol:         _ZL8moe_q4_KIN3c104HalfELb0EEvPKvS3_PT_PKiS7_S7_iiiiiii.kd
    .uniform_work_group_size: 1
    .uses_dynamic_stack: false
    .vgpr_count:     159
    .vgpr_spill_count: 0
    .wavefront_size: 32
    .workgroup_processor_mode: 1
  - .args:
      - .actual_access:  read_only
        .address_space:  global
        .offset:         0
        .size:           8
        .value_kind:     global_buffer
      - .actual_access:  read_only
        .address_space:  global
        .offset:         8
        .size:           8
        .value_kind:     global_buffer
      - .actual_access:  write_only
        .address_space:  global
        .offset:         16
        .size:           8
        .value_kind:     global_buffer
      - .address_space:  global
        .offset:         24
        .size:           8
        .value_kind:     global_buffer
      - .address_space:  global
        .offset:         32
        .size:           8
        .value_kind:     global_buffer
      - .address_space:  global
        .offset:         40
        .size:           8
        .value_kind:     global_buffer
      - .offset:         48
        .size:           4
        .value_kind:     by_value
      - .offset:         52
        .size:           4
        .value_kind:     by_value
      - .offset:         56
        .size:           4
        .value_kind:     by_value
      - .offset:         60
        .size:           4
        .value_kind:     by_value
      - .offset:         64
        .size:           4
        .value_kind:     by_value
      - .offset:         68
        .size:           4
        .value_kind:     by_value
      - .offset:         72
        .size:           4
        .value_kind:     by_value
    .group_segment_fixed_size: 20688
    .kernarg_segment_align: 8
    .kernarg_segment_size: 76
    .language:       OpenCL C
    .language_version:
      - 2
      - 0
    .max_flat_workgroup_size: 256
    .name:           _ZL8moe_q4_KIN3c104HalfELb1EEvPKvS3_PT_PKiS7_S7_iiiiiii
    .private_segment_fixed_size: 0
    .sgpr_count:     22
    .sgpr_spill_count: 0
    .symbol:         _ZL8moe_q4_KIN3c104HalfELb1EEvPKvS3_PT_PKiS7_S7_iiiiiii.kd
    .uniform_work_group_size: 1
    .uses_dynamic_stack: false
    .vgpr_count:     157
    .vgpr_spill_count: 0
    .wavefront_size: 32
    .workgroup_processor_mode: 1
  - .args:
      - .actual_access:  read_only
        .address_space:  global
        .offset:         0
        .size:           8
        .value_kind:     global_buffer
      - .actual_access:  read_only
        .address_space:  global
        .offset:         8
        .size:           8
        .value_kind:     global_buffer
      - .actual_access:  write_only
        .address_space:  global
        .offset:         16
        .size:           8
        .value_kind:     global_buffer
      - .address_space:  global
        .offset:         24
        .size:           8
        .value_kind:     global_buffer
      - .address_space:  global
        .offset:         32
        .size:           8
        .value_kind:     global_buffer
      - .address_space:  global
        .offset:         40
        .size:           8
        .value_kind:     global_buffer
      - .offset:         48
        .size:           4
        .value_kind:     by_value
      - .offset:         52
        .size:           4
        .value_kind:     by_value
      - .offset:         56
        .size:           4
        .value_kind:     by_value
      - .offset:         60
        .size:           4
        .value_kind:     by_value
      - .offset:         64
        .size:           4
        .value_kind:     by_value
      - .offset:         68
        .size:           4
        .value_kind:     by_value
      - .offset:         72
        .size:           4
        .value_kind:     by_value
    .group_segment_fixed_size: 37072
    .kernarg_segment_align: 8
    .kernarg_segment_size: 76
    .language:       OpenCL C
    .language_version:
      - 2
      - 0
    .max_flat_workgroup_size: 256
    .name:           _ZL8moe_q5_KIN3c104HalfELb0EEvPKvS3_PT_PKiS7_S7_iiiiiii
    .private_segment_fixed_size: 0
    .sgpr_count:     26
    .sgpr_spill_count: 0
    .symbol:         _ZL8moe_q5_KIN3c104HalfELb0EEvPKvS3_PT_PKiS7_S7_iiiiiii.kd
    .uniform_work_group_size: 1
    .uses_dynamic_stack: false
    .vgpr_count:     192
    .vgpr_spill_count: 0
    .wavefront_size: 32
    .workgroup_processor_mode: 1
  - .args:
      - .actual_access:  read_only
        .address_space:  global
        .offset:         0
        .size:           8
        .value_kind:     global_buffer
      - .actual_access:  read_only
        .address_space:  global
        .offset:         8
        .size:           8
        .value_kind:     global_buffer
      - .actual_access:  write_only
        .address_space:  global
        .offset:         16
        .size:           8
        .value_kind:     global_buffer
      - .address_space:  global
        .offset:         24
        .size:           8
        .value_kind:     global_buffer
      - .address_space:  global
        .offset:         32
        .size:           8
        .value_kind:     global_buffer
      - .address_space:  global
        .offset:         40
        .size:           8
        .value_kind:     global_buffer
      - .offset:         48
        .size:           4
        .value_kind:     by_value
      - .offset:         52
        .size:           4
        .value_kind:     by_value
      - .offset:         56
        .size:           4
        .value_kind:     by_value
      - .offset:         60
        .size:           4
        .value_kind:     by_value
      - .offset:         64
        .size:           4
        .value_kind:     by_value
      - .offset:         68
        .size:           4
        .value_kind:     by_value
      - .offset:         72
        .size:           4
        .value_kind:     by_value
    .group_segment_fixed_size: 37072
    .kernarg_segment_align: 8
    .kernarg_segment_size: 76
    .language:       OpenCL C
    .language_version:
      - 2
      - 0
    .max_flat_workgroup_size: 256
    .name:           _ZL8moe_q5_KIN3c104HalfELb1EEvPKvS3_PT_PKiS7_S7_iiiiiii
    .private_segment_fixed_size: 0
    .sgpr_count:     26
    .sgpr_spill_count: 0
    .symbol:         _ZL8moe_q5_KIN3c104HalfELb1EEvPKvS3_PT_PKiS7_S7_iiiiiii.kd
    .uniform_work_group_size: 1
    .uses_dynamic_stack: false
    .vgpr_count:     198
    .vgpr_spill_count: 0
    .wavefront_size: 32
    .workgroup_processor_mode: 1
  - .args:
      - .actual_access:  read_only
        .address_space:  global
        .offset:         0
        .size:           8
        .value_kind:     global_buffer
      - .actual_access:  read_only
        .address_space:  global
        .offset:         8
        .size:           8
        .value_kind:     global_buffer
      - .actual_access:  write_only
        .address_space:  global
        .offset:         16
        .size:           8
        .value_kind:     global_buffer
      - .address_space:  global
        .offset:         24
        .size:           8
        .value_kind:     global_buffer
      - .address_space:  global
        .offset:         32
        .size:           8
        .value_kind:     global_buffer
      - .address_space:  global
        .offset:         40
        .size:           8
        .value_kind:     global_buffer
      - .offset:         48
        .size:           4
        .value_kind:     by_value
      - .offset:         52
        .size:           4
        .value_kind:     by_value
      - .offset:         56
        .size:           4
        .value_kind:     by_value
      - .offset:         60
        .size:           4
        .value_kind:     by_value
      - .offset:         64
        .size:           4
        .value_kind:     by_value
      - .offset:         68
        .size:           4
        .value_kind:     by_value
      - .offset:         72
        .size:           4
        .value_kind:     by_value
    .group_segment_fixed_size: 37072
    .kernarg_segment_align: 8
    .kernarg_segment_size: 76
    .language:       OpenCL C
    .language_version:
      - 2
      - 0
    .max_flat_workgroup_size: 256
    .name:           _ZL8moe_q6_KIN3c104HalfELb0EEvPKvS3_PT_PKiS7_S7_iiiiiii
    .private_segment_fixed_size: 0
    .sgpr_count:     24
    .sgpr_spill_count: 0
    .symbol:         _ZL8moe_q6_KIN3c104HalfELb0EEvPKvS3_PT_PKiS7_S7_iiiiiii.kd
    .uniform_work_group_size: 1
    .uses_dynamic_stack: false
    .vgpr_count:     187
    .vgpr_spill_count: 0
    .wavefront_size: 32
    .workgroup_processor_mode: 1
  - .args:
      - .actual_access:  read_only
        .address_space:  global
        .offset:         0
        .size:           8
        .value_kind:     global_buffer
      - .actual_access:  read_only
        .address_space:  global
        .offset:         8
        .size:           8
        .value_kind:     global_buffer
      - .actual_access:  write_only
        .address_space:  global
        .offset:         16
        .size:           8
        .value_kind:     global_buffer
      - .address_space:  global
        .offset:         24
        .size:           8
        .value_kind:     global_buffer
      - .address_space:  global
        .offset:         32
        .size:           8
        .value_kind:     global_buffer
      - .address_space:  global
        .offset:         40
        .size:           8
        .value_kind:     global_buffer
      - .offset:         48
        .size:           4
        .value_kind:     by_value
      - .offset:         52
        .size:           4
        .value_kind:     by_value
      - .offset:         56
        .size:           4
        .value_kind:     by_value
      - .offset:         60
        .size:           4
        .value_kind:     by_value
      - .offset:         64
        .size:           4
        .value_kind:     by_value
      - .offset:         68
        .size:           4
        .value_kind:     by_value
      - .offset:         72
        .size:           4
        .value_kind:     by_value
    .group_segment_fixed_size: 37072
    .kernarg_segment_align: 8
    .kernarg_segment_size: 76
    .language:       OpenCL C
    .language_version:
      - 2
      - 0
    .max_flat_workgroup_size: 256
    .name:           _ZL8moe_q6_KIN3c104HalfELb1EEvPKvS3_PT_PKiS7_S7_iiiiiii
    .private_segment_fixed_size: 0
    .sgpr_count:     24
    .sgpr_spill_count: 0
    .symbol:         _ZL8moe_q6_KIN3c104HalfELb1EEvPKvS3_PT_PKiS7_S7_iiiiiii.kd
    .uniform_work_group_size: 1
    .uses_dynamic_stack: false
    .vgpr_count:     188
    .vgpr_spill_count: 0
    .wavefront_size: 32
    .workgroup_processor_mode: 1
  - .args:
      - .actual_access:  read_only
        .address_space:  global
        .offset:         0
        .size:           8
        .value_kind:     global_buffer
      - .actual_access:  read_only
        .address_space:  global
        .offset:         8
        .size:           8
        .value_kind:     global_buffer
      - .actual_access:  write_only
        .address_space:  global
        .offset:         16
        .size:           8
        .value_kind:     global_buffer
      - .address_space:  global
        .offset:         24
        .size:           8
        .value_kind:     global_buffer
      - .address_space:  global
        .offset:         32
        .size:           8
        .value_kind:     global_buffer
      - .address_space:  global
        .offset:         40
        .size:           8
        .value_kind:     global_buffer
      - .offset:         48
        .size:           4
        .value_kind:     by_value
      - .offset:         52
        .size:           4
        .value_kind:     by_value
      - .offset:         56
        .size:           4
        .value_kind:     by_value
      - .offset:         60
        .size:           4
        .value_kind:     by_value
      - .offset:         64
        .size:           4
        .value_kind:     by_value
      - .offset:         68
        .size:           4
        .value_kind:     by_value
      - .offset:         72
        .size:           4
        .value_kind:     by_value
    .group_segment_fixed_size: 22272
    .kernarg_segment_align: 8
    .kernarg_segment_size: 76
    .language:       OpenCL C
    .language_version:
      - 2
      - 0
    .max_flat_workgroup_size: 256
    .name:           _ZL8moe_q4_0IN3c108BFloat16ELb0EEvPKvS3_PT_PKiS7_S7_iiiiiii
    .private_segment_fixed_size: 0
    .sgpr_count:     21
    .sgpr_spill_count: 0
    .symbol:         _ZL8moe_q4_0IN3c108BFloat16ELb0EEvPKvS3_PT_PKiS7_S7_iiiiiii.kd
    .uniform_work_group_size: 1
    .uses_dynamic_stack: false
    .vgpr_count:     111
    .vgpr_spill_count: 0
    .wavefront_size: 32
    .workgroup_processor_mode: 1
  - .args:
      - .actual_access:  read_only
        .address_space:  global
        .offset:         0
        .size:           8
        .value_kind:     global_buffer
      - .actual_access:  read_only
        .address_space:  global
        .offset:         8
        .size:           8
        .value_kind:     global_buffer
      - .actual_access:  write_only
        .address_space:  global
        .offset:         16
        .size:           8
        .value_kind:     global_buffer
      - .address_space:  global
        .offset:         24
        .size:           8
        .value_kind:     global_buffer
      - .address_space:  global
        .offset:         32
        .size:           8
        .value_kind:     global_buffer
      - .address_space:  global
        .offset:         40
        .size:           8
        .value_kind:     global_buffer
      - .offset:         48
        .size:           4
        .value_kind:     by_value
      - .offset:         52
        .size:           4
        .value_kind:     by_value
      - .offset:         56
        .size:           4
        .value_kind:     by_value
      - .offset:         60
        .size:           4
        .value_kind:     by_value
      - .offset:         64
        .size:           4
        .value_kind:     by_value
      - .offset:         68
        .size:           4
        .value_kind:     by_value
      - .offset:         72
        .size:           4
        .value_kind:     by_value
    .group_segment_fixed_size: 22272
    .kernarg_segment_align: 8
    .kernarg_segment_size: 76
    .language:       OpenCL C
    .language_version:
      - 2
      - 0
    .max_flat_workgroup_size: 256
    .name:           _ZL8moe_q4_0IN3c108BFloat16ELb1EEvPKvS3_PT_PKiS7_S7_iiiiiii
    .private_segment_fixed_size: 0
    .sgpr_count:     21
    .sgpr_spill_count: 0
    .symbol:         _ZL8moe_q4_0IN3c108BFloat16ELb1EEvPKvS3_PT_PKiS7_S7_iiiiiii.kd
    .uniform_work_group_size: 1
    .uses_dynamic_stack: false
    .vgpr_count:     125
    .vgpr_spill_count: 0
    .wavefront_size: 32
    .workgroup_processor_mode: 1
  - .args:
      - .actual_access:  read_only
        .address_space:  global
        .offset:         0
        .size:           8
        .value_kind:     global_buffer
      - .actual_access:  read_only
        .address_space:  global
        .offset:         8
        .size:           8
        .value_kind:     global_buffer
      - .actual_access:  write_only
        .address_space:  global
        .offset:         16
        .size:           8
        .value_kind:     global_buffer
      - .address_space:  global
        .offset:         24
        .size:           8
        .value_kind:     global_buffer
      - .address_space:  global
        .offset:         32
        .size:           8
        .value_kind:     global_buffer
      - .address_space:  global
        .offset:         40
        .size:           8
        .value_kind:     global_buffer
      - .offset:         48
        .size:           4
        .value_kind:     by_value
      - .offset:         52
        .size:           4
        .value_kind:     by_value
      - .offset:         56
        .size:           4
        .value_kind:     by_value
      - .offset:         60
        .size:           4
        .value_kind:     by_value
      - .offset:         64
        .size:           4
        .value_kind:     by_value
      - .offset:         68
        .size:           4
        .value_kind:     by_value
      - .offset:         72
        .size:           4
        .value_kind:     by_value
    .group_segment_fixed_size: 22272
    .kernarg_segment_align: 8
    .kernarg_segment_size: 76
    .language:       OpenCL C
    .language_version:
      - 2
      - 0
    .max_flat_workgroup_size: 256
    .name:           _ZL8moe_q4_1IN3c108BFloat16ELb0EEvPKvS3_PT_PKiS7_S7_iiiiiii
    .private_segment_fixed_size: 0
    .sgpr_count:     21
    .sgpr_spill_count: 0
    .symbol:         _ZL8moe_q4_1IN3c108BFloat16ELb0EEvPKvS3_PT_PKiS7_S7_iiiiiii.kd
    .uniform_work_group_size: 1
    .uses_dynamic_stack: false
    .vgpr_count:     111
    .vgpr_spill_count: 0
    .wavefront_size: 32
    .workgroup_processor_mode: 1
  - .args:
      - .actual_access:  read_only
        .address_space:  global
        .offset:         0
        .size:           8
        .value_kind:     global_buffer
      - .actual_access:  read_only
        .address_space:  global
        .offset:         8
        .size:           8
        .value_kind:     global_buffer
      - .actual_access:  write_only
        .address_space:  global
        .offset:         16
        .size:           8
        .value_kind:     global_buffer
      - .address_space:  global
        .offset:         24
        .size:           8
        .value_kind:     global_buffer
      - .address_space:  global
        .offset:         32
        .size:           8
        .value_kind:     global_buffer
      - .address_space:  global
        .offset:         40
        .size:           8
        .value_kind:     global_buffer
      - .offset:         48
        .size:           4
        .value_kind:     by_value
      - .offset:         52
        .size:           4
        .value_kind:     by_value
      - .offset:         56
        .size:           4
        .value_kind:     by_value
      - .offset:         60
        .size:           4
        .value_kind:     by_value
      - .offset:         64
        .size:           4
        .value_kind:     by_value
      - .offset:         68
        .size:           4
        .value_kind:     by_value
      - .offset:         72
        .size:           4
        .value_kind:     by_value
    .group_segment_fixed_size: 22272
    .kernarg_segment_align: 8
    .kernarg_segment_size: 76
    .language:       OpenCL C
    .language_version:
      - 2
      - 0
    .max_flat_workgroup_size: 256
    .name:           _ZL8moe_q4_1IN3c108BFloat16ELb1EEvPKvS3_PT_PKiS7_S7_iiiiiii
    .private_segment_fixed_size: 0
    .sgpr_count:     21
    .sgpr_spill_count: 0
    .symbol:         _ZL8moe_q4_1IN3c108BFloat16ELb1EEvPKvS3_PT_PKiS7_S7_iiiiiii.kd
    .uniform_work_group_size: 1
    .uses_dynamic_stack: false
    .vgpr_count:     125
    .vgpr_spill_count: 0
    .wavefront_size: 32
    .workgroup_processor_mode: 1
  - .args:
      - .actual_access:  read_only
        .address_space:  global
        .offset:         0
        .size:           8
        .value_kind:     global_buffer
      - .actual_access:  read_only
        .address_space:  global
        .offset:         8
        .size:           8
        .value_kind:     global_buffer
      - .actual_access:  write_only
        .address_space:  global
        .offset:         16
        .size:           8
        .value_kind:     global_buffer
      - .address_space:  global
        .offset:         24
        .size:           8
        .value_kind:     global_buffer
      - .address_space:  global
        .offset:         32
        .size:           8
        .value_kind:     global_buffer
      - .address_space:  global
        .offset:         40
        .size:           8
        .value_kind:     global_buffer
      - .offset:         48
        .size:           4
        .value_kind:     by_value
      - .offset:         52
        .size:           4
        .value_kind:     by_value
      - .offset:         56
        .size:           4
        .value_kind:     by_value
      - .offset:         60
        .size:           4
        .value_kind:     by_value
      - .offset:         64
        .size:           4
        .value_kind:     by_value
      - .offset:         68
        .size:           4
        .value_kind:     by_value
      - .offset:         72
        .size:           4
        .value_kind:     by_value
    .group_segment_fixed_size: 38656
    .kernarg_segment_align: 8
    .kernarg_segment_size: 76
    .language:       OpenCL C
    .language_version:
      - 2
      - 0
    .max_flat_workgroup_size: 256
    .name:           _ZL8moe_q5_0IN3c108BFloat16ELb0EEvPKvS3_PT_PKiS7_S7_iiiiiii
    .private_segment_fixed_size: 0
    .sgpr_count:     23
    .sgpr_spill_count: 0
    .symbol:         _ZL8moe_q5_0IN3c108BFloat16ELb0EEvPKvS3_PT_PKiS7_S7_iiiiiii.kd
    .uniform_work_group_size: 1
    .uses_dynamic_stack: false
    .vgpr_count:     185
    .vgpr_spill_count: 0
    .wavefront_size: 32
    .workgroup_processor_mode: 1
  - .args:
      - .actual_access:  read_only
        .address_space:  global
        .offset:         0
        .size:           8
        .value_kind:     global_buffer
      - .actual_access:  read_only
        .address_space:  global
        .offset:         8
        .size:           8
        .value_kind:     global_buffer
      - .actual_access:  write_only
        .address_space:  global
        .offset:         16
        .size:           8
        .value_kind:     global_buffer
      - .address_space:  global
        .offset:         24
        .size:           8
        .value_kind:     global_buffer
      - .address_space:  global
        .offset:         32
        .size:           8
        .value_kind:     global_buffer
      - .address_space:  global
        .offset:         40
        .size:           8
        .value_kind:     global_buffer
      - .offset:         48
        .size:           4
        .value_kind:     by_value
      - .offset:         52
        .size:           4
        .value_kind:     by_value
      - .offset:         56
        .size:           4
        .value_kind:     by_value
      - .offset:         60
        .size:           4
        .value_kind:     by_value
      - .offset:         64
        .size:           4
        .value_kind:     by_value
      - .offset:         68
        .size:           4
        .value_kind:     by_value
      - .offset:         72
        .size:           4
        .value_kind:     by_value
    .group_segment_fixed_size: 38656
    .kernarg_segment_align: 8
    .kernarg_segment_size: 76
    .language:       OpenCL C
    .language_version:
      - 2
      - 0
    .max_flat_workgroup_size: 256
    .name:           _ZL8moe_q5_0IN3c108BFloat16ELb1EEvPKvS3_PT_PKiS7_S7_iiiiiii
    .private_segment_fixed_size: 0
    .sgpr_count:     22
    .sgpr_spill_count: 0
    .symbol:         _ZL8moe_q5_0IN3c108BFloat16ELb1EEvPKvS3_PT_PKiS7_S7_iiiiiii.kd
    .uniform_work_group_size: 1
    .uses_dynamic_stack: false
    .vgpr_count:     185
    .vgpr_spill_count: 0
    .wavefront_size: 32
    .workgroup_processor_mode: 1
  - .args:
      - .actual_access:  read_only
        .address_space:  global
        .offset:         0
        .size:           8
        .value_kind:     global_buffer
      - .actual_access:  read_only
        .address_space:  global
        .offset:         8
        .size:           8
        .value_kind:     global_buffer
      - .actual_access:  write_only
        .address_space:  global
        .offset:         16
        .size:           8
        .value_kind:     global_buffer
      - .address_space:  global
        .offset:         24
        .size:           8
        .value_kind:     global_buffer
      - .address_space:  global
        .offset:         32
        .size:           8
        .value_kind:     global_buffer
      - .address_space:  global
        .offset:         40
        .size:           8
        .value_kind:     global_buffer
      - .offset:         48
        .size:           4
        .value_kind:     by_value
      - .offset:         52
        .size:           4
        .value_kind:     by_value
      - .offset:         56
        .size:           4
        .value_kind:     by_value
      - .offset:         60
        .size:           4
        .value_kind:     by_value
      - .offset:         64
        .size:           4
        .value_kind:     by_value
      - .offset:         68
        .size:           4
        .value_kind:     by_value
      - .offset:         72
        .size:           4
        .value_kind:     by_value
    .group_segment_fixed_size: 38656
    .kernarg_segment_align: 8
    .kernarg_segment_size: 76
    .language:       OpenCL C
    .language_version:
      - 2
      - 0
    .max_flat_workgroup_size: 256
    .name:           _ZL8moe_q5_1IN3c108BFloat16ELb0EEvPKvS3_PT_PKiS7_S7_iiiiiii
    .private_segment_fixed_size: 0
    .sgpr_count:     21
    .sgpr_spill_count: 0
    .symbol:         _ZL8moe_q5_1IN3c108BFloat16ELb0EEvPKvS3_PT_PKiS7_S7_iiiiiii.kd
    .uniform_work_group_size: 1
    .uses_dynamic_stack: false
    .vgpr_count:     179
    .vgpr_spill_count: 0
    .wavefront_size: 32
    .workgroup_processor_mode: 1
  - .args:
      - .actual_access:  read_only
        .address_space:  global
        .offset:         0
        .size:           8
        .value_kind:     global_buffer
      - .actual_access:  read_only
        .address_space:  global
        .offset:         8
        .size:           8
        .value_kind:     global_buffer
      - .actual_access:  write_only
        .address_space:  global
        .offset:         16
        .size:           8
        .value_kind:     global_buffer
      - .address_space:  global
        .offset:         24
        .size:           8
        .value_kind:     global_buffer
      - .address_space:  global
        .offset:         32
        .size:           8
        .value_kind:     global_buffer
      - .address_space:  global
        .offset:         40
        .size:           8
        .value_kind:     global_buffer
      - .offset:         48
        .size:           4
        .value_kind:     by_value
      - .offset:         52
        .size:           4
        .value_kind:     by_value
      - .offset:         56
        .size:           4
        .value_kind:     by_value
      - .offset:         60
        .size:           4
        .value_kind:     by_value
      - .offset:         64
        .size:           4
        .value_kind:     by_value
      - .offset:         68
        .size:           4
        .value_kind:     by_value
      - .offset:         72
        .size:           4
        .value_kind:     by_value
    .group_segment_fixed_size: 38656
    .kernarg_segment_align: 8
    .kernarg_segment_size: 76
    .language:       OpenCL C
    .language_version:
      - 2
      - 0
    .max_flat_workgroup_size: 256
    .name:           _ZL8moe_q5_1IN3c108BFloat16ELb1EEvPKvS3_PT_PKiS7_S7_iiiiiii
    .private_segment_fixed_size: 0
    .sgpr_count:     21
    .sgpr_spill_count: 0
    .symbol:         _ZL8moe_q5_1IN3c108BFloat16ELb1EEvPKvS3_PT_PKiS7_S7_iiiiiii.kd
    .uniform_work_group_size: 1
    .uses_dynamic_stack: false
    .vgpr_count:     159
    .vgpr_spill_count: 0
    .wavefront_size: 32
    .workgroup_processor_mode: 1
  - .args:
      - .actual_access:  read_only
        .address_space:  global
        .offset:         0
        .size:           8
        .value_kind:     global_buffer
      - .actual_access:  read_only
        .address_space:  global
        .offset:         8
        .size:           8
        .value_kind:     global_buffer
      - .actual_access:  write_only
        .address_space:  global
        .offset:         16
        .size:           8
        .value_kind:     global_buffer
      - .address_space:  global
        .offset:         24
        .size:           8
        .value_kind:     global_buffer
      - .address_space:  global
        .offset:         32
        .size:           8
        .value_kind:     global_buffer
      - .address_space:  global
        .offset:         40
        .size:           8
        .value_kind:     global_buffer
      - .offset:         48
        .size:           4
        .value_kind:     by_value
      - .offset:         52
        .size:           4
        .value_kind:     by_value
      - .offset:         56
        .size:           4
        .value_kind:     by_value
      - .offset:         60
        .size:           4
        .value_kind:     by_value
      - .offset:         64
        .size:           4
        .value_kind:     by_value
      - .offset:         68
        .size:           4
        .value_kind:     by_value
      - .offset:         72
        .size:           4
        .value_kind:     by_value
    .group_segment_fixed_size: 20160
    .kernarg_segment_align: 8
    .kernarg_segment_size: 76
    .language:       OpenCL C
    .language_version:
      - 2
      - 0
    .max_flat_workgroup_size: 256
    .name:           _ZL8moe_q8_0IN3c108BFloat16ELb0EEvPKvS3_PT_PKiS7_S7_iiiiiii
    .private_segment_fixed_size: 0
    .sgpr_count:     20
    .sgpr_spill_count: 0
    .symbol:         _ZL8moe_q8_0IN3c108BFloat16ELb0EEvPKvS3_PT_PKiS7_S7_iiiiiii.kd
    .uniform_work_group_size: 1
    .uses_dynamic_stack: false
    .vgpr_count:     111
    .vgpr_spill_count: 0
    .wavefront_size: 32
    .workgroup_processor_mode: 1
  - .args:
      - .actual_access:  read_only
        .address_space:  global
        .offset:         0
        .size:           8
        .value_kind:     global_buffer
      - .actual_access:  read_only
        .address_space:  global
        .offset:         8
        .size:           8
        .value_kind:     global_buffer
      - .actual_access:  write_only
        .address_space:  global
        .offset:         16
        .size:           8
        .value_kind:     global_buffer
      - .address_space:  global
        .offset:         24
        .size:           8
        .value_kind:     global_buffer
      - .address_space:  global
        .offset:         32
        .size:           8
        .value_kind:     global_buffer
      - .address_space:  global
        .offset:         40
        .size:           8
        .value_kind:     global_buffer
      - .offset:         48
        .size:           4
        .value_kind:     by_value
      - .offset:         52
        .size:           4
        .value_kind:     by_value
      - .offset:         56
        .size:           4
        .value_kind:     by_value
      - .offset:         60
        .size:           4
        .value_kind:     by_value
      - .offset:         64
        .size:           4
        .value_kind:     by_value
      - .offset:         68
        .size:           4
        .value_kind:     by_value
      - .offset:         72
        .size:           4
        .value_kind:     by_value
    .group_segment_fixed_size: 20160
    .kernarg_segment_align: 8
    .kernarg_segment_size: 76
    .language:       OpenCL C
    .language_version:
      - 2
      - 0
    .max_flat_workgroup_size: 256
    .name:           _ZL8moe_q8_0IN3c108BFloat16ELb1EEvPKvS3_PT_PKiS7_S7_iiiiiii
    .private_segment_fixed_size: 0
    .sgpr_count:     21
    .sgpr_spill_count: 0
    .symbol:         _ZL8moe_q8_0IN3c108BFloat16ELb1EEvPKvS3_PT_PKiS7_S7_iiiiiii.kd
    .uniform_work_group_size: 1
    .uses_dynamic_stack: false
    .vgpr_count:     112
    .vgpr_spill_count: 0
    .wavefront_size: 32
    .workgroup_processor_mode: 1
  - .args:
      - .actual_access:  read_only
        .address_space:  global
        .offset:         0
        .size:           8
        .value_kind:     global_buffer
      - .actual_access:  read_only
        .address_space:  global
        .offset:         8
        .size:           8
        .value_kind:     global_buffer
      - .actual_access:  write_only
        .address_space:  global
        .offset:         16
        .size:           8
        .value_kind:     global_buffer
      - .address_space:  global
        .offset:         24
        .size:           8
        .value_kind:     global_buffer
      - .address_space:  global
        .offset:         32
        .size:           8
        .value_kind:     global_buffer
      - .address_space:  global
        .offset:         40
        .size:           8
        .value_kind:     global_buffer
      - .offset:         48
        .size:           4
        .value_kind:     by_value
      - .offset:         52
        .size:           4
        .value_kind:     by_value
      - .offset:         56
        .size:           4
        .value_kind:     by_value
      - .offset:         60
        .size:           4
        .value_kind:     by_value
      - .offset:         64
        .size:           4
        .value_kind:     by_value
      - .offset:         68
        .size:           4
        .value_kind:     by_value
      - .offset:         72
        .size:           4
        .value_kind:     by_value
    .group_segment_fixed_size: 23328
    .kernarg_segment_align: 8
    .kernarg_segment_size: 76
    .language:       OpenCL C
    .language_version:
      - 2
      - 0
    .max_flat_workgroup_size: 256
    .name:           _ZL8moe_q2_KIN3c108BFloat16ELb0EEvPKvS3_PT_PKiS7_S7_iiiiiii
    .private_segment_fixed_size: 0
    .sgpr_count:     25
    .sgpr_spill_count: 0
    .symbol:         _ZL8moe_q2_KIN3c108BFloat16ELb0EEvPKvS3_PT_PKiS7_S7_iiiiiii.kd
    .uniform_work_group_size: 1
    .uses_dynamic_stack: false
    .vgpr_count:     144
    .vgpr_spill_count: 0
    .wavefront_size: 32
    .workgroup_processor_mode: 1
  - .args:
      - .actual_access:  read_only
        .address_space:  global
        .offset:         0
        .size:           8
        .value_kind:     global_buffer
      - .actual_access:  read_only
        .address_space:  global
        .offset:         8
        .size:           8
        .value_kind:     global_buffer
      - .actual_access:  write_only
        .address_space:  global
        .offset:         16
        .size:           8
        .value_kind:     global_buffer
      - .address_space:  global
        .offset:         24
        .size:           8
        .value_kind:     global_buffer
      - .address_space:  global
        .offset:         32
        .size:           8
        .value_kind:     global_buffer
      - .address_space:  global
        .offset:         40
        .size:           8
        .value_kind:     global_buffer
      - .offset:         48
        .size:           4
        .value_kind:     by_value
      - .offset:         52
        .size:           4
        .value_kind:     by_value
      - .offset:         56
        .size:           4
        .value_kind:     by_value
      - .offset:         60
        .size:           4
        .value_kind:     by_value
      - .offset:         64
        .size:           4
        .value_kind:     by_value
      - .offset:         68
        .size:           4
        .value_kind:     by_value
      - .offset:         72
        .size:           4
        .value_kind:     by_value
    .group_segment_fixed_size: 23328
    .kernarg_segment_align: 8
    .kernarg_segment_size: 76
    .language:       OpenCL C
    .language_version:
      - 2
      - 0
    .max_flat_workgroup_size: 256
    .name:           _ZL8moe_q2_KIN3c108BFloat16ELb1EEvPKvS3_PT_PKiS7_S7_iiiiiii
    .private_segment_fixed_size: 0
    .sgpr_count:     25
    .sgpr_spill_count: 0
    .symbol:         _ZL8moe_q2_KIN3c108BFloat16ELb1EEvPKvS3_PT_PKiS7_S7_iiiiiii.kd
    .uniform_work_group_size: 1
    .uses_dynamic_stack: false
    .vgpr_count:     159
    .vgpr_spill_count: 0
    .wavefront_size: 32
    .workgroup_processor_mode: 1
  - .args:
      - .actual_access:  read_only
        .address_space:  global
        .offset:         0
        .size:           8
        .value_kind:     global_buffer
      - .actual_access:  read_only
        .address_space:  global
        .offset:         8
        .size:           8
        .value_kind:     global_buffer
      - .actual_access:  write_only
        .address_space:  global
        .offset:         16
        .size:           8
        .value_kind:     global_buffer
      - .address_space:  global
        .offset:         24
        .size:           8
        .value_kind:     global_buffer
      - .address_space:  global
        .offset:         32
        .size:           8
        .value_kind:     global_buffer
      - .address_space:  global
        .offset:         40
        .size:           8
        .value_kind:     global_buffer
      - .offset:         48
        .size:           4
        .value_kind:     by_value
      - .offset:         52
        .size:           4
        .value_kind:     by_value
      - .offset:         56
        .size:           4
        .value_kind:     by_value
      - .offset:         60
        .size:           4
        .value_kind:     by_value
      - .offset:         64
        .size:           4
        .value_kind:     by_value
      - .offset:         68
        .size:           4
        .value_kind:     by_value
      - .offset:         72
        .size:           4
        .value_kind:     by_value
    .group_segment_fixed_size: 31776
    .kernarg_segment_align: 8
    .kernarg_segment_size: 76
    .language:       OpenCL C
    .language_version:
      - 2
      - 0
    .max_flat_workgroup_size: 256
    .name:           _ZL8moe_q3_KIN3c108BFloat16ELb0EEvPKvS3_PT_PKiS7_S7_iiiiiii
    .private_segment_fixed_size: 0
    .sgpr_count:     28
    .sgpr_spill_count: 0
    .symbol:         _ZL8moe_q3_KIN3c108BFloat16ELb0EEvPKvS3_PT_PKiS7_S7_iiiiiii.kd
    .uniform_work_group_size: 1
    .uses_dynamic_stack: false
    .vgpr_count:     248
    .vgpr_spill_count: 0
    .wavefront_size: 32
    .workgroup_processor_mode: 1
  - .args:
      - .actual_access:  read_only
        .address_space:  global
        .offset:         0
        .size:           8
        .value_kind:     global_buffer
      - .actual_access:  read_only
        .address_space:  global
        .offset:         8
        .size:           8
        .value_kind:     global_buffer
      - .actual_access:  write_only
        .address_space:  global
        .offset:         16
        .size:           8
        .value_kind:     global_buffer
      - .address_space:  global
        .offset:         24
        .size:           8
        .value_kind:     global_buffer
      - .address_space:  global
        .offset:         32
        .size:           8
        .value_kind:     global_buffer
      - .address_space:  global
        .offset:         40
        .size:           8
        .value_kind:     global_buffer
      - .offset:         48
        .size:           4
        .value_kind:     by_value
      - .offset:         52
        .size:           4
        .value_kind:     by_value
      - .offset:         56
        .size:           4
        .value_kind:     by_value
      - .offset:         60
        .size:           4
        .value_kind:     by_value
      - .offset:         64
        .size:           4
        .value_kind:     by_value
      - .offset:         68
        .size:           4
        .value_kind:     by_value
      - .offset:         72
        .size:           4
        .value_kind:     by_value
    .group_segment_fixed_size: 31776
    .kernarg_segment_align: 8
    .kernarg_segment_size: 76
    .language:       OpenCL C
    .language_version:
      - 2
      - 0
    .max_flat_workgroup_size: 256
    .name:           _ZL8moe_q3_KIN3c108BFloat16ELb1EEvPKvS3_PT_PKiS7_S7_iiiiiii
    .private_segment_fixed_size: 0
    .sgpr_count:     28
    .sgpr_spill_count: 0
    .symbol:         _ZL8moe_q3_KIN3c108BFloat16ELb1EEvPKvS3_PT_PKiS7_S7_iiiiiii.kd
    .uniform_work_group_size: 1
    .uses_dynamic_stack: false
    .vgpr_count:     207
    .vgpr_spill_count: 0
    .wavefront_size: 32
    .workgroup_processor_mode: 1
  - .args:
      - .actual_access:  read_only
        .address_space:  global
        .offset:         0
        .size:           8
        .value_kind:     global_buffer
      - .actual_access:  read_only
        .address_space:  global
        .offset:         8
        .size:           8
        .value_kind:     global_buffer
      - .actual_access:  write_only
        .address_space:  global
        .offset:         16
        .size:           8
        .value_kind:     global_buffer
      - .address_space:  global
        .offset:         24
        .size:           8
        .value_kind:     global_buffer
      - .address_space:  global
        .offset:         32
        .size:           8
        .value_kind:     global_buffer
      - .address_space:  global
        .offset:         40
        .size:           8
        .value_kind:     global_buffer
      - .offset:         48
        .size:           4
        .value_kind:     by_value
      - .offset:         52
        .size:           4
        .value_kind:     by_value
      - .offset:         56
        .size:           4
        .value_kind:     by_value
      - .offset:         60
        .size:           4
        .value_kind:     by_value
      - .offset:         64
        .size:           4
        .value_kind:     by_value
      - .offset:         68
        .size:           4
        .value_kind:     by_value
      - .offset:         72
        .size:           4
        .value_kind:     by_value
    .group_segment_fixed_size: 20688
    .kernarg_segment_align: 8
    .kernarg_segment_size: 76
    .language:       OpenCL C
    .language_version:
      - 2
      - 0
    .max_flat_workgroup_size: 256
    .name:           _ZL8moe_q4_KIN3c108BFloat16ELb0EEvPKvS3_PT_PKiS7_S7_iiiiiii
    .private_segment_fixed_size: 0
    .sgpr_count:     26
    .sgpr_spill_count: 0
    .symbol:         _ZL8moe_q4_KIN3c108BFloat16ELb0EEvPKvS3_PT_PKiS7_S7_iiiiiii.kd
    .uniform_work_group_size: 1
    .uses_dynamic_stack: false
    .vgpr_count:     159
    .vgpr_spill_count: 0
    .wavefront_size: 32
    .workgroup_processor_mode: 1
  - .args:
      - .actual_access:  read_only
        .address_space:  global
        .offset:         0
        .size:           8
        .value_kind:     global_buffer
      - .actual_access:  read_only
        .address_space:  global
        .offset:         8
        .size:           8
        .value_kind:     global_buffer
      - .actual_access:  write_only
        .address_space:  global
        .offset:         16
        .size:           8
        .value_kind:     global_buffer
      - .address_space:  global
        .offset:         24
        .size:           8
        .value_kind:     global_buffer
      - .address_space:  global
        .offset:         32
        .size:           8
        .value_kind:     global_buffer
      - .address_space:  global
        .offset:         40
        .size:           8
        .value_kind:     global_buffer
      - .offset:         48
        .size:           4
        .value_kind:     by_value
      - .offset:         52
        .size:           4
        .value_kind:     by_value
      - .offset:         56
        .size:           4
        .value_kind:     by_value
      - .offset:         60
        .size:           4
        .value_kind:     by_value
      - .offset:         64
        .size:           4
        .value_kind:     by_value
      - .offset:         68
        .size:           4
        .value_kind:     by_value
      - .offset:         72
        .size:           4
        .value_kind:     by_value
    .group_segment_fixed_size: 20688
    .kernarg_segment_align: 8
    .kernarg_segment_size: 76
    .language:       OpenCL C
    .language_version:
      - 2
      - 0
    .max_flat_workgroup_size: 256
    .name:           _ZL8moe_q4_KIN3c108BFloat16ELb1EEvPKvS3_PT_PKiS7_S7_iiiiiii
    .private_segment_fixed_size: 0
    .sgpr_count:     22
    .sgpr_spill_count: 0
    .symbol:         _ZL8moe_q4_KIN3c108BFloat16ELb1EEvPKvS3_PT_PKiS7_S7_iiiiiii.kd
    .uniform_work_group_size: 1
    .uses_dynamic_stack: false
    .vgpr_count:     157
    .vgpr_spill_count: 0
    .wavefront_size: 32
    .workgroup_processor_mode: 1
  - .args:
      - .actual_access:  read_only
        .address_space:  global
        .offset:         0
        .size:           8
        .value_kind:     global_buffer
      - .actual_access:  read_only
        .address_space:  global
        .offset:         8
        .size:           8
        .value_kind:     global_buffer
      - .actual_access:  write_only
        .address_space:  global
        .offset:         16
        .size:           8
        .value_kind:     global_buffer
      - .address_space:  global
        .offset:         24
        .size:           8
        .value_kind:     global_buffer
      - .address_space:  global
        .offset:         32
        .size:           8
        .value_kind:     global_buffer
      - .address_space:  global
        .offset:         40
        .size:           8
        .value_kind:     global_buffer
      - .offset:         48
        .size:           4
        .value_kind:     by_value
      - .offset:         52
        .size:           4
        .value_kind:     by_value
      - .offset:         56
        .size:           4
        .value_kind:     by_value
      - .offset:         60
        .size:           4
        .value_kind:     by_value
      - .offset:         64
        .size:           4
        .value_kind:     by_value
      - .offset:         68
        .size:           4
        .value_kind:     by_value
      - .offset:         72
        .size:           4
        .value_kind:     by_value
    .group_segment_fixed_size: 37072
    .kernarg_segment_align: 8
    .kernarg_segment_size: 76
    .language:       OpenCL C
    .language_version:
      - 2
      - 0
    .max_flat_workgroup_size: 256
    .name:           _ZL8moe_q5_KIN3c108BFloat16ELb0EEvPKvS3_PT_PKiS7_S7_iiiiiii
    .private_segment_fixed_size: 0
    .sgpr_count:     26
    .sgpr_spill_count: 0
    .symbol:         _ZL8moe_q5_KIN3c108BFloat16ELb0EEvPKvS3_PT_PKiS7_S7_iiiiiii.kd
    .uniform_work_group_size: 1
    .uses_dynamic_stack: false
    .vgpr_count:     192
    .vgpr_spill_count: 0
    .wavefront_size: 32
    .workgroup_processor_mode: 1
  - .args:
      - .actual_access:  read_only
        .address_space:  global
        .offset:         0
        .size:           8
        .value_kind:     global_buffer
      - .actual_access:  read_only
        .address_space:  global
        .offset:         8
        .size:           8
        .value_kind:     global_buffer
      - .actual_access:  write_only
        .address_space:  global
        .offset:         16
        .size:           8
        .value_kind:     global_buffer
      - .address_space:  global
        .offset:         24
        .size:           8
        .value_kind:     global_buffer
      - .address_space:  global
        .offset:         32
        .size:           8
        .value_kind:     global_buffer
      - .address_space:  global
        .offset:         40
        .size:           8
        .value_kind:     global_buffer
      - .offset:         48
        .size:           4
        .value_kind:     by_value
      - .offset:         52
        .size:           4
        .value_kind:     by_value
      - .offset:         56
        .size:           4
        .value_kind:     by_value
      - .offset:         60
        .size:           4
        .value_kind:     by_value
      - .offset:         64
        .size:           4
        .value_kind:     by_value
      - .offset:         68
        .size:           4
        .value_kind:     by_value
      - .offset:         72
        .size:           4
        .value_kind:     by_value
    .group_segment_fixed_size: 37072
    .kernarg_segment_align: 8
    .kernarg_segment_size: 76
    .language:       OpenCL C
    .language_version:
      - 2
      - 0
    .max_flat_workgroup_size: 256
    .name:           _ZL8moe_q5_KIN3c108BFloat16ELb1EEvPKvS3_PT_PKiS7_S7_iiiiiii
    .private_segment_fixed_size: 0
    .sgpr_count:     26
    .sgpr_spill_count: 0
    .symbol:         _ZL8moe_q5_KIN3c108BFloat16ELb1EEvPKvS3_PT_PKiS7_S7_iiiiiii.kd
    .uniform_work_group_size: 1
    .uses_dynamic_stack: false
    .vgpr_count:     198
    .vgpr_spill_count: 0
    .wavefront_size: 32
    .workgroup_processor_mode: 1
  - .args:
      - .actual_access:  read_only
        .address_space:  global
        .offset:         0
        .size:           8
        .value_kind:     global_buffer
      - .actual_access:  read_only
        .address_space:  global
        .offset:         8
        .size:           8
        .value_kind:     global_buffer
      - .actual_access:  write_only
        .address_space:  global
        .offset:         16
        .size:           8
        .value_kind:     global_buffer
      - .address_space:  global
        .offset:         24
        .size:           8
        .value_kind:     global_buffer
      - .address_space:  global
        .offset:         32
        .size:           8
        .value_kind:     global_buffer
      - .address_space:  global
        .offset:         40
        .size:           8
        .value_kind:     global_buffer
      - .offset:         48
        .size:           4
        .value_kind:     by_value
      - .offset:         52
        .size:           4
        .value_kind:     by_value
      - .offset:         56
        .size:           4
        .value_kind:     by_value
      - .offset:         60
        .size:           4
        .value_kind:     by_value
      - .offset:         64
        .size:           4
        .value_kind:     by_value
      - .offset:         68
        .size:           4
        .value_kind:     by_value
      - .offset:         72
        .size:           4
        .value_kind:     by_value
    .group_segment_fixed_size: 37072
    .kernarg_segment_align: 8
    .kernarg_segment_size: 76
    .language:       OpenCL C
    .language_version:
      - 2
      - 0
    .max_flat_workgroup_size: 256
    .name:           _ZL8moe_q6_KIN3c108BFloat16ELb0EEvPKvS3_PT_PKiS7_S7_iiiiiii
    .private_segment_fixed_size: 0
    .sgpr_count:     24
    .sgpr_spill_count: 0
    .symbol:         _ZL8moe_q6_KIN3c108BFloat16ELb0EEvPKvS3_PT_PKiS7_S7_iiiiiii.kd
    .uniform_work_group_size: 1
    .uses_dynamic_stack: false
    .vgpr_count:     187
    .vgpr_spill_count: 0
    .wavefront_size: 32
    .workgroup_processor_mode: 1
  - .args:
      - .actual_access:  read_only
        .address_space:  global
        .offset:         0
        .size:           8
        .value_kind:     global_buffer
      - .actual_access:  read_only
        .address_space:  global
        .offset:         8
        .size:           8
        .value_kind:     global_buffer
      - .actual_access:  write_only
        .address_space:  global
        .offset:         16
        .size:           8
        .value_kind:     global_buffer
      - .address_space:  global
        .offset:         24
        .size:           8
        .value_kind:     global_buffer
      - .address_space:  global
        .offset:         32
        .size:           8
        .value_kind:     global_buffer
      - .address_space:  global
        .offset:         40
        .size:           8
        .value_kind:     global_buffer
      - .offset:         48
        .size:           4
        .value_kind:     by_value
      - .offset:         52
        .size:           4
        .value_kind:     by_value
      - .offset:         56
        .size:           4
        .value_kind:     by_value
      - .offset:         60
        .size:           4
        .value_kind:     by_value
      - .offset:         64
        .size:           4
        .value_kind:     by_value
      - .offset:         68
        .size:           4
        .value_kind:     by_value
      - .offset:         72
        .size:           4
        .value_kind:     by_value
    .group_segment_fixed_size: 37072
    .kernarg_segment_align: 8
    .kernarg_segment_size: 76
    .language:       OpenCL C
    .language_version:
      - 2
      - 0
    .max_flat_workgroup_size: 256
    .name:           _ZL8moe_q6_KIN3c108BFloat16ELb1EEvPKvS3_PT_PKiS7_S7_iiiiiii
    .private_segment_fixed_size: 0
    .sgpr_count:     24
    .sgpr_spill_count: 0
    .symbol:         _ZL8moe_q6_KIN3c108BFloat16ELb1EEvPKvS3_PT_PKiS7_S7_iiiiiii.kd
    .uniform_work_group_size: 1
    .uses_dynamic_stack: false
    .vgpr_count:     188
    .vgpr_spill_count: 0
    .wavefront_size: 32
    .workgroup_processor_mode: 1
  - .args:
      - .actual_access:  read_only
        .address_space:  global
        .offset:         0
        .size:           8
        .value_kind:     global_buffer
      - .actual_access:  read_only
        .address_space:  global
        .offset:         8
        .size:           8
        .value_kind:     global_buffer
      - .actual_access:  write_only
        .address_space:  global
        .offset:         16
        .size:           8
        .value_kind:     global_buffer
      - .address_space:  global
        .offset:         24
        .size:           8
        .value_kind:     global_buffer
      - .offset:         32
        .size:           4
        .value_kind:     by_value
      - .offset:         36
        .size:           4
        .value_kind:     by_value
      - .offset:         40
        .size:           4
        .value_kind:     by_value
      - .offset:         44
        .size:           4
        .value_kind:     by_value
      - .offset:         48
        .size:           4
        .value_kind:     hidden_block_count_x
      - .offset:         52
        .size:           4
        .value_kind:     hidden_block_count_y
      - .offset:         56
        .size:           4
        .value_kind:     hidden_block_count_z
      - .offset:         60
        .size:           2
        .value_kind:     hidden_group_size_x
      - .offset:         62
        .size:           2
        .value_kind:     hidden_group_size_y
      - .offset:         64
        .size:           2
        .value_kind:     hidden_group_size_z
      - .offset:         66
        .size:           2
        .value_kind:     hidden_remainder_x
      - .offset:         68
        .size:           2
        .value_kind:     hidden_remainder_y
      - .offset:         70
        .size:           2
        .value_kind:     hidden_remainder_z
      - .offset:         88
        .size:           8
        .value_kind:     hidden_global_offset_x
      - .offset:         96
        .size:           8
        .value_kind:     hidden_global_offset_y
      - .offset:         104
        .size:           8
        .value_kind:     hidden_global_offset_z
      - .offset:         112
        .size:           2
        .value_kind:     hidden_grid_dims
    .group_segment_fixed_size: 0
    .kernarg_segment_align: 8
    .kernarg_segment_size: 304
    .language:       OpenCL C
    .language_version:
      - 2
      - 0
    .max_flat_workgroup_size: 1024
    .name:           _ZL9moe_vec_qIfLi32ELi4E10block_q4_0Li2EXadL_ZL17vec_dot_q4_0_q8_1PKvPK10block_q8_1RKiEEEvS2_S2_PT_PS6_iiii
    .private_segment_fixed_size: 0
    .sgpr_count:     22
    .sgpr_spill_count: 0
    .symbol:         _ZL9moe_vec_qIfLi32ELi4E10block_q4_0Li2EXadL_ZL17vec_dot_q4_0_q8_1PKvPK10block_q8_1RKiEEEvS2_S2_PT_PS6_iiii.kd
    .uniform_work_group_size: 1
    .uses_dynamic_stack: false
    .vgpr_count:     16
    .vgpr_spill_count: 0
    .wavefront_size: 32
    .workgroup_processor_mode: 1
  - .args:
      - .actual_access:  read_only
        .address_space:  global
        .offset:         0
        .size:           8
        .value_kind:     global_buffer
      - .actual_access:  read_only
        .address_space:  global
        .offset:         8
        .size:           8
        .value_kind:     global_buffer
      - .actual_access:  write_only
        .address_space:  global
        .offset:         16
        .size:           8
        .value_kind:     global_buffer
      - .address_space:  global
        .offset:         24
        .size:           8
        .value_kind:     global_buffer
      - .offset:         32
        .size:           4
        .value_kind:     by_value
      - .offset:         36
        .size:           4
        .value_kind:     by_value
      - .offset:         40
        .size:           4
        .value_kind:     by_value
      - .offset:         44
        .size:           4
        .value_kind:     by_value
      - .offset:         48
        .size:           4
        .value_kind:     hidden_block_count_x
      - .offset:         52
        .size:           4
        .value_kind:     hidden_block_count_y
      - .offset:         56
        .size:           4
        .value_kind:     hidden_block_count_z
      - .offset:         60
        .size:           2
        .value_kind:     hidden_group_size_x
      - .offset:         62
        .size:           2
        .value_kind:     hidden_group_size_y
      - .offset:         64
        .size:           2
        .value_kind:     hidden_group_size_z
      - .offset:         66
        .size:           2
        .value_kind:     hidden_remainder_x
      - .offset:         68
        .size:           2
        .value_kind:     hidden_remainder_y
      - .offset:         70
        .size:           2
        .value_kind:     hidden_remainder_z
      - .offset:         88
        .size:           8
        .value_kind:     hidden_global_offset_x
      - .offset:         96
        .size:           8
        .value_kind:     hidden_global_offset_y
      - .offset:         104
        .size:           8
        .value_kind:     hidden_global_offset_z
      - .offset:         112
        .size:           2
        .value_kind:     hidden_grid_dims
    .group_segment_fixed_size: 0
    .kernarg_segment_align: 8
    .kernarg_segment_size: 304
    .language:       OpenCL C
    .language_version:
      - 2
      - 0
    .max_flat_workgroup_size: 1024
    .name:           _ZL9moe_vec_qIfLi32ELi4E10block_q4_1Li2EXadL_ZL17vec_dot_q4_1_q8_1PKvPK10block_q8_1RKiEEEvS2_S2_PT_PS6_iiii
    .private_segment_fixed_size: 0
    .sgpr_count:     22
    .sgpr_spill_count: 0
    .symbol:         _ZL9moe_vec_qIfLi32ELi4E10block_q4_1Li2EXadL_ZL17vec_dot_q4_1_q8_1PKvPK10block_q8_1RKiEEEvS2_S2_PT_PS6_iiii.kd
    .uniform_work_group_size: 1
    .uses_dynamic_stack: false
    .vgpr_count:     16
    .vgpr_spill_count: 0
    .wavefront_size: 32
    .workgroup_processor_mode: 1
  - .args:
      - .actual_access:  read_only
        .address_space:  global
        .offset:         0
        .size:           8
        .value_kind:     global_buffer
      - .actual_access:  read_only
        .address_space:  global
        .offset:         8
        .size:           8
        .value_kind:     global_buffer
      - .actual_access:  write_only
        .address_space:  global
        .offset:         16
        .size:           8
        .value_kind:     global_buffer
      - .address_space:  global
        .offset:         24
        .size:           8
        .value_kind:     global_buffer
      - .offset:         32
        .size:           4
        .value_kind:     by_value
      - .offset:         36
        .size:           4
        .value_kind:     by_value
      - .offset:         40
        .size:           4
        .value_kind:     by_value
      - .offset:         44
        .size:           4
        .value_kind:     by_value
      - .offset:         48
        .size:           4
        .value_kind:     hidden_block_count_x
      - .offset:         52
        .size:           4
        .value_kind:     hidden_block_count_y
      - .offset:         56
        .size:           4
        .value_kind:     hidden_block_count_z
      - .offset:         60
        .size:           2
        .value_kind:     hidden_group_size_x
      - .offset:         62
        .size:           2
        .value_kind:     hidden_group_size_y
      - .offset:         64
        .size:           2
        .value_kind:     hidden_group_size_z
      - .offset:         66
        .size:           2
        .value_kind:     hidden_remainder_x
      - .offset:         68
        .size:           2
        .value_kind:     hidden_remainder_y
      - .offset:         70
        .size:           2
        .value_kind:     hidden_remainder_z
      - .offset:         88
        .size:           8
        .value_kind:     hidden_global_offset_x
      - .offset:         96
        .size:           8
        .value_kind:     hidden_global_offset_y
      - .offset:         104
        .size:           8
        .value_kind:     hidden_global_offset_z
      - .offset:         112
        .size:           2
        .value_kind:     hidden_grid_dims
    .group_segment_fixed_size: 0
    .kernarg_segment_align: 8
    .kernarg_segment_size: 304
    .language:       OpenCL C
    .language_version:
      - 2
      - 0
    .max_flat_workgroup_size: 1024
    .name:           _ZL9moe_vec_qIfLi32ELi4E10block_q5_0Li2EXadL_ZL17vec_dot_q5_0_q8_1PKvPK10block_q8_1RKiEEEvS2_S2_PT_PS6_iiii
    .private_segment_fixed_size: 0
    .sgpr_count:     22
    .sgpr_spill_count: 0
    .symbol:         _ZL9moe_vec_qIfLi32ELi4E10block_q5_0Li2EXadL_ZL17vec_dot_q5_0_q8_1PKvPK10block_q8_1RKiEEEvS2_S2_PT_PS6_iiii.kd
    .uniform_work_group_size: 1
    .uses_dynamic_stack: false
    .vgpr_count:     34
    .vgpr_spill_count: 0
    .wavefront_size: 32
    .workgroup_processor_mode: 1
  - .args:
      - .actual_access:  read_only
        .address_space:  global
        .offset:         0
        .size:           8
        .value_kind:     global_buffer
      - .actual_access:  read_only
        .address_space:  global
        .offset:         8
        .size:           8
        .value_kind:     global_buffer
      - .actual_access:  write_only
        .address_space:  global
        .offset:         16
        .size:           8
        .value_kind:     global_buffer
      - .address_space:  global
        .offset:         24
        .size:           8
        .value_kind:     global_buffer
      - .offset:         32
        .size:           4
        .value_kind:     by_value
      - .offset:         36
        .size:           4
        .value_kind:     by_value
      - .offset:         40
        .size:           4
        .value_kind:     by_value
      - .offset:         44
        .size:           4
        .value_kind:     by_value
      - .offset:         48
        .size:           4
        .value_kind:     hidden_block_count_x
      - .offset:         52
        .size:           4
        .value_kind:     hidden_block_count_y
      - .offset:         56
        .size:           4
        .value_kind:     hidden_block_count_z
      - .offset:         60
        .size:           2
        .value_kind:     hidden_group_size_x
      - .offset:         62
        .size:           2
        .value_kind:     hidden_group_size_y
      - .offset:         64
        .size:           2
        .value_kind:     hidden_group_size_z
      - .offset:         66
        .size:           2
        .value_kind:     hidden_remainder_x
      - .offset:         68
        .size:           2
        .value_kind:     hidden_remainder_y
      - .offset:         70
        .size:           2
        .value_kind:     hidden_remainder_z
      - .offset:         88
        .size:           8
        .value_kind:     hidden_global_offset_x
      - .offset:         96
        .size:           8
        .value_kind:     hidden_global_offset_y
      - .offset:         104
        .size:           8
        .value_kind:     hidden_global_offset_z
      - .offset:         112
        .size:           2
        .value_kind:     hidden_grid_dims
    .group_segment_fixed_size: 0
    .kernarg_segment_align: 8
    .kernarg_segment_size: 304
    .language:       OpenCL C
    .language_version:
      - 2
      - 0
    .max_flat_workgroup_size: 1024
    .name:           _ZL9moe_vec_qIfLi32ELi4E10block_q5_1Li2EXadL_ZL17vec_dot_q5_1_q8_1PKvPK10block_q8_1RKiEEEvS2_S2_PT_PS6_iiii
    .private_segment_fixed_size: 0
    .sgpr_count:     22
    .sgpr_spill_count: 0
    .symbol:         _ZL9moe_vec_qIfLi32ELi4E10block_q5_1Li2EXadL_ZL17vec_dot_q5_1_q8_1PKvPK10block_q8_1RKiEEEvS2_S2_PT_PS6_iiii.kd
    .uniform_work_group_size: 1
    .uses_dynamic_stack: false
    .vgpr_count:     34
    .vgpr_spill_count: 0
    .wavefront_size: 32
    .workgroup_processor_mode: 1
  - .args:
      - .actual_access:  read_only
        .address_space:  global
        .offset:         0
        .size:           8
        .value_kind:     global_buffer
      - .actual_access:  read_only
        .address_space:  global
        .offset:         8
        .size:           8
        .value_kind:     global_buffer
      - .actual_access:  write_only
        .address_space:  global
        .offset:         16
        .size:           8
        .value_kind:     global_buffer
      - .address_space:  global
        .offset:         24
        .size:           8
        .value_kind:     global_buffer
      - .offset:         32
        .size:           4
        .value_kind:     by_value
      - .offset:         36
        .size:           4
        .value_kind:     by_value
      - .offset:         40
        .size:           4
        .value_kind:     by_value
      - .offset:         44
        .size:           4
        .value_kind:     by_value
      - .offset:         48
        .size:           4
        .value_kind:     hidden_block_count_x
      - .offset:         52
        .size:           4
        .value_kind:     hidden_block_count_y
      - .offset:         56
        .size:           4
        .value_kind:     hidden_block_count_z
      - .offset:         60
        .size:           2
        .value_kind:     hidden_group_size_x
      - .offset:         62
        .size:           2
        .value_kind:     hidden_group_size_y
      - .offset:         64
        .size:           2
        .value_kind:     hidden_group_size_z
      - .offset:         66
        .size:           2
        .value_kind:     hidden_remainder_x
      - .offset:         68
        .size:           2
        .value_kind:     hidden_remainder_y
      - .offset:         70
        .size:           2
        .value_kind:     hidden_remainder_z
      - .offset:         88
        .size:           8
        .value_kind:     hidden_global_offset_x
      - .offset:         96
        .size:           8
        .value_kind:     hidden_global_offset_y
      - .offset:         104
        .size:           8
        .value_kind:     hidden_global_offset_z
      - .offset:         112
        .size:           2
        .value_kind:     hidden_grid_dims
    .group_segment_fixed_size: 0
    .kernarg_segment_align: 8
    .kernarg_segment_size: 304
    .language:       OpenCL C
    .language_version:
      - 2
      - 0
    .max_flat_workgroup_size: 1024
    .name:           _ZL9moe_vec_qIfLi32ELi8E10block_q8_0Li2EXadL_ZL17vec_dot_q8_0_q8_1PKvPK10block_q8_1RKiEEEvS2_S2_PT_PS6_iiii
    .private_segment_fixed_size: 0
    .sgpr_count:     22
    .sgpr_spill_count: 0
    .symbol:         _ZL9moe_vec_qIfLi32ELi8E10block_q8_0Li2EXadL_ZL17vec_dot_q8_0_q8_1PKvPK10block_q8_1RKiEEEvS2_S2_PT_PS6_iiii.kd
    .uniform_work_group_size: 1
    .uses_dynamic_stack: false
    .vgpr_count:     14
    .vgpr_spill_count: 0
    .wavefront_size: 32
    .workgroup_processor_mode: 1
  - .args:
      - .actual_access:  read_only
        .address_space:  global
        .offset:         0
        .size:           8
        .value_kind:     global_buffer
      - .actual_access:  read_only
        .address_space:  global
        .offset:         8
        .size:           8
        .value_kind:     global_buffer
      - .actual_access:  write_only
        .address_space:  global
        .offset:         16
        .size:           8
        .value_kind:     global_buffer
      - .address_space:  global
        .offset:         24
        .size:           8
        .value_kind:     global_buffer
      - .offset:         32
        .size:           4
        .value_kind:     by_value
      - .offset:         36
        .size:           4
        .value_kind:     by_value
      - .offset:         40
        .size:           4
        .value_kind:     by_value
      - .offset:         44
        .size:           4
        .value_kind:     by_value
      - .offset:         48
        .size:           4
        .value_kind:     hidden_block_count_x
      - .offset:         52
        .size:           4
        .value_kind:     hidden_block_count_y
      - .offset:         56
        .size:           4
        .value_kind:     hidden_block_count_z
      - .offset:         60
        .size:           2
        .value_kind:     hidden_group_size_x
      - .offset:         62
        .size:           2
        .value_kind:     hidden_group_size_y
      - .offset:         64
        .size:           2
        .value_kind:     hidden_group_size_z
      - .offset:         66
        .size:           2
        .value_kind:     hidden_remainder_x
      - .offset:         68
        .size:           2
        .value_kind:     hidden_remainder_y
      - .offset:         70
        .size:           2
        .value_kind:     hidden_remainder_z
      - .offset:         88
        .size:           8
        .value_kind:     hidden_global_offset_x
      - .offset:         96
        .size:           8
        .value_kind:     hidden_global_offset_y
      - .offset:         104
        .size:           8
        .value_kind:     hidden_global_offset_z
      - .offset:         112
        .size:           2
        .value_kind:     hidden_grid_dims
    .group_segment_fixed_size: 0
    .kernarg_segment_align: 8
    .kernarg_segment_size: 304
    .language:       OpenCL C
    .language_version:
      - 2
      - 0
    .max_flat_workgroup_size: 1024
    .name:           _ZL9moe_vec_qIfLi256ELi16E10block_q2_KLi1EXadL_ZL17vec_dot_q2_K_q8_1PKvPK10block_q8_1RKiEEEvS2_S2_PT_PS6_iiii
    .private_segment_fixed_size: 0
    .sgpr_count:     19
    .sgpr_spill_count: 0
    .symbol:         _ZL9moe_vec_qIfLi256ELi16E10block_q2_KLi1EXadL_ZL17vec_dot_q2_K_q8_1PKvPK10block_q8_1RKiEEEvS2_S2_PT_PS6_iiii.kd
    .uniform_work_group_size: 1
    .uses_dynamic_stack: false
    .vgpr_count:     42
    .vgpr_spill_count: 0
    .wavefront_size: 32
    .workgroup_processor_mode: 1
  - .args:
      - .actual_access:  read_only
        .address_space:  global
        .offset:         0
        .size:           8
        .value_kind:     global_buffer
      - .actual_access:  read_only
        .address_space:  global
        .offset:         8
        .size:           8
        .value_kind:     global_buffer
      - .actual_access:  write_only
        .address_space:  global
        .offset:         16
        .size:           8
        .value_kind:     global_buffer
      - .address_space:  global
        .offset:         24
        .size:           8
        .value_kind:     global_buffer
      - .offset:         32
        .size:           4
        .value_kind:     by_value
      - .offset:         36
        .size:           4
        .value_kind:     by_value
      - .offset:         40
        .size:           4
        .value_kind:     by_value
      - .offset:         44
        .size:           4
        .value_kind:     by_value
      - .offset:         48
        .size:           4
        .value_kind:     hidden_block_count_x
      - .offset:         52
        .size:           4
        .value_kind:     hidden_block_count_y
      - .offset:         56
        .size:           4
        .value_kind:     hidden_block_count_z
      - .offset:         60
        .size:           2
        .value_kind:     hidden_group_size_x
      - .offset:         62
        .size:           2
        .value_kind:     hidden_group_size_y
      - .offset:         64
        .size:           2
        .value_kind:     hidden_group_size_z
      - .offset:         66
        .size:           2
        .value_kind:     hidden_remainder_x
      - .offset:         68
        .size:           2
        .value_kind:     hidden_remainder_y
      - .offset:         70
        .size:           2
        .value_kind:     hidden_remainder_z
      - .offset:         88
        .size:           8
        .value_kind:     hidden_global_offset_x
      - .offset:         96
        .size:           8
        .value_kind:     hidden_global_offset_y
      - .offset:         104
        .size:           8
        .value_kind:     hidden_global_offset_z
      - .offset:         112
        .size:           2
        .value_kind:     hidden_grid_dims
    .group_segment_fixed_size: 0
    .kernarg_segment_align: 8
    .kernarg_segment_size: 304
    .language:       OpenCL C
    .language_version:
      - 2
      - 0
    .max_flat_workgroup_size: 1024
    .name:           _ZL9moe_vec_qIfLi256ELi16E10block_q3_KLi1EXadL_ZL17vec_dot_q3_K_q8_1PKvPK10block_q8_1RKiEEEvS2_S2_PT_PS6_iiii
    .private_segment_fixed_size: 0
    .sgpr_count:     21
    .sgpr_spill_count: 0
    .symbol:         _ZL9moe_vec_qIfLi256ELi16E10block_q3_KLi1EXadL_ZL17vec_dot_q3_K_q8_1PKvPK10block_q8_1RKiEEEvS2_S2_PT_PS6_iiii.kd
    .uniform_work_group_size: 1
    .uses_dynamic_stack: false
    .vgpr_count:     63
    .vgpr_spill_count: 0
    .wavefront_size: 32
    .workgroup_processor_mode: 1
  - .args:
      - .actual_access:  read_only
        .address_space:  global
        .offset:         0
        .size:           8
        .value_kind:     global_buffer
      - .actual_access:  read_only
        .address_space:  global
        .offset:         8
        .size:           8
        .value_kind:     global_buffer
      - .actual_access:  write_only
        .address_space:  global
        .offset:         16
        .size:           8
        .value_kind:     global_buffer
      - .address_space:  global
        .offset:         24
        .size:           8
        .value_kind:     global_buffer
      - .offset:         32
        .size:           4
        .value_kind:     by_value
      - .offset:         36
        .size:           4
        .value_kind:     by_value
      - .offset:         40
        .size:           4
        .value_kind:     by_value
      - .offset:         44
        .size:           4
        .value_kind:     by_value
      - .offset:         48
        .size:           4
        .value_kind:     hidden_block_count_x
      - .offset:         52
        .size:           4
        .value_kind:     hidden_block_count_y
      - .offset:         56
        .size:           4
        .value_kind:     hidden_block_count_z
      - .offset:         60
        .size:           2
        .value_kind:     hidden_group_size_x
      - .offset:         62
        .size:           2
        .value_kind:     hidden_group_size_y
      - .offset:         64
        .size:           2
        .value_kind:     hidden_group_size_z
      - .offset:         66
        .size:           2
        .value_kind:     hidden_remainder_x
      - .offset:         68
        .size:           2
        .value_kind:     hidden_remainder_y
      - .offset:         70
        .size:           2
        .value_kind:     hidden_remainder_z
      - .offset:         88
        .size:           8
        .value_kind:     hidden_global_offset_x
      - .offset:         96
        .size:           8
        .value_kind:     hidden_global_offset_y
      - .offset:         104
        .size:           8
        .value_kind:     hidden_global_offset_z
      - .offset:         112
        .size:           2
        .value_kind:     hidden_grid_dims
    .group_segment_fixed_size: 0
    .kernarg_segment_align: 8
    .kernarg_segment_size: 304
    .language:       OpenCL C
    .language_version:
      - 2
      - 0
    .max_flat_workgroup_size: 1024
    .name:           _ZL9moe_vec_qIfLi256ELi32E10block_q4_KLi2EXadL_ZL17vec_dot_q4_K_q8_1PKvPK10block_q8_1RKiEEEvS2_S2_PT_PS6_iiii
    .private_segment_fixed_size: 0
    .sgpr_count:     20
    .sgpr_spill_count: 0
    .symbol:         _ZL9moe_vec_qIfLi256ELi32E10block_q4_KLi2EXadL_ZL17vec_dot_q4_K_q8_1PKvPK10block_q8_1RKiEEEvS2_S2_PT_PS6_iiii.kd
    .uniform_work_group_size: 1
    .uses_dynamic_stack: false
    .vgpr_count:     32
    .vgpr_spill_count: 0
    .wavefront_size: 32
    .workgroup_processor_mode: 1
  - .args:
      - .actual_access:  read_only
        .address_space:  global
        .offset:         0
        .size:           8
        .value_kind:     global_buffer
      - .actual_access:  read_only
        .address_space:  global
        .offset:         8
        .size:           8
        .value_kind:     global_buffer
      - .actual_access:  write_only
        .address_space:  global
        .offset:         16
        .size:           8
        .value_kind:     global_buffer
      - .address_space:  global
        .offset:         24
        .size:           8
        .value_kind:     global_buffer
      - .offset:         32
        .size:           4
        .value_kind:     by_value
      - .offset:         36
        .size:           4
        .value_kind:     by_value
      - .offset:         40
        .size:           4
        .value_kind:     by_value
      - .offset:         44
        .size:           4
        .value_kind:     by_value
      - .offset:         48
        .size:           4
        .value_kind:     hidden_block_count_x
      - .offset:         52
        .size:           4
        .value_kind:     hidden_block_count_y
      - .offset:         56
        .size:           4
        .value_kind:     hidden_block_count_z
      - .offset:         60
        .size:           2
        .value_kind:     hidden_group_size_x
      - .offset:         62
        .size:           2
        .value_kind:     hidden_group_size_y
      - .offset:         64
        .size:           2
        .value_kind:     hidden_group_size_z
      - .offset:         66
        .size:           2
        .value_kind:     hidden_remainder_x
      - .offset:         68
        .size:           2
        .value_kind:     hidden_remainder_y
      - .offset:         70
        .size:           2
        .value_kind:     hidden_remainder_z
      - .offset:         88
        .size:           8
        .value_kind:     hidden_global_offset_x
      - .offset:         96
        .size:           8
        .value_kind:     hidden_global_offset_y
      - .offset:         104
        .size:           8
        .value_kind:     hidden_global_offset_z
      - .offset:         112
        .size:           2
        .value_kind:     hidden_grid_dims
    .group_segment_fixed_size: 0
    .kernarg_segment_align: 8
    .kernarg_segment_size: 304
    .language:       OpenCL C
    .language_version:
      - 2
      - 0
    .max_flat_workgroup_size: 1024
    .name:           _ZL9moe_vec_qIfLi256ELi32E10block_q5_KLi2EXadL_ZL17vec_dot_q5_K_q8_1PKvPK10block_q8_1RKiEEEvS2_S2_PT_PS6_iiii
    .private_segment_fixed_size: 0
    .sgpr_count:     20
    .sgpr_spill_count: 0
    .symbol:         _ZL9moe_vec_qIfLi256ELi32E10block_q5_KLi2EXadL_ZL17vec_dot_q5_K_q8_1PKvPK10block_q8_1RKiEEEvS2_S2_PT_PS6_iiii.kd
    .uniform_work_group_size: 1
    .uses_dynamic_stack: false
    .vgpr_count:     37
    .vgpr_spill_count: 0
    .wavefront_size: 32
    .workgroup_processor_mode: 1
  - .args:
      - .actual_access:  read_only
        .address_space:  global
        .offset:         0
        .size:           8
        .value_kind:     global_buffer
      - .actual_access:  read_only
        .address_space:  global
        .offset:         8
        .size:           8
        .value_kind:     global_buffer
      - .actual_access:  write_only
        .address_space:  global
        .offset:         16
        .size:           8
        .value_kind:     global_buffer
      - .address_space:  global
        .offset:         24
        .size:           8
        .value_kind:     global_buffer
      - .offset:         32
        .size:           4
        .value_kind:     by_value
      - .offset:         36
        .size:           4
        .value_kind:     by_value
      - .offset:         40
        .size:           4
        .value_kind:     by_value
      - .offset:         44
        .size:           4
        .value_kind:     by_value
      - .offset:         48
        .size:           4
        .value_kind:     hidden_block_count_x
      - .offset:         52
        .size:           4
        .value_kind:     hidden_block_count_y
      - .offset:         56
        .size:           4
        .value_kind:     hidden_block_count_z
      - .offset:         60
        .size:           2
        .value_kind:     hidden_group_size_x
      - .offset:         62
        .size:           2
        .value_kind:     hidden_group_size_y
      - .offset:         64
        .size:           2
        .value_kind:     hidden_group_size_z
      - .offset:         66
        .size:           2
        .value_kind:     hidden_remainder_x
      - .offset:         68
        .size:           2
        .value_kind:     hidden_remainder_y
      - .offset:         70
        .size:           2
        .value_kind:     hidden_remainder_z
      - .offset:         88
        .size:           8
        .value_kind:     hidden_global_offset_x
      - .offset:         96
        .size:           8
        .value_kind:     hidden_global_offset_y
      - .offset:         104
        .size:           8
        .value_kind:     hidden_global_offset_z
      - .offset:         112
        .size:           2
        .value_kind:     hidden_grid_dims
    .group_segment_fixed_size: 0
    .kernarg_segment_align: 8
    .kernarg_segment_size: 304
    .language:       OpenCL C
    .language_version:
      - 2
      - 0
    .max_flat_workgroup_size: 1024
    .name:           _ZL9moe_vec_qIfLi256ELi32E10block_q6_KLi1EXadL_ZL17vec_dot_q6_K_q8_1PKvPK10block_q8_1RKiEEEvS2_S2_PT_PS6_iiii
    .private_segment_fixed_size: 0
    .sgpr_count:     20
    .sgpr_spill_count: 0
    .symbol:         _ZL9moe_vec_qIfLi256ELi32E10block_q6_KLi1EXadL_ZL17vec_dot_q6_K_q8_1PKvPK10block_q8_1RKiEEEvS2_S2_PT_PS6_iiii.kd
    .uniform_work_group_size: 1
    .uses_dynamic_stack: false
    .vgpr_count:     28
    .vgpr_spill_count: 0
    .wavefront_size: 32
    .workgroup_processor_mode: 1
  - .args:
      - .actual_access:  read_only
        .address_space:  global
        .offset:         0
        .size:           8
        .value_kind:     global_buffer
      - .actual_access:  read_only
        .address_space:  global
        .offset:         8
        .size:           8
        .value_kind:     global_buffer
      - .actual_access:  write_only
        .address_space:  global
        .offset:         16
        .size:           8
        .value_kind:     global_buffer
      - .address_space:  global
        .offset:         24
        .size:           8
        .value_kind:     global_buffer
      - .offset:         32
        .size:           4
        .value_kind:     by_value
      - .offset:         36
        .size:           4
        .value_kind:     by_value
      - .offset:         40
        .size:           4
        .value_kind:     by_value
      - .offset:         44
        .size:           4
        .value_kind:     by_value
      - .offset:         48
        .size:           4
        .value_kind:     hidden_block_count_x
      - .offset:         52
        .size:           4
        .value_kind:     hidden_block_count_y
      - .offset:         56
        .size:           4
        .value_kind:     hidden_block_count_z
      - .offset:         60
        .size:           2
        .value_kind:     hidden_group_size_x
      - .offset:         62
        .size:           2
        .value_kind:     hidden_group_size_y
      - .offset:         64
        .size:           2
        .value_kind:     hidden_group_size_z
      - .offset:         66
        .size:           2
        .value_kind:     hidden_remainder_x
      - .offset:         68
        .size:           2
        .value_kind:     hidden_remainder_y
      - .offset:         70
        .size:           2
        .value_kind:     hidden_remainder_z
      - .offset:         88
        .size:           8
        .value_kind:     hidden_global_offset_x
      - .offset:         96
        .size:           8
        .value_kind:     hidden_global_offset_y
      - .offset:         104
        .size:           8
        .value_kind:     hidden_global_offset_z
      - .offset:         112
        .size:           2
        .value_kind:     hidden_grid_dims
    .group_segment_fixed_size: 0
    .kernarg_segment_align: 8
    .kernarg_segment_size: 304
    .language:       OpenCL C
    .language_version:
      - 2
      - 0
    .max_flat_workgroup_size: 1024
    .name:           _ZL9moe_vec_qIfLi256ELi8E13block_iq2_xxsLi1EXadL_ZL20vec_dot_iq2_xxs_q8_1PKvPK10block_q8_1RKiEEEvS2_S2_PT_PS6_iiii
    .private_segment_fixed_size: 0
    .sgpr_count:     21
    .sgpr_spill_count: 0
    .symbol:         _ZL9moe_vec_qIfLi256ELi8E13block_iq2_xxsLi1EXadL_ZL20vec_dot_iq2_xxs_q8_1PKvPK10block_q8_1RKiEEEvS2_S2_PT_PS6_iiii.kd
    .uniform_work_group_size: 1
    .uses_dynamic_stack: false
    .vgpr_count:     62
    .vgpr_spill_count: 0
    .wavefront_size: 32
    .workgroup_processor_mode: 1
  - .args:
      - .actual_access:  read_only
        .address_space:  global
        .offset:         0
        .size:           8
        .value_kind:     global_buffer
      - .actual_access:  read_only
        .address_space:  global
        .offset:         8
        .size:           8
        .value_kind:     global_buffer
      - .actual_access:  write_only
        .address_space:  global
        .offset:         16
        .size:           8
        .value_kind:     global_buffer
      - .address_space:  global
        .offset:         24
        .size:           8
        .value_kind:     global_buffer
      - .offset:         32
        .size:           4
        .value_kind:     by_value
      - .offset:         36
        .size:           4
        .value_kind:     by_value
      - .offset:         40
        .size:           4
        .value_kind:     by_value
      - .offset:         44
        .size:           4
        .value_kind:     by_value
      - .offset:         48
        .size:           4
        .value_kind:     hidden_block_count_x
      - .offset:         52
        .size:           4
        .value_kind:     hidden_block_count_y
      - .offset:         56
        .size:           4
        .value_kind:     hidden_block_count_z
      - .offset:         60
        .size:           2
        .value_kind:     hidden_group_size_x
      - .offset:         62
        .size:           2
        .value_kind:     hidden_group_size_y
      - .offset:         64
        .size:           2
        .value_kind:     hidden_group_size_z
      - .offset:         66
        .size:           2
        .value_kind:     hidden_remainder_x
      - .offset:         68
        .size:           2
        .value_kind:     hidden_remainder_y
      - .offset:         70
        .size:           2
        .value_kind:     hidden_remainder_z
      - .offset:         88
        .size:           8
        .value_kind:     hidden_global_offset_x
      - .offset:         96
        .size:           8
        .value_kind:     hidden_global_offset_y
      - .offset:         104
        .size:           8
        .value_kind:     hidden_global_offset_z
      - .offset:         112
        .size:           2
        .value_kind:     hidden_grid_dims
    .group_segment_fixed_size: 0
    .kernarg_segment_align: 8
    .kernarg_segment_size: 304
    .language:       OpenCL C
    .language_version:
      - 2
      - 0
    .max_flat_workgroup_size: 1024
    .name:           _ZL9moe_vec_qIfLi256ELi8E12block_iq2_xsLi1EXadL_ZL19vec_dot_iq2_xs_q8_1PKvPK10block_q8_1RKiEEEvS2_S2_PT_PS6_iiii
    .private_segment_fixed_size: 0
    .sgpr_count:     38
    .sgpr_spill_count: 0
    .symbol:         _ZL9moe_vec_qIfLi256ELi8E12block_iq2_xsLi1EXadL_ZL19vec_dot_iq2_xs_q8_1PKvPK10block_q8_1RKiEEEvS2_S2_PT_PS6_iiii.kd
    .uniform_work_group_size: 1
    .uses_dynamic_stack: false
    .vgpr_count:     70
    .vgpr_spill_count: 0
    .wavefront_size: 32
    .workgroup_processor_mode: 1
  - .args:
      - .actual_access:  read_only
        .address_space:  global
        .offset:         0
        .size:           8
        .value_kind:     global_buffer
      - .actual_access:  read_only
        .address_space:  global
        .offset:         8
        .size:           8
        .value_kind:     global_buffer
      - .actual_access:  write_only
        .address_space:  global
        .offset:         16
        .size:           8
        .value_kind:     global_buffer
      - .address_space:  global
        .offset:         24
        .size:           8
        .value_kind:     global_buffer
      - .offset:         32
        .size:           4
        .value_kind:     by_value
      - .offset:         36
        .size:           4
        .value_kind:     by_value
      - .offset:         40
        .size:           4
        .value_kind:     by_value
      - .offset:         44
        .size:           4
        .value_kind:     by_value
      - .offset:         48
        .size:           4
        .value_kind:     hidden_block_count_x
      - .offset:         52
        .size:           4
        .value_kind:     hidden_block_count_y
      - .offset:         56
        .size:           4
        .value_kind:     hidden_block_count_z
      - .offset:         60
        .size:           2
        .value_kind:     hidden_group_size_x
      - .offset:         62
        .size:           2
        .value_kind:     hidden_group_size_y
      - .offset:         64
        .size:           2
        .value_kind:     hidden_group_size_z
      - .offset:         66
        .size:           2
        .value_kind:     hidden_remainder_x
      - .offset:         68
        .size:           2
        .value_kind:     hidden_remainder_y
      - .offset:         70
        .size:           2
        .value_kind:     hidden_remainder_z
      - .offset:         88
        .size:           8
        .value_kind:     hidden_global_offset_x
      - .offset:         96
        .size:           8
        .value_kind:     hidden_global_offset_y
      - .offset:         104
        .size:           8
        .value_kind:     hidden_global_offset_z
      - .offset:         112
        .size:           2
        .value_kind:     hidden_grid_dims
    .group_segment_fixed_size: 0
    .kernarg_segment_align: 8
    .kernarg_segment_size: 304
    .language:       OpenCL C
    .language_version:
      - 2
      - 0
    .max_flat_workgroup_size: 1024
    .name:           _ZL9moe_vec_qIfLi256ELi8E13block_iq3_xxsLi1EXadL_ZL20vec_dot_iq3_xxs_q8_1PKvPK10block_q8_1RKiEEEvS2_S2_PT_PS6_iiii
    .private_segment_fixed_size: 0
    .sgpr_count:     19
    .sgpr_spill_count: 0
    .symbol:         _ZL9moe_vec_qIfLi256ELi8E13block_iq3_xxsLi1EXadL_ZL20vec_dot_iq3_xxs_q8_1PKvPK10block_q8_1RKiEEEvS2_S2_PT_PS6_iiii.kd
    .uniform_work_group_size: 1
    .uses_dynamic_stack: false
    .vgpr_count:     62
    .vgpr_spill_count: 0
    .wavefront_size: 32
    .workgroup_processor_mode: 1
  - .args:
      - .actual_access:  read_only
        .address_space:  global
        .offset:         0
        .size:           8
        .value_kind:     global_buffer
      - .actual_access:  read_only
        .address_space:  global
        .offset:         8
        .size:           8
        .value_kind:     global_buffer
      - .actual_access:  write_only
        .address_space:  global
        .offset:         16
        .size:           8
        .value_kind:     global_buffer
      - .address_space:  global
        .offset:         24
        .size:           8
        .value_kind:     global_buffer
      - .offset:         32
        .size:           4
        .value_kind:     by_value
      - .offset:         36
        .size:           4
        .value_kind:     by_value
      - .offset:         40
        .size:           4
        .value_kind:     by_value
      - .offset:         44
        .size:           4
        .value_kind:     by_value
      - .offset:         48
        .size:           4
        .value_kind:     hidden_block_count_x
      - .offset:         52
        .size:           4
        .value_kind:     hidden_block_count_y
      - .offset:         56
        .size:           4
        .value_kind:     hidden_block_count_z
      - .offset:         60
        .size:           2
        .value_kind:     hidden_group_size_x
      - .offset:         62
        .size:           2
        .value_kind:     hidden_group_size_y
      - .offset:         64
        .size:           2
        .value_kind:     hidden_group_size_z
      - .offset:         66
        .size:           2
        .value_kind:     hidden_remainder_x
      - .offset:         68
        .size:           2
        .value_kind:     hidden_remainder_y
      - .offset:         70
        .size:           2
        .value_kind:     hidden_remainder_z
      - .offset:         88
        .size:           8
        .value_kind:     hidden_global_offset_x
      - .offset:         96
        .size:           8
        .value_kind:     hidden_global_offset_y
      - .offset:         104
        .size:           8
        .value_kind:     hidden_global_offset_z
      - .offset:         112
        .size:           2
        .value_kind:     hidden_grid_dims
    .group_segment_fixed_size: 0
    .kernarg_segment_align: 8
    .kernarg_segment_size: 304
    .language:       OpenCL C
    .language_version:
      - 2
      - 0
    .max_flat_workgroup_size: 1024
    .name:           _ZL9moe_vec_qIfLi256ELi8E11block_iq1_sLi1EXadL_ZL18vec_dot_iq1_s_q8_1PKvPK10block_q8_1RKiEEEvS2_S2_PT_PS6_iiii
    .private_segment_fixed_size: 0
    .sgpr_count:     19
    .sgpr_spill_count: 0
    .symbol:         _ZL9moe_vec_qIfLi256ELi8E11block_iq1_sLi1EXadL_ZL18vec_dot_iq1_s_q8_1PKvPK10block_q8_1RKiEEEvS2_S2_PT_PS6_iiii.kd
    .uniform_work_group_size: 1
    .uses_dynamic_stack: false
    .vgpr_count:     27
    .vgpr_spill_count: 0
    .wavefront_size: 32
    .workgroup_processor_mode: 1
  - .args:
      - .actual_access:  read_only
        .address_space:  global
        .offset:         0
        .size:           8
        .value_kind:     global_buffer
      - .actual_access:  read_only
        .address_space:  global
        .offset:         8
        .size:           8
        .value_kind:     global_buffer
      - .actual_access:  write_only
        .address_space:  global
        .offset:         16
        .size:           8
        .value_kind:     global_buffer
      - .address_space:  global
        .offset:         24
        .size:           8
        .value_kind:     global_buffer
      - .offset:         32
        .size:           4
        .value_kind:     by_value
      - .offset:         36
        .size:           4
        .value_kind:     by_value
      - .offset:         40
        .size:           4
        .value_kind:     by_value
      - .offset:         44
        .size:           4
        .value_kind:     by_value
      - .offset:         48
        .size:           4
        .value_kind:     hidden_block_count_x
      - .offset:         52
        .size:           4
        .value_kind:     hidden_block_count_y
      - .offset:         56
        .size:           4
        .value_kind:     hidden_block_count_z
      - .offset:         60
        .size:           2
        .value_kind:     hidden_group_size_x
      - .offset:         62
        .size:           2
        .value_kind:     hidden_group_size_y
      - .offset:         64
        .size:           2
        .value_kind:     hidden_group_size_z
      - .offset:         66
        .size:           2
        .value_kind:     hidden_remainder_x
      - .offset:         68
        .size:           2
        .value_kind:     hidden_remainder_y
      - .offset:         70
        .size:           2
        .value_kind:     hidden_remainder_z
      - .offset:         88
        .size:           8
        .value_kind:     hidden_global_offset_x
      - .offset:         96
        .size:           8
        .value_kind:     hidden_global_offset_y
      - .offset:         104
        .size:           8
        .value_kind:     hidden_global_offset_z
      - .offset:         112
        .size:           2
        .value_kind:     hidden_grid_dims
    .group_segment_fixed_size: 0
    .kernarg_segment_align: 8
    .kernarg_segment_size: 304
    .language:       OpenCL C
    .language_version:
      - 2
      - 0
    .max_flat_workgroup_size: 1024
    .name:           _ZL9moe_vec_qIfLi32ELi4E12block_iq4_nlLi2EXadL_ZL19vec_dot_iq4_nl_q8_1PKvPK10block_q8_1RKiEEEvS2_S2_PT_PS6_iiii
    .private_segment_fixed_size: 0
    .sgpr_count:     22
    .sgpr_spill_count: 0
    .symbol:         _ZL9moe_vec_qIfLi32ELi4E12block_iq4_nlLi2EXadL_ZL19vec_dot_iq4_nl_q8_1PKvPK10block_q8_1RKiEEEvS2_S2_PT_PS6_iiii.kd
    .uniform_work_group_size: 1
    .uses_dynamic_stack: false
    .vgpr_count:     31
    .vgpr_spill_count: 0
    .wavefront_size: 32
    .workgroup_processor_mode: 1
  - .args:
      - .actual_access:  read_only
        .address_space:  global
        .offset:         0
        .size:           8
        .value_kind:     global_buffer
      - .actual_access:  read_only
        .address_space:  global
        .offset:         8
        .size:           8
        .value_kind:     global_buffer
      - .actual_access:  write_only
        .address_space:  global
        .offset:         16
        .size:           8
        .value_kind:     global_buffer
      - .address_space:  global
        .offset:         24
        .size:           8
        .value_kind:     global_buffer
      - .offset:         32
        .size:           4
        .value_kind:     by_value
      - .offset:         36
        .size:           4
        .value_kind:     by_value
      - .offset:         40
        .size:           4
        .value_kind:     by_value
      - .offset:         44
        .size:           4
        .value_kind:     by_value
      - .offset:         48
        .size:           4
        .value_kind:     hidden_block_count_x
      - .offset:         52
        .size:           4
        .value_kind:     hidden_block_count_y
      - .offset:         56
        .size:           4
        .value_kind:     hidden_block_count_z
      - .offset:         60
        .size:           2
        .value_kind:     hidden_group_size_x
      - .offset:         62
        .size:           2
        .value_kind:     hidden_group_size_y
      - .offset:         64
        .size:           2
        .value_kind:     hidden_group_size_z
      - .offset:         66
        .size:           2
        .value_kind:     hidden_remainder_x
      - .offset:         68
        .size:           2
        .value_kind:     hidden_remainder_y
      - .offset:         70
        .size:           2
        .value_kind:     hidden_remainder_z
      - .offset:         88
        .size:           8
        .value_kind:     hidden_global_offset_x
      - .offset:         96
        .size:           8
        .value_kind:     hidden_global_offset_y
      - .offset:         104
        .size:           8
        .value_kind:     hidden_global_offset_z
      - .offset:         112
        .size:           2
        .value_kind:     hidden_grid_dims
    .group_segment_fixed_size: 0
    .kernarg_segment_align: 8
    .kernarg_segment_size: 304
    .language:       OpenCL C
    .language_version:
      - 2
      - 0
    .max_flat_workgroup_size: 1024
    .name:           _ZL9moe_vec_qIfLi256ELi8E11block_iq3_sLi1EXadL_ZL18vec_dot_iq3_s_q8_1PKvPK10block_q8_1RKiEEEvS2_S2_PT_PS6_iiii
    .private_segment_fixed_size: 0
    .sgpr_count:     20
    .sgpr_spill_count: 0
    .symbol:         _ZL9moe_vec_qIfLi256ELi8E11block_iq3_sLi1EXadL_ZL18vec_dot_iq3_s_q8_1PKvPK10block_q8_1RKiEEEvS2_S2_PT_PS6_iiii.kd
    .uniform_work_group_size: 1
    .uses_dynamic_stack: false
    .vgpr_count:     42
    .vgpr_spill_count: 0
    .wavefront_size: 32
    .workgroup_processor_mode: 1
  - .args:
      - .actual_access:  read_only
        .address_space:  global
        .offset:         0
        .size:           8
        .value_kind:     global_buffer
      - .actual_access:  read_only
        .address_space:  global
        .offset:         8
        .size:           8
        .value_kind:     global_buffer
      - .actual_access:  write_only
        .address_space:  global
        .offset:         16
        .size:           8
        .value_kind:     global_buffer
      - .address_space:  global
        .offset:         24
        .size:           8
        .value_kind:     global_buffer
      - .offset:         32
        .size:           4
        .value_kind:     by_value
      - .offset:         36
        .size:           4
        .value_kind:     by_value
      - .offset:         40
        .size:           4
        .value_kind:     by_value
      - .offset:         44
        .size:           4
        .value_kind:     by_value
      - .offset:         48
        .size:           4
        .value_kind:     hidden_block_count_x
      - .offset:         52
        .size:           4
        .value_kind:     hidden_block_count_y
      - .offset:         56
        .size:           4
        .value_kind:     hidden_block_count_z
      - .offset:         60
        .size:           2
        .value_kind:     hidden_group_size_x
      - .offset:         62
        .size:           2
        .value_kind:     hidden_group_size_y
      - .offset:         64
        .size:           2
        .value_kind:     hidden_group_size_z
      - .offset:         66
        .size:           2
        .value_kind:     hidden_remainder_x
      - .offset:         68
        .size:           2
        .value_kind:     hidden_remainder_y
      - .offset:         70
        .size:           2
        .value_kind:     hidden_remainder_z
      - .offset:         88
        .size:           8
        .value_kind:     hidden_global_offset_x
      - .offset:         96
        .size:           8
        .value_kind:     hidden_global_offset_y
      - .offset:         104
        .size:           8
        .value_kind:     hidden_global_offset_z
      - .offset:         112
        .size:           2
        .value_kind:     hidden_grid_dims
    .group_segment_fixed_size: 0
    .kernarg_segment_align: 8
    .kernarg_segment_size: 304
    .language:       OpenCL C
    .language_version:
      - 2
      - 0
    .max_flat_workgroup_size: 1024
    .name:           _ZL9moe_vec_qIfLi256ELi8E11block_iq2_sLi1EXadL_ZL18vec_dot_iq2_s_q8_1PKvPK10block_q8_1RKiEEEvS2_S2_PT_PS6_iiii
    .private_segment_fixed_size: 0
    .sgpr_count:     19
    .sgpr_spill_count: 0
    .symbol:         _ZL9moe_vec_qIfLi256ELi8E11block_iq2_sLi1EXadL_ZL18vec_dot_iq2_s_q8_1PKvPK10block_q8_1RKiEEEvS2_S2_PT_PS6_iiii.kd
    .uniform_work_group_size: 1
    .uses_dynamic_stack: false
    .vgpr_count:     64
    .vgpr_spill_count: 0
    .wavefront_size: 32
    .workgroup_processor_mode: 1
  - .args:
      - .actual_access:  read_only
        .address_space:  global
        .offset:         0
        .size:           8
        .value_kind:     global_buffer
      - .actual_access:  read_only
        .address_space:  global
        .offset:         8
        .size:           8
        .value_kind:     global_buffer
      - .actual_access:  write_only
        .address_space:  global
        .offset:         16
        .size:           8
        .value_kind:     global_buffer
      - .address_space:  global
        .offset:         24
        .size:           8
        .value_kind:     global_buffer
      - .offset:         32
        .size:           4
        .value_kind:     by_value
      - .offset:         36
        .size:           4
        .value_kind:     by_value
      - .offset:         40
        .size:           4
        .value_kind:     by_value
      - .offset:         44
        .size:           4
        .value_kind:     by_value
      - .offset:         48
        .size:           4
        .value_kind:     hidden_block_count_x
      - .offset:         52
        .size:           4
        .value_kind:     hidden_block_count_y
      - .offset:         56
        .size:           4
        .value_kind:     hidden_block_count_z
      - .offset:         60
        .size:           2
        .value_kind:     hidden_group_size_x
      - .offset:         62
        .size:           2
        .value_kind:     hidden_group_size_y
      - .offset:         64
        .size:           2
        .value_kind:     hidden_group_size_z
      - .offset:         66
        .size:           2
        .value_kind:     hidden_remainder_x
      - .offset:         68
        .size:           2
        .value_kind:     hidden_remainder_y
      - .offset:         70
        .size:           2
        .value_kind:     hidden_remainder_z
      - .offset:         88
        .size:           8
        .value_kind:     hidden_global_offset_x
      - .offset:         96
        .size:           8
        .value_kind:     hidden_global_offset_y
      - .offset:         104
        .size:           8
        .value_kind:     hidden_global_offset_z
      - .offset:         112
        .size:           2
        .value_kind:     hidden_grid_dims
    .group_segment_fixed_size: 0
    .kernarg_segment_align: 8
    .kernarg_segment_size: 304
    .language:       OpenCL C
    .language_version:
      - 2
      - 0
    .max_flat_workgroup_size: 1024
    .name:           _ZL9moe_vec_qIfLi256ELi8E12block_iq4_xsLi1EXadL_ZL19vec_dot_iq4_xs_q8_1PKvPK10block_q8_1RKiEEEvS2_S2_PT_PS6_iiii
    .private_segment_fixed_size: 0
    .sgpr_count:     19
    .sgpr_spill_count: 0
    .symbol:         _ZL9moe_vec_qIfLi256ELi8E12block_iq4_xsLi1EXadL_ZL19vec_dot_iq4_xs_q8_1PKvPK10block_q8_1RKiEEEvS2_S2_PT_PS6_iiii.kd
    .uniform_work_group_size: 1
    .uses_dynamic_stack: false
    .vgpr_count:     58
    .vgpr_spill_count: 0
    .wavefront_size: 32
    .workgroup_processor_mode: 1
  - .args:
      - .actual_access:  read_only
        .address_space:  global
        .offset:         0
        .size:           8
        .value_kind:     global_buffer
      - .actual_access:  read_only
        .address_space:  global
        .offset:         8
        .size:           8
        .value_kind:     global_buffer
      - .actual_access:  write_only
        .address_space:  global
        .offset:         16
        .size:           8
        .value_kind:     global_buffer
      - .address_space:  global
        .offset:         24
        .size:           8
        .value_kind:     global_buffer
      - .offset:         32
        .size:           4
        .value_kind:     by_value
      - .offset:         36
        .size:           4
        .value_kind:     by_value
      - .offset:         40
        .size:           4
        .value_kind:     by_value
      - .offset:         44
        .size:           4
        .value_kind:     by_value
      - .offset:         48
        .size:           4
        .value_kind:     hidden_block_count_x
      - .offset:         52
        .size:           4
        .value_kind:     hidden_block_count_y
      - .offset:         56
        .size:           4
        .value_kind:     hidden_block_count_z
      - .offset:         60
        .size:           2
        .value_kind:     hidden_group_size_x
      - .offset:         62
        .size:           2
        .value_kind:     hidden_group_size_y
      - .offset:         64
        .size:           2
        .value_kind:     hidden_group_size_z
      - .offset:         66
        .size:           2
        .value_kind:     hidden_remainder_x
      - .offset:         68
        .size:           2
        .value_kind:     hidden_remainder_y
      - .offset:         70
        .size:           2
        .value_kind:     hidden_remainder_z
      - .offset:         88
        .size:           8
        .value_kind:     hidden_global_offset_x
      - .offset:         96
        .size:           8
        .value_kind:     hidden_global_offset_y
      - .offset:         104
        .size:           8
        .value_kind:     hidden_global_offset_z
      - .offset:         112
        .size:           2
        .value_kind:     hidden_grid_dims
    .group_segment_fixed_size: 0
    .kernarg_segment_align: 8
    .kernarg_segment_size: 304
    .language:       OpenCL C
    .language_version:
      - 2
      - 0
    .max_flat_workgroup_size: 1024
    .name:           _ZL9moe_vec_qIfLi256ELi8E11block_iq1_mLi1EXadL_ZL18vec_dot_iq1_m_q8_1PKvPK10block_q8_1RKiEEEvS2_S2_PT_PS6_iiii
    .private_segment_fixed_size: 0
    .sgpr_count:     19
    .sgpr_spill_count: 0
    .symbol:         _ZL9moe_vec_qIfLi256ELi8E11block_iq1_mLi1EXadL_ZL18vec_dot_iq1_m_q8_1PKvPK10block_q8_1RKiEEEvS2_S2_PT_PS6_iiii.kd
    .uniform_work_group_size: 1
    .uses_dynamic_stack: false
    .vgpr_count:     43
    .vgpr_spill_count: 0
    .wavefront_size: 32
    .workgroup_processor_mode: 1
  - .args:
      - .actual_access:  read_only
        .address_space:  global
        .offset:         0
        .size:           8
        .value_kind:     global_buffer
      - .actual_access:  read_only
        .address_space:  global
        .offset:         8
        .size:           8
        .value_kind:     global_buffer
      - .actual_access:  write_only
        .address_space:  global
        .offset:         16
        .size:           8
        .value_kind:     global_buffer
      - .address_space:  global
        .offset:         24
        .size:           8
        .value_kind:     global_buffer
      - .offset:         32
        .size:           4
        .value_kind:     by_value
      - .offset:         36
        .size:           4
        .value_kind:     by_value
      - .offset:         40
        .size:           4
        .value_kind:     by_value
      - .offset:         44
        .size:           4
        .value_kind:     by_value
      - .offset:         48
        .size:           4
        .value_kind:     hidden_block_count_x
      - .offset:         52
        .size:           4
        .value_kind:     hidden_block_count_y
      - .offset:         56
        .size:           4
        .value_kind:     hidden_block_count_z
      - .offset:         60
        .size:           2
        .value_kind:     hidden_group_size_x
      - .offset:         62
        .size:           2
        .value_kind:     hidden_group_size_y
      - .offset:         64
        .size:           2
        .value_kind:     hidden_group_size_z
      - .offset:         66
        .size:           2
        .value_kind:     hidden_remainder_x
      - .offset:         68
        .size:           2
        .value_kind:     hidden_remainder_y
      - .offset:         70
        .size:           2
        .value_kind:     hidden_remainder_z
      - .offset:         88
        .size:           8
        .value_kind:     hidden_global_offset_x
      - .offset:         96
        .size:           8
        .value_kind:     hidden_global_offset_y
      - .offset:         104
        .size:           8
        .value_kind:     hidden_global_offset_z
      - .offset:         112
        .size:           2
        .value_kind:     hidden_grid_dims
    .group_segment_fixed_size: 0
    .kernarg_segment_align: 8
    .kernarg_segment_size: 304
    .language:       OpenCL C
    .language_version:
      - 2
      - 0
    .max_flat_workgroup_size: 1024
    .name:           _ZL9moe_vec_qIN3c104HalfELi32ELi4E10block_q4_0Li2EXadL_ZL17vec_dot_q4_0_q8_1PKvPK10block_q8_1RKiEEEvS4_S4_PT_PS8_iiii
    .private_segment_fixed_size: 0
    .sgpr_count:     22
    .sgpr_spill_count: 0
    .symbol:         _ZL9moe_vec_qIN3c104HalfELi32ELi4E10block_q4_0Li2EXadL_ZL17vec_dot_q4_0_q8_1PKvPK10block_q8_1RKiEEEvS4_S4_PT_PS8_iiii.kd
    .uniform_work_group_size: 1
    .uses_dynamic_stack: false
    .vgpr_count:     16
    .vgpr_spill_count: 0
    .wavefront_size: 32
    .workgroup_processor_mode: 1
  - .args:
      - .actual_access:  read_only
        .address_space:  global
        .offset:         0
        .size:           8
        .value_kind:     global_buffer
      - .actual_access:  read_only
        .address_space:  global
        .offset:         8
        .size:           8
        .value_kind:     global_buffer
      - .actual_access:  write_only
        .address_space:  global
        .offset:         16
        .size:           8
        .value_kind:     global_buffer
      - .address_space:  global
        .offset:         24
        .size:           8
        .value_kind:     global_buffer
      - .offset:         32
        .size:           4
        .value_kind:     by_value
      - .offset:         36
        .size:           4
        .value_kind:     by_value
      - .offset:         40
        .size:           4
        .value_kind:     by_value
      - .offset:         44
        .size:           4
        .value_kind:     by_value
      - .offset:         48
        .size:           4
        .value_kind:     hidden_block_count_x
      - .offset:         52
        .size:           4
        .value_kind:     hidden_block_count_y
      - .offset:         56
        .size:           4
        .value_kind:     hidden_block_count_z
      - .offset:         60
        .size:           2
        .value_kind:     hidden_group_size_x
      - .offset:         62
        .size:           2
        .value_kind:     hidden_group_size_y
      - .offset:         64
        .size:           2
        .value_kind:     hidden_group_size_z
      - .offset:         66
        .size:           2
        .value_kind:     hidden_remainder_x
      - .offset:         68
        .size:           2
        .value_kind:     hidden_remainder_y
      - .offset:         70
        .size:           2
        .value_kind:     hidden_remainder_z
      - .offset:         88
        .size:           8
        .value_kind:     hidden_global_offset_x
      - .offset:         96
        .size:           8
        .value_kind:     hidden_global_offset_y
      - .offset:         104
        .size:           8
        .value_kind:     hidden_global_offset_z
      - .offset:         112
        .size:           2
        .value_kind:     hidden_grid_dims
    .group_segment_fixed_size: 0
    .kernarg_segment_align: 8
    .kernarg_segment_size: 304
    .language:       OpenCL C
    .language_version:
      - 2
      - 0
    .max_flat_workgroup_size: 1024
    .name:           _ZL9moe_vec_qIN3c104HalfELi32ELi4E10block_q4_1Li2EXadL_ZL17vec_dot_q4_1_q8_1PKvPK10block_q8_1RKiEEEvS4_S4_PT_PS8_iiii
    .private_segment_fixed_size: 0
    .sgpr_count:     22
    .sgpr_spill_count: 0
    .symbol:         _ZL9moe_vec_qIN3c104HalfELi32ELi4E10block_q4_1Li2EXadL_ZL17vec_dot_q4_1_q8_1PKvPK10block_q8_1RKiEEEvS4_S4_PT_PS8_iiii.kd
    .uniform_work_group_size: 1
    .uses_dynamic_stack: false
    .vgpr_count:     16
    .vgpr_spill_count: 0
    .wavefront_size: 32
    .workgroup_processor_mode: 1
  - .args:
      - .actual_access:  read_only
        .address_space:  global
        .offset:         0
        .size:           8
        .value_kind:     global_buffer
      - .actual_access:  read_only
        .address_space:  global
        .offset:         8
        .size:           8
        .value_kind:     global_buffer
      - .actual_access:  write_only
        .address_space:  global
        .offset:         16
        .size:           8
        .value_kind:     global_buffer
      - .address_space:  global
        .offset:         24
        .size:           8
        .value_kind:     global_buffer
      - .offset:         32
        .size:           4
        .value_kind:     by_value
      - .offset:         36
        .size:           4
        .value_kind:     by_value
      - .offset:         40
        .size:           4
        .value_kind:     by_value
      - .offset:         44
        .size:           4
        .value_kind:     by_value
      - .offset:         48
        .size:           4
        .value_kind:     hidden_block_count_x
      - .offset:         52
        .size:           4
        .value_kind:     hidden_block_count_y
      - .offset:         56
        .size:           4
        .value_kind:     hidden_block_count_z
      - .offset:         60
        .size:           2
        .value_kind:     hidden_group_size_x
      - .offset:         62
        .size:           2
        .value_kind:     hidden_group_size_y
      - .offset:         64
        .size:           2
        .value_kind:     hidden_group_size_z
      - .offset:         66
        .size:           2
        .value_kind:     hidden_remainder_x
      - .offset:         68
        .size:           2
        .value_kind:     hidden_remainder_y
      - .offset:         70
        .size:           2
        .value_kind:     hidden_remainder_z
      - .offset:         88
        .size:           8
        .value_kind:     hidden_global_offset_x
      - .offset:         96
        .size:           8
        .value_kind:     hidden_global_offset_y
      - .offset:         104
        .size:           8
        .value_kind:     hidden_global_offset_z
      - .offset:         112
        .size:           2
        .value_kind:     hidden_grid_dims
    .group_segment_fixed_size: 0
    .kernarg_segment_align: 8
    .kernarg_segment_size: 304
    .language:       OpenCL C
    .language_version:
      - 2
      - 0
    .max_flat_workgroup_size: 1024
    .name:           _ZL9moe_vec_qIN3c104HalfELi32ELi4E10block_q5_0Li2EXadL_ZL17vec_dot_q5_0_q8_1PKvPK10block_q8_1RKiEEEvS4_S4_PT_PS8_iiii
    .private_segment_fixed_size: 0
    .sgpr_count:     22
    .sgpr_spill_count: 0
    .symbol:         _ZL9moe_vec_qIN3c104HalfELi32ELi4E10block_q5_0Li2EXadL_ZL17vec_dot_q5_0_q8_1PKvPK10block_q8_1RKiEEEvS4_S4_PT_PS8_iiii.kd
    .uniform_work_group_size: 1
    .uses_dynamic_stack: false
    .vgpr_count:     34
    .vgpr_spill_count: 0
    .wavefront_size: 32
    .workgroup_processor_mode: 1
  - .args:
      - .actual_access:  read_only
        .address_space:  global
        .offset:         0
        .size:           8
        .value_kind:     global_buffer
      - .actual_access:  read_only
        .address_space:  global
        .offset:         8
        .size:           8
        .value_kind:     global_buffer
      - .actual_access:  write_only
        .address_space:  global
        .offset:         16
        .size:           8
        .value_kind:     global_buffer
      - .address_space:  global
        .offset:         24
        .size:           8
        .value_kind:     global_buffer
      - .offset:         32
        .size:           4
        .value_kind:     by_value
      - .offset:         36
        .size:           4
        .value_kind:     by_value
      - .offset:         40
        .size:           4
        .value_kind:     by_value
      - .offset:         44
        .size:           4
        .value_kind:     by_value
      - .offset:         48
        .size:           4
        .value_kind:     hidden_block_count_x
      - .offset:         52
        .size:           4
        .value_kind:     hidden_block_count_y
      - .offset:         56
        .size:           4
        .value_kind:     hidden_block_count_z
      - .offset:         60
        .size:           2
        .value_kind:     hidden_group_size_x
      - .offset:         62
        .size:           2
        .value_kind:     hidden_group_size_y
      - .offset:         64
        .size:           2
        .value_kind:     hidden_group_size_z
      - .offset:         66
        .size:           2
        .value_kind:     hidden_remainder_x
      - .offset:         68
        .size:           2
        .value_kind:     hidden_remainder_y
      - .offset:         70
        .size:           2
        .value_kind:     hidden_remainder_z
      - .offset:         88
        .size:           8
        .value_kind:     hidden_global_offset_x
      - .offset:         96
        .size:           8
        .value_kind:     hidden_global_offset_y
      - .offset:         104
        .size:           8
        .value_kind:     hidden_global_offset_z
      - .offset:         112
        .size:           2
        .value_kind:     hidden_grid_dims
    .group_segment_fixed_size: 0
    .kernarg_segment_align: 8
    .kernarg_segment_size: 304
    .language:       OpenCL C
    .language_version:
      - 2
      - 0
    .max_flat_workgroup_size: 1024
    .name:           _ZL9moe_vec_qIN3c104HalfELi32ELi4E10block_q5_1Li2EXadL_ZL17vec_dot_q5_1_q8_1PKvPK10block_q8_1RKiEEEvS4_S4_PT_PS8_iiii
    .private_segment_fixed_size: 0
    .sgpr_count:     22
    .sgpr_spill_count: 0
    .symbol:         _ZL9moe_vec_qIN3c104HalfELi32ELi4E10block_q5_1Li2EXadL_ZL17vec_dot_q5_1_q8_1PKvPK10block_q8_1RKiEEEvS4_S4_PT_PS8_iiii.kd
    .uniform_work_group_size: 1
    .uses_dynamic_stack: false
    .vgpr_count:     34
    .vgpr_spill_count: 0
    .wavefront_size: 32
    .workgroup_processor_mode: 1
  - .args:
      - .actual_access:  read_only
        .address_space:  global
        .offset:         0
        .size:           8
        .value_kind:     global_buffer
      - .actual_access:  read_only
        .address_space:  global
        .offset:         8
        .size:           8
        .value_kind:     global_buffer
      - .actual_access:  write_only
        .address_space:  global
        .offset:         16
        .size:           8
        .value_kind:     global_buffer
      - .address_space:  global
        .offset:         24
        .size:           8
        .value_kind:     global_buffer
      - .offset:         32
        .size:           4
        .value_kind:     by_value
      - .offset:         36
        .size:           4
        .value_kind:     by_value
      - .offset:         40
        .size:           4
        .value_kind:     by_value
      - .offset:         44
        .size:           4
        .value_kind:     by_value
      - .offset:         48
        .size:           4
        .value_kind:     hidden_block_count_x
      - .offset:         52
        .size:           4
        .value_kind:     hidden_block_count_y
      - .offset:         56
        .size:           4
        .value_kind:     hidden_block_count_z
      - .offset:         60
        .size:           2
        .value_kind:     hidden_group_size_x
      - .offset:         62
        .size:           2
        .value_kind:     hidden_group_size_y
      - .offset:         64
        .size:           2
        .value_kind:     hidden_group_size_z
      - .offset:         66
        .size:           2
        .value_kind:     hidden_remainder_x
      - .offset:         68
        .size:           2
        .value_kind:     hidden_remainder_y
      - .offset:         70
        .size:           2
        .value_kind:     hidden_remainder_z
      - .offset:         88
        .size:           8
        .value_kind:     hidden_global_offset_x
      - .offset:         96
        .size:           8
        .value_kind:     hidden_global_offset_y
      - .offset:         104
        .size:           8
        .value_kind:     hidden_global_offset_z
      - .offset:         112
        .size:           2
        .value_kind:     hidden_grid_dims
    .group_segment_fixed_size: 0
    .kernarg_segment_align: 8
    .kernarg_segment_size: 304
    .language:       OpenCL C
    .language_version:
      - 2
      - 0
    .max_flat_workgroup_size: 1024
    .name:           _ZL9moe_vec_qIN3c104HalfELi32ELi8E10block_q8_0Li2EXadL_ZL17vec_dot_q8_0_q8_1PKvPK10block_q8_1RKiEEEvS4_S4_PT_PS8_iiii
    .private_segment_fixed_size: 0
    .sgpr_count:     22
    .sgpr_spill_count: 0
    .symbol:         _ZL9moe_vec_qIN3c104HalfELi32ELi8E10block_q8_0Li2EXadL_ZL17vec_dot_q8_0_q8_1PKvPK10block_q8_1RKiEEEvS4_S4_PT_PS8_iiii.kd
    .uniform_work_group_size: 1
    .uses_dynamic_stack: false
    .vgpr_count:     14
    .vgpr_spill_count: 0
    .wavefront_size: 32
    .workgroup_processor_mode: 1
  - .args:
      - .actual_access:  read_only
        .address_space:  global
        .offset:         0
        .size:           8
        .value_kind:     global_buffer
      - .actual_access:  read_only
        .address_space:  global
        .offset:         8
        .size:           8
        .value_kind:     global_buffer
      - .actual_access:  write_only
        .address_space:  global
        .offset:         16
        .size:           8
        .value_kind:     global_buffer
      - .address_space:  global
        .offset:         24
        .size:           8
        .value_kind:     global_buffer
      - .offset:         32
        .size:           4
        .value_kind:     by_value
      - .offset:         36
        .size:           4
        .value_kind:     by_value
      - .offset:         40
        .size:           4
        .value_kind:     by_value
      - .offset:         44
        .size:           4
        .value_kind:     by_value
      - .offset:         48
        .size:           4
        .value_kind:     hidden_block_count_x
      - .offset:         52
        .size:           4
        .value_kind:     hidden_block_count_y
      - .offset:         56
        .size:           4
        .value_kind:     hidden_block_count_z
      - .offset:         60
        .size:           2
        .value_kind:     hidden_group_size_x
      - .offset:         62
        .size:           2
        .value_kind:     hidden_group_size_y
      - .offset:         64
        .size:           2
        .value_kind:     hidden_group_size_z
      - .offset:         66
        .size:           2
        .value_kind:     hidden_remainder_x
      - .offset:         68
        .size:           2
        .value_kind:     hidden_remainder_y
      - .offset:         70
        .size:           2
        .value_kind:     hidden_remainder_z
      - .offset:         88
        .size:           8
        .value_kind:     hidden_global_offset_x
      - .offset:         96
        .size:           8
        .value_kind:     hidden_global_offset_y
      - .offset:         104
        .size:           8
        .value_kind:     hidden_global_offset_z
      - .offset:         112
        .size:           2
        .value_kind:     hidden_grid_dims
    .group_segment_fixed_size: 0
    .kernarg_segment_align: 8
    .kernarg_segment_size: 304
    .language:       OpenCL C
    .language_version:
      - 2
      - 0
    .max_flat_workgroup_size: 1024
    .name:           _ZL9moe_vec_qIN3c104HalfELi256ELi16E10block_q2_KLi1EXadL_ZL17vec_dot_q2_K_q8_1PKvPK10block_q8_1RKiEEEvS4_S4_PT_PS8_iiii
    .private_segment_fixed_size: 0
    .sgpr_count:     19
    .sgpr_spill_count: 0
    .symbol:         _ZL9moe_vec_qIN3c104HalfELi256ELi16E10block_q2_KLi1EXadL_ZL17vec_dot_q2_K_q8_1PKvPK10block_q8_1RKiEEEvS4_S4_PT_PS8_iiii.kd
    .uniform_work_group_size: 1
    .uses_dynamic_stack: false
    .vgpr_count:     42
    .vgpr_spill_count: 0
    .wavefront_size: 32
    .workgroup_processor_mode: 1
  - .args:
      - .actual_access:  read_only
        .address_space:  global
        .offset:         0
        .size:           8
        .value_kind:     global_buffer
      - .actual_access:  read_only
        .address_space:  global
        .offset:         8
        .size:           8
        .value_kind:     global_buffer
      - .actual_access:  write_only
        .address_space:  global
        .offset:         16
        .size:           8
        .value_kind:     global_buffer
      - .address_space:  global
        .offset:         24
        .size:           8
        .value_kind:     global_buffer
      - .offset:         32
        .size:           4
        .value_kind:     by_value
      - .offset:         36
        .size:           4
        .value_kind:     by_value
      - .offset:         40
        .size:           4
        .value_kind:     by_value
      - .offset:         44
        .size:           4
        .value_kind:     by_value
      - .offset:         48
        .size:           4
        .value_kind:     hidden_block_count_x
      - .offset:         52
        .size:           4
        .value_kind:     hidden_block_count_y
      - .offset:         56
        .size:           4
        .value_kind:     hidden_block_count_z
      - .offset:         60
        .size:           2
        .value_kind:     hidden_group_size_x
      - .offset:         62
        .size:           2
        .value_kind:     hidden_group_size_y
      - .offset:         64
        .size:           2
        .value_kind:     hidden_group_size_z
      - .offset:         66
        .size:           2
        .value_kind:     hidden_remainder_x
      - .offset:         68
        .size:           2
        .value_kind:     hidden_remainder_y
      - .offset:         70
        .size:           2
        .value_kind:     hidden_remainder_z
      - .offset:         88
        .size:           8
        .value_kind:     hidden_global_offset_x
      - .offset:         96
        .size:           8
        .value_kind:     hidden_global_offset_y
      - .offset:         104
        .size:           8
        .value_kind:     hidden_global_offset_z
      - .offset:         112
        .size:           2
        .value_kind:     hidden_grid_dims
    .group_segment_fixed_size: 0
    .kernarg_segment_align: 8
    .kernarg_segment_size: 304
    .language:       OpenCL C
    .language_version:
      - 2
      - 0
    .max_flat_workgroup_size: 1024
    .name:           _ZL9moe_vec_qIN3c104HalfELi256ELi16E10block_q3_KLi1EXadL_ZL17vec_dot_q3_K_q8_1PKvPK10block_q8_1RKiEEEvS4_S4_PT_PS8_iiii
    .private_segment_fixed_size: 0
    .sgpr_count:     21
    .sgpr_spill_count: 0
    .symbol:         _ZL9moe_vec_qIN3c104HalfELi256ELi16E10block_q3_KLi1EXadL_ZL17vec_dot_q3_K_q8_1PKvPK10block_q8_1RKiEEEvS4_S4_PT_PS8_iiii.kd
    .uniform_work_group_size: 1
    .uses_dynamic_stack: false
    .vgpr_count:     63
    .vgpr_spill_count: 0
    .wavefront_size: 32
    .workgroup_processor_mode: 1
  - .args:
      - .actual_access:  read_only
        .address_space:  global
        .offset:         0
        .size:           8
        .value_kind:     global_buffer
      - .actual_access:  read_only
        .address_space:  global
        .offset:         8
        .size:           8
        .value_kind:     global_buffer
      - .actual_access:  write_only
        .address_space:  global
        .offset:         16
        .size:           8
        .value_kind:     global_buffer
      - .address_space:  global
        .offset:         24
        .size:           8
        .value_kind:     global_buffer
      - .offset:         32
        .size:           4
        .value_kind:     by_value
      - .offset:         36
        .size:           4
        .value_kind:     by_value
      - .offset:         40
        .size:           4
        .value_kind:     by_value
      - .offset:         44
        .size:           4
        .value_kind:     by_value
      - .offset:         48
        .size:           4
        .value_kind:     hidden_block_count_x
      - .offset:         52
        .size:           4
        .value_kind:     hidden_block_count_y
      - .offset:         56
        .size:           4
        .value_kind:     hidden_block_count_z
      - .offset:         60
        .size:           2
        .value_kind:     hidden_group_size_x
      - .offset:         62
        .size:           2
        .value_kind:     hidden_group_size_y
      - .offset:         64
        .size:           2
        .value_kind:     hidden_group_size_z
      - .offset:         66
        .size:           2
        .value_kind:     hidden_remainder_x
      - .offset:         68
        .size:           2
        .value_kind:     hidden_remainder_y
      - .offset:         70
        .size:           2
        .value_kind:     hidden_remainder_z
      - .offset:         88
        .size:           8
        .value_kind:     hidden_global_offset_x
      - .offset:         96
        .size:           8
        .value_kind:     hidden_global_offset_y
      - .offset:         104
        .size:           8
        .value_kind:     hidden_global_offset_z
      - .offset:         112
        .size:           2
        .value_kind:     hidden_grid_dims
    .group_segment_fixed_size: 0
    .kernarg_segment_align: 8
    .kernarg_segment_size: 304
    .language:       OpenCL C
    .language_version:
      - 2
      - 0
    .max_flat_workgroup_size: 1024
    .name:           _ZL9moe_vec_qIN3c104HalfELi256ELi32E10block_q4_KLi2EXadL_ZL17vec_dot_q4_K_q8_1PKvPK10block_q8_1RKiEEEvS4_S4_PT_PS8_iiii
    .private_segment_fixed_size: 0
    .sgpr_count:     20
    .sgpr_spill_count: 0
    .symbol:         _ZL9moe_vec_qIN3c104HalfELi256ELi32E10block_q4_KLi2EXadL_ZL17vec_dot_q4_K_q8_1PKvPK10block_q8_1RKiEEEvS4_S4_PT_PS8_iiii.kd
    .uniform_work_group_size: 1
    .uses_dynamic_stack: false
    .vgpr_count:     32
    .vgpr_spill_count: 0
    .wavefront_size: 32
    .workgroup_processor_mode: 1
  - .args:
      - .actual_access:  read_only
        .address_space:  global
        .offset:         0
        .size:           8
        .value_kind:     global_buffer
      - .actual_access:  read_only
        .address_space:  global
        .offset:         8
        .size:           8
        .value_kind:     global_buffer
      - .actual_access:  write_only
        .address_space:  global
        .offset:         16
        .size:           8
        .value_kind:     global_buffer
      - .address_space:  global
        .offset:         24
        .size:           8
        .value_kind:     global_buffer
      - .offset:         32
        .size:           4
        .value_kind:     by_value
      - .offset:         36
        .size:           4
        .value_kind:     by_value
      - .offset:         40
        .size:           4
        .value_kind:     by_value
      - .offset:         44
        .size:           4
        .value_kind:     by_value
      - .offset:         48
        .size:           4
        .value_kind:     hidden_block_count_x
      - .offset:         52
        .size:           4
        .value_kind:     hidden_block_count_y
      - .offset:         56
        .size:           4
        .value_kind:     hidden_block_count_z
      - .offset:         60
        .size:           2
        .value_kind:     hidden_group_size_x
      - .offset:         62
        .size:           2
        .value_kind:     hidden_group_size_y
      - .offset:         64
        .size:           2
        .value_kind:     hidden_group_size_z
      - .offset:         66
        .size:           2
        .value_kind:     hidden_remainder_x
      - .offset:         68
        .size:           2
        .value_kind:     hidden_remainder_y
      - .offset:         70
        .size:           2
        .value_kind:     hidden_remainder_z
      - .offset:         88
        .size:           8
        .value_kind:     hidden_global_offset_x
      - .offset:         96
        .size:           8
        .value_kind:     hidden_global_offset_y
      - .offset:         104
        .size:           8
        .value_kind:     hidden_global_offset_z
      - .offset:         112
        .size:           2
        .value_kind:     hidden_grid_dims
    .group_segment_fixed_size: 0
    .kernarg_segment_align: 8
    .kernarg_segment_size: 304
    .language:       OpenCL C
    .language_version:
      - 2
      - 0
    .max_flat_workgroup_size: 1024
    .name:           _ZL9moe_vec_qIN3c104HalfELi256ELi32E10block_q5_KLi2EXadL_ZL17vec_dot_q5_K_q8_1PKvPK10block_q8_1RKiEEEvS4_S4_PT_PS8_iiii
    .private_segment_fixed_size: 0
    .sgpr_count:     20
    .sgpr_spill_count: 0
    .symbol:         _ZL9moe_vec_qIN3c104HalfELi256ELi32E10block_q5_KLi2EXadL_ZL17vec_dot_q5_K_q8_1PKvPK10block_q8_1RKiEEEvS4_S4_PT_PS8_iiii.kd
    .uniform_work_group_size: 1
    .uses_dynamic_stack: false
    .vgpr_count:     37
    .vgpr_spill_count: 0
    .wavefront_size: 32
    .workgroup_processor_mode: 1
  - .args:
      - .actual_access:  read_only
        .address_space:  global
        .offset:         0
        .size:           8
        .value_kind:     global_buffer
      - .actual_access:  read_only
        .address_space:  global
        .offset:         8
        .size:           8
        .value_kind:     global_buffer
      - .actual_access:  write_only
        .address_space:  global
        .offset:         16
        .size:           8
        .value_kind:     global_buffer
      - .address_space:  global
        .offset:         24
        .size:           8
        .value_kind:     global_buffer
      - .offset:         32
        .size:           4
        .value_kind:     by_value
      - .offset:         36
        .size:           4
        .value_kind:     by_value
      - .offset:         40
        .size:           4
        .value_kind:     by_value
      - .offset:         44
        .size:           4
        .value_kind:     by_value
      - .offset:         48
        .size:           4
        .value_kind:     hidden_block_count_x
      - .offset:         52
        .size:           4
        .value_kind:     hidden_block_count_y
      - .offset:         56
        .size:           4
        .value_kind:     hidden_block_count_z
      - .offset:         60
        .size:           2
        .value_kind:     hidden_group_size_x
      - .offset:         62
        .size:           2
        .value_kind:     hidden_group_size_y
      - .offset:         64
        .size:           2
        .value_kind:     hidden_group_size_z
      - .offset:         66
        .size:           2
        .value_kind:     hidden_remainder_x
      - .offset:         68
        .size:           2
        .value_kind:     hidden_remainder_y
      - .offset:         70
        .size:           2
        .value_kind:     hidden_remainder_z
      - .offset:         88
        .size:           8
        .value_kind:     hidden_global_offset_x
      - .offset:         96
        .size:           8
        .value_kind:     hidden_global_offset_y
      - .offset:         104
        .size:           8
        .value_kind:     hidden_global_offset_z
      - .offset:         112
        .size:           2
        .value_kind:     hidden_grid_dims
    .group_segment_fixed_size: 0
    .kernarg_segment_align: 8
    .kernarg_segment_size: 304
    .language:       OpenCL C
    .language_version:
      - 2
      - 0
    .max_flat_workgroup_size: 1024
    .name:           _ZL9moe_vec_qIN3c104HalfELi256ELi32E10block_q6_KLi1EXadL_ZL17vec_dot_q6_K_q8_1PKvPK10block_q8_1RKiEEEvS4_S4_PT_PS8_iiii
    .private_segment_fixed_size: 0
    .sgpr_count:     20
    .sgpr_spill_count: 0
    .symbol:         _ZL9moe_vec_qIN3c104HalfELi256ELi32E10block_q6_KLi1EXadL_ZL17vec_dot_q6_K_q8_1PKvPK10block_q8_1RKiEEEvS4_S4_PT_PS8_iiii.kd
    .uniform_work_group_size: 1
    .uses_dynamic_stack: false
    .vgpr_count:     28
    .vgpr_spill_count: 0
    .wavefront_size: 32
    .workgroup_processor_mode: 1
  - .args:
      - .actual_access:  read_only
        .address_space:  global
        .offset:         0
        .size:           8
        .value_kind:     global_buffer
      - .actual_access:  read_only
        .address_space:  global
        .offset:         8
        .size:           8
        .value_kind:     global_buffer
      - .actual_access:  write_only
        .address_space:  global
        .offset:         16
        .size:           8
        .value_kind:     global_buffer
      - .address_space:  global
        .offset:         24
        .size:           8
        .value_kind:     global_buffer
      - .offset:         32
        .size:           4
        .value_kind:     by_value
      - .offset:         36
        .size:           4
        .value_kind:     by_value
      - .offset:         40
        .size:           4
        .value_kind:     by_value
      - .offset:         44
        .size:           4
        .value_kind:     by_value
      - .offset:         48
        .size:           4
        .value_kind:     hidden_block_count_x
      - .offset:         52
        .size:           4
        .value_kind:     hidden_block_count_y
      - .offset:         56
        .size:           4
        .value_kind:     hidden_block_count_z
      - .offset:         60
        .size:           2
        .value_kind:     hidden_group_size_x
      - .offset:         62
        .size:           2
        .value_kind:     hidden_group_size_y
      - .offset:         64
        .size:           2
        .value_kind:     hidden_group_size_z
      - .offset:         66
        .size:           2
        .value_kind:     hidden_remainder_x
      - .offset:         68
        .size:           2
        .value_kind:     hidden_remainder_y
      - .offset:         70
        .size:           2
        .value_kind:     hidden_remainder_z
      - .offset:         88
        .size:           8
        .value_kind:     hidden_global_offset_x
      - .offset:         96
        .size:           8
        .value_kind:     hidden_global_offset_y
      - .offset:         104
        .size:           8
        .value_kind:     hidden_global_offset_z
      - .offset:         112
        .size:           2
        .value_kind:     hidden_grid_dims
    .group_segment_fixed_size: 0
    .kernarg_segment_align: 8
    .kernarg_segment_size: 304
    .language:       OpenCL C
    .language_version:
      - 2
      - 0
    .max_flat_workgroup_size: 1024
    .name:           _ZL9moe_vec_qIN3c104HalfELi256ELi8E13block_iq2_xxsLi1EXadL_ZL20vec_dot_iq2_xxs_q8_1PKvPK10block_q8_1RKiEEEvS4_S4_PT_PS8_iiii
    .private_segment_fixed_size: 0
    .sgpr_count:     21
    .sgpr_spill_count: 0
    .symbol:         _ZL9moe_vec_qIN3c104HalfELi256ELi8E13block_iq2_xxsLi1EXadL_ZL20vec_dot_iq2_xxs_q8_1PKvPK10block_q8_1RKiEEEvS4_S4_PT_PS8_iiii.kd
    .uniform_work_group_size: 1
    .uses_dynamic_stack: false
    .vgpr_count:     62
    .vgpr_spill_count: 0
    .wavefront_size: 32
    .workgroup_processor_mode: 1
  - .args:
      - .actual_access:  read_only
        .address_space:  global
        .offset:         0
        .size:           8
        .value_kind:     global_buffer
      - .actual_access:  read_only
        .address_space:  global
        .offset:         8
        .size:           8
        .value_kind:     global_buffer
      - .actual_access:  write_only
        .address_space:  global
        .offset:         16
        .size:           8
        .value_kind:     global_buffer
      - .address_space:  global
        .offset:         24
        .size:           8
        .value_kind:     global_buffer
      - .offset:         32
        .size:           4
        .value_kind:     by_value
      - .offset:         36
        .size:           4
        .value_kind:     by_value
      - .offset:         40
        .size:           4
        .value_kind:     by_value
      - .offset:         44
        .size:           4
        .value_kind:     by_value
      - .offset:         48
        .size:           4
        .value_kind:     hidden_block_count_x
      - .offset:         52
        .size:           4
        .value_kind:     hidden_block_count_y
      - .offset:         56
        .size:           4
        .value_kind:     hidden_block_count_z
      - .offset:         60
        .size:           2
        .value_kind:     hidden_group_size_x
      - .offset:         62
        .size:           2
        .value_kind:     hidden_group_size_y
      - .offset:         64
        .size:           2
        .value_kind:     hidden_group_size_z
      - .offset:         66
        .size:           2
        .value_kind:     hidden_remainder_x
      - .offset:         68
        .size:           2
        .value_kind:     hidden_remainder_y
      - .offset:         70
        .size:           2
        .value_kind:     hidden_remainder_z
      - .offset:         88
        .size:           8
        .value_kind:     hidden_global_offset_x
      - .offset:         96
        .size:           8
        .value_kind:     hidden_global_offset_y
      - .offset:         104
        .size:           8
        .value_kind:     hidden_global_offset_z
      - .offset:         112
        .size:           2
        .value_kind:     hidden_grid_dims
    .group_segment_fixed_size: 0
    .kernarg_segment_align: 8
    .kernarg_segment_size: 304
    .language:       OpenCL C
    .language_version:
      - 2
      - 0
    .max_flat_workgroup_size: 1024
    .name:           _ZL9moe_vec_qIN3c104HalfELi256ELi8E12block_iq2_xsLi1EXadL_ZL19vec_dot_iq2_xs_q8_1PKvPK10block_q8_1RKiEEEvS4_S4_PT_PS8_iiii
    .private_segment_fixed_size: 0
    .sgpr_count:     38
    .sgpr_spill_count: 0
    .symbol:         _ZL9moe_vec_qIN3c104HalfELi256ELi8E12block_iq2_xsLi1EXadL_ZL19vec_dot_iq2_xs_q8_1PKvPK10block_q8_1RKiEEEvS4_S4_PT_PS8_iiii.kd
    .uniform_work_group_size: 1
    .uses_dynamic_stack: false
    .vgpr_count:     70
    .vgpr_spill_count: 0
    .wavefront_size: 32
    .workgroup_processor_mode: 1
  - .args:
      - .actual_access:  read_only
        .address_space:  global
        .offset:         0
        .size:           8
        .value_kind:     global_buffer
      - .actual_access:  read_only
        .address_space:  global
        .offset:         8
        .size:           8
        .value_kind:     global_buffer
      - .actual_access:  write_only
        .address_space:  global
        .offset:         16
        .size:           8
        .value_kind:     global_buffer
      - .address_space:  global
        .offset:         24
        .size:           8
        .value_kind:     global_buffer
      - .offset:         32
        .size:           4
        .value_kind:     by_value
      - .offset:         36
        .size:           4
        .value_kind:     by_value
      - .offset:         40
        .size:           4
        .value_kind:     by_value
      - .offset:         44
        .size:           4
        .value_kind:     by_value
      - .offset:         48
        .size:           4
        .value_kind:     hidden_block_count_x
      - .offset:         52
        .size:           4
        .value_kind:     hidden_block_count_y
      - .offset:         56
        .size:           4
        .value_kind:     hidden_block_count_z
      - .offset:         60
        .size:           2
        .value_kind:     hidden_group_size_x
      - .offset:         62
        .size:           2
        .value_kind:     hidden_group_size_y
      - .offset:         64
        .size:           2
        .value_kind:     hidden_group_size_z
      - .offset:         66
        .size:           2
        .value_kind:     hidden_remainder_x
      - .offset:         68
        .size:           2
        .value_kind:     hidden_remainder_y
      - .offset:         70
        .size:           2
        .value_kind:     hidden_remainder_z
      - .offset:         88
        .size:           8
        .value_kind:     hidden_global_offset_x
      - .offset:         96
        .size:           8
        .value_kind:     hidden_global_offset_y
      - .offset:         104
        .size:           8
        .value_kind:     hidden_global_offset_z
      - .offset:         112
        .size:           2
        .value_kind:     hidden_grid_dims
    .group_segment_fixed_size: 0
    .kernarg_segment_align: 8
    .kernarg_segment_size: 304
    .language:       OpenCL C
    .language_version:
      - 2
      - 0
    .max_flat_workgroup_size: 1024
    .name:           _ZL9moe_vec_qIN3c104HalfELi256ELi8E13block_iq3_xxsLi1EXadL_ZL20vec_dot_iq3_xxs_q8_1PKvPK10block_q8_1RKiEEEvS4_S4_PT_PS8_iiii
    .private_segment_fixed_size: 0
    .sgpr_count:     19
    .sgpr_spill_count: 0
    .symbol:         _ZL9moe_vec_qIN3c104HalfELi256ELi8E13block_iq3_xxsLi1EXadL_ZL20vec_dot_iq3_xxs_q8_1PKvPK10block_q8_1RKiEEEvS4_S4_PT_PS8_iiii.kd
    .uniform_work_group_size: 1
    .uses_dynamic_stack: false
    .vgpr_count:     62
    .vgpr_spill_count: 0
    .wavefront_size: 32
    .workgroup_processor_mode: 1
  - .args:
      - .actual_access:  read_only
        .address_space:  global
        .offset:         0
        .size:           8
        .value_kind:     global_buffer
      - .actual_access:  read_only
        .address_space:  global
        .offset:         8
        .size:           8
        .value_kind:     global_buffer
      - .actual_access:  write_only
        .address_space:  global
        .offset:         16
        .size:           8
        .value_kind:     global_buffer
      - .address_space:  global
        .offset:         24
        .size:           8
        .value_kind:     global_buffer
      - .offset:         32
        .size:           4
        .value_kind:     by_value
      - .offset:         36
        .size:           4
        .value_kind:     by_value
      - .offset:         40
        .size:           4
        .value_kind:     by_value
      - .offset:         44
        .size:           4
        .value_kind:     by_value
      - .offset:         48
        .size:           4
        .value_kind:     hidden_block_count_x
      - .offset:         52
        .size:           4
        .value_kind:     hidden_block_count_y
      - .offset:         56
        .size:           4
        .value_kind:     hidden_block_count_z
      - .offset:         60
        .size:           2
        .value_kind:     hidden_group_size_x
      - .offset:         62
        .size:           2
        .value_kind:     hidden_group_size_y
      - .offset:         64
        .size:           2
        .value_kind:     hidden_group_size_z
      - .offset:         66
        .size:           2
        .value_kind:     hidden_remainder_x
      - .offset:         68
        .size:           2
        .value_kind:     hidden_remainder_y
      - .offset:         70
        .size:           2
        .value_kind:     hidden_remainder_z
      - .offset:         88
        .size:           8
        .value_kind:     hidden_global_offset_x
      - .offset:         96
        .size:           8
        .value_kind:     hidden_global_offset_y
      - .offset:         104
        .size:           8
        .value_kind:     hidden_global_offset_z
      - .offset:         112
        .size:           2
        .value_kind:     hidden_grid_dims
    .group_segment_fixed_size: 0
    .kernarg_segment_align: 8
    .kernarg_segment_size: 304
    .language:       OpenCL C
    .language_version:
      - 2
      - 0
    .max_flat_workgroup_size: 1024
    .name:           _ZL9moe_vec_qIN3c104HalfELi256ELi8E11block_iq1_sLi1EXadL_ZL18vec_dot_iq1_s_q8_1PKvPK10block_q8_1RKiEEEvS4_S4_PT_PS8_iiii
    .private_segment_fixed_size: 0
    .sgpr_count:     19
    .sgpr_spill_count: 0
    .symbol:         _ZL9moe_vec_qIN3c104HalfELi256ELi8E11block_iq1_sLi1EXadL_ZL18vec_dot_iq1_s_q8_1PKvPK10block_q8_1RKiEEEvS4_S4_PT_PS8_iiii.kd
    .uniform_work_group_size: 1
    .uses_dynamic_stack: false
    .vgpr_count:     27
    .vgpr_spill_count: 0
    .wavefront_size: 32
    .workgroup_processor_mode: 1
  - .args:
      - .actual_access:  read_only
        .address_space:  global
        .offset:         0
        .size:           8
        .value_kind:     global_buffer
      - .actual_access:  read_only
        .address_space:  global
        .offset:         8
        .size:           8
        .value_kind:     global_buffer
      - .actual_access:  write_only
        .address_space:  global
        .offset:         16
        .size:           8
        .value_kind:     global_buffer
      - .address_space:  global
        .offset:         24
        .size:           8
        .value_kind:     global_buffer
      - .offset:         32
        .size:           4
        .value_kind:     by_value
      - .offset:         36
        .size:           4
        .value_kind:     by_value
      - .offset:         40
        .size:           4
        .value_kind:     by_value
      - .offset:         44
        .size:           4
        .value_kind:     by_value
      - .offset:         48
        .size:           4
        .value_kind:     hidden_block_count_x
      - .offset:         52
        .size:           4
        .value_kind:     hidden_block_count_y
      - .offset:         56
        .size:           4
        .value_kind:     hidden_block_count_z
      - .offset:         60
        .size:           2
        .value_kind:     hidden_group_size_x
      - .offset:         62
        .size:           2
        .value_kind:     hidden_group_size_y
      - .offset:         64
        .size:           2
        .value_kind:     hidden_group_size_z
      - .offset:         66
        .size:           2
        .value_kind:     hidden_remainder_x
      - .offset:         68
        .size:           2
        .value_kind:     hidden_remainder_y
      - .offset:         70
        .size:           2
        .value_kind:     hidden_remainder_z
      - .offset:         88
        .size:           8
        .value_kind:     hidden_global_offset_x
      - .offset:         96
        .size:           8
        .value_kind:     hidden_global_offset_y
      - .offset:         104
        .size:           8
        .value_kind:     hidden_global_offset_z
      - .offset:         112
        .size:           2
        .value_kind:     hidden_grid_dims
    .group_segment_fixed_size: 0
    .kernarg_segment_align: 8
    .kernarg_segment_size: 304
    .language:       OpenCL C
    .language_version:
      - 2
      - 0
    .max_flat_workgroup_size: 1024
    .name:           _ZL9moe_vec_qIN3c104HalfELi32ELi4E12block_iq4_nlLi2EXadL_ZL19vec_dot_iq4_nl_q8_1PKvPK10block_q8_1RKiEEEvS4_S4_PT_PS8_iiii
    .private_segment_fixed_size: 0
    .sgpr_count:     22
    .sgpr_spill_count: 0
    .symbol:         _ZL9moe_vec_qIN3c104HalfELi32ELi4E12block_iq4_nlLi2EXadL_ZL19vec_dot_iq4_nl_q8_1PKvPK10block_q8_1RKiEEEvS4_S4_PT_PS8_iiii.kd
    .uniform_work_group_size: 1
    .uses_dynamic_stack: false
    .vgpr_count:     31
    .vgpr_spill_count: 0
    .wavefront_size: 32
    .workgroup_processor_mode: 1
  - .args:
      - .actual_access:  read_only
        .address_space:  global
        .offset:         0
        .size:           8
        .value_kind:     global_buffer
      - .actual_access:  read_only
        .address_space:  global
        .offset:         8
        .size:           8
        .value_kind:     global_buffer
      - .actual_access:  write_only
        .address_space:  global
        .offset:         16
        .size:           8
        .value_kind:     global_buffer
      - .address_space:  global
        .offset:         24
        .size:           8
        .value_kind:     global_buffer
      - .offset:         32
        .size:           4
        .value_kind:     by_value
      - .offset:         36
        .size:           4
        .value_kind:     by_value
      - .offset:         40
        .size:           4
        .value_kind:     by_value
      - .offset:         44
        .size:           4
        .value_kind:     by_value
      - .offset:         48
        .size:           4
        .value_kind:     hidden_block_count_x
      - .offset:         52
        .size:           4
        .value_kind:     hidden_block_count_y
      - .offset:         56
        .size:           4
        .value_kind:     hidden_block_count_z
      - .offset:         60
        .size:           2
        .value_kind:     hidden_group_size_x
      - .offset:         62
        .size:           2
        .value_kind:     hidden_group_size_y
      - .offset:         64
        .size:           2
        .value_kind:     hidden_group_size_z
      - .offset:         66
        .size:           2
        .value_kind:     hidden_remainder_x
      - .offset:         68
        .size:           2
        .value_kind:     hidden_remainder_y
      - .offset:         70
        .size:           2
        .value_kind:     hidden_remainder_z
      - .offset:         88
        .size:           8
        .value_kind:     hidden_global_offset_x
      - .offset:         96
        .size:           8
        .value_kind:     hidden_global_offset_y
      - .offset:         104
        .size:           8
        .value_kind:     hidden_global_offset_z
      - .offset:         112
        .size:           2
        .value_kind:     hidden_grid_dims
    .group_segment_fixed_size: 0
    .kernarg_segment_align: 8
    .kernarg_segment_size: 304
    .language:       OpenCL C
    .language_version:
      - 2
      - 0
    .max_flat_workgroup_size: 1024
    .name:           _ZL9moe_vec_qIN3c104HalfELi256ELi8E11block_iq3_sLi1EXadL_ZL18vec_dot_iq3_s_q8_1PKvPK10block_q8_1RKiEEEvS4_S4_PT_PS8_iiii
    .private_segment_fixed_size: 0
    .sgpr_count:     20
    .sgpr_spill_count: 0
    .symbol:         _ZL9moe_vec_qIN3c104HalfELi256ELi8E11block_iq3_sLi1EXadL_ZL18vec_dot_iq3_s_q8_1PKvPK10block_q8_1RKiEEEvS4_S4_PT_PS8_iiii.kd
    .uniform_work_group_size: 1
    .uses_dynamic_stack: false
    .vgpr_count:     42
    .vgpr_spill_count: 0
    .wavefront_size: 32
    .workgroup_processor_mode: 1
  - .args:
      - .actual_access:  read_only
        .address_space:  global
        .offset:         0
        .size:           8
        .value_kind:     global_buffer
      - .actual_access:  read_only
        .address_space:  global
        .offset:         8
        .size:           8
        .value_kind:     global_buffer
      - .actual_access:  write_only
        .address_space:  global
        .offset:         16
        .size:           8
        .value_kind:     global_buffer
      - .address_space:  global
        .offset:         24
        .size:           8
        .value_kind:     global_buffer
      - .offset:         32
        .size:           4
        .value_kind:     by_value
      - .offset:         36
        .size:           4
        .value_kind:     by_value
      - .offset:         40
        .size:           4
        .value_kind:     by_value
      - .offset:         44
        .size:           4
        .value_kind:     by_value
      - .offset:         48
        .size:           4
        .value_kind:     hidden_block_count_x
      - .offset:         52
        .size:           4
        .value_kind:     hidden_block_count_y
      - .offset:         56
        .size:           4
        .value_kind:     hidden_block_count_z
      - .offset:         60
        .size:           2
        .value_kind:     hidden_group_size_x
      - .offset:         62
        .size:           2
        .value_kind:     hidden_group_size_y
      - .offset:         64
        .size:           2
        .value_kind:     hidden_group_size_z
      - .offset:         66
        .size:           2
        .value_kind:     hidden_remainder_x
      - .offset:         68
        .size:           2
        .value_kind:     hidden_remainder_y
      - .offset:         70
        .size:           2
        .value_kind:     hidden_remainder_z
      - .offset:         88
        .size:           8
        .value_kind:     hidden_global_offset_x
      - .offset:         96
        .size:           8
        .value_kind:     hidden_global_offset_y
      - .offset:         104
        .size:           8
        .value_kind:     hidden_global_offset_z
      - .offset:         112
        .size:           2
        .value_kind:     hidden_grid_dims
    .group_segment_fixed_size: 0
    .kernarg_segment_align: 8
    .kernarg_segment_size: 304
    .language:       OpenCL C
    .language_version:
      - 2
      - 0
    .max_flat_workgroup_size: 1024
    .name:           _ZL9moe_vec_qIN3c104HalfELi256ELi8E11block_iq2_sLi1EXadL_ZL18vec_dot_iq2_s_q8_1PKvPK10block_q8_1RKiEEEvS4_S4_PT_PS8_iiii
    .private_segment_fixed_size: 0
    .sgpr_count:     19
    .sgpr_spill_count: 0
    .symbol:         _ZL9moe_vec_qIN3c104HalfELi256ELi8E11block_iq2_sLi1EXadL_ZL18vec_dot_iq2_s_q8_1PKvPK10block_q8_1RKiEEEvS4_S4_PT_PS8_iiii.kd
    .uniform_work_group_size: 1
    .uses_dynamic_stack: false
    .vgpr_count:     64
    .vgpr_spill_count: 0
    .wavefront_size: 32
    .workgroup_processor_mode: 1
  - .args:
      - .actual_access:  read_only
        .address_space:  global
        .offset:         0
        .size:           8
        .value_kind:     global_buffer
      - .actual_access:  read_only
        .address_space:  global
        .offset:         8
        .size:           8
        .value_kind:     global_buffer
      - .actual_access:  write_only
        .address_space:  global
        .offset:         16
        .size:           8
        .value_kind:     global_buffer
      - .address_space:  global
        .offset:         24
        .size:           8
        .value_kind:     global_buffer
      - .offset:         32
        .size:           4
        .value_kind:     by_value
      - .offset:         36
        .size:           4
        .value_kind:     by_value
      - .offset:         40
        .size:           4
        .value_kind:     by_value
      - .offset:         44
        .size:           4
        .value_kind:     by_value
      - .offset:         48
        .size:           4
        .value_kind:     hidden_block_count_x
      - .offset:         52
        .size:           4
        .value_kind:     hidden_block_count_y
      - .offset:         56
        .size:           4
        .value_kind:     hidden_block_count_z
      - .offset:         60
        .size:           2
        .value_kind:     hidden_group_size_x
      - .offset:         62
        .size:           2
        .value_kind:     hidden_group_size_y
      - .offset:         64
        .size:           2
        .value_kind:     hidden_group_size_z
      - .offset:         66
        .size:           2
        .value_kind:     hidden_remainder_x
      - .offset:         68
        .size:           2
        .value_kind:     hidden_remainder_y
      - .offset:         70
        .size:           2
        .value_kind:     hidden_remainder_z
      - .offset:         88
        .size:           8
        .value_kind:     hidden_global_offset_x
      - .offset:         96
        .size:           8
        .value_kind:     hidden_global_offset_y
      - .offset:         104
        .size:           8
        .value_kind:     hidden_global_offset_z
      - .offset:         112
        .size:           2
        .value_kind:     hidden_grid_dims
    .group_segment_fixed_size: 0
    .kernarg_segment_align: 8
    .kernarg_segment_size: 304
    .language:       OpenCL C
    .language_version:
      - 2
      - 0
    .max_flat_workgroup_size: 1024
    .name:           _ZL9moe_vec_qIN3c104HalfELi256ELi8E12block_iq4_xsLi1EXadL_ZL19vec_dot_iq4_xs_q8_1PKvPK10block_q8_1RKiEEEvS4_S4_PT_PS8_iiii
    .private_segment_fixed_size: 0
    .sgpr_count:     19
    .sgpr_spill_count: 0
    .symbol:         _ZL9moe_vec_qIN3c104HalfELi256ELi8E12block_iq4_xsLi1EXadL_ZL19vec_dot_iq4_xs_q8_1PKvPK10block_q8_1RKiEEEvS4_S4_PT_PS8_iiii.kd
    .uniform_work_group_size: 1
    .uses_dynamic_stack: false
    .vgpr_count:     58
    .vgpr_spill_count: 0
    .wavefront_size: 32
    .workgroup_processor_mode: 1
  - .args:
      - .actual_access:  read_only
        .address_space:  global
        .offset:         0
        .size:           8
        .value_kind:     global_buffer
      - .actual_access:  read_only
        .address_space:  global
        .offset:         8
        .size:           8
        .value_kind:     global_buffer
      - .actual_access:  write_only
        .address_space:  global
        .offset:         16
        .size:           8
        .value_kind:     global_buffer
      - .address_space:  global
        .offset:         24
        .size:           8
        .value_kind:     global_buffer
      - .offset:         32
        .size:           4
        .value_kind:     by_value
      - .offset:         36
        .size:           4
        .value_kind:     by_value
      - .offset:         40
        .size:           4
        .value_kind:     by_value
      - .offset:         44
        .size:           4
        .value_kind:     by_value
      - .offset:         48
        .size:           4
        .value_kind:     hidden_block_count_x
      - .offset:         52
        .size:           4
        .value_kind:     hidden_block_count_y
      - .offset:         56
        .size:           4
        .value_kind:     hidden_block_count_z
      - .offset:         60
        .size:           2
        .value_kind:     hidden_group_size_x
      - .offset:         62
        .size:           2
        .value_kind:     hidden_group_size_y
      - .offset:         64
        .size:           2
        .value_kind:     hidden_group_size_z
      - .offset:         66
        .size:           2
        .value_kind:     hidden_remainder_x
      - .offset:         68
        .size:           2
        .value_kind:     hidden_remainder_y
      - .offset:         70
        .size:           2
        .value_kind:     hidden_remainder_z
      - .offset:         88
        .size:           8
        .value_kind:     hidden_global_offset_x
      - .offset:         96
        .size:           8
        .value_kind:     hidden_global_offset_y
      - .offset:         104
        .size:           8
        .value_kind:     hidden_global_offset_z
      - .offset:         112
        .size:           2
        .value_kind:     hidden_grid_dims
    .group_segment_fixed_size: 0
    .kernarg_segment_align: 8
    .kernarg_segment_size: 304
    .language:       OpenCL C
    .language_version:
      - 2
      - 0
    .max_flat_workgroup_size: 1024
    .name:           _ZL9moe_vec_qIN3c104HalfELi256ELi8E11block_iq1_mLi1EXadL_ZL18vec_dot_iq1_m_q8_1PKvPK10block_q8_1RKiEEEvS4_S4_PT_PS8_iiii
    .private_segment_fixed_size: 0
    .sgpr_count:     19
    .sgpr_spill_count: 0
    .symbol:         _ZL9moe_vec_qIN3c104HalfELi256ELi8E11block_iq1_mLi1EXadL_ZL18vec_dot_iq1_m_q8_1PKvPK10block_q8_1RKiEEEvS4_S4_PT_PS8_iiii.kd
    .uniform_work_group_size: 1
    .uses_dynamic_stack: false
    .vgpr_count:     43
    .vgpr_spill_count: 0
    .wavefront_size: 32
    .workgroup_processor_mode: 1
  - .args:
      - .actual_access:  read_only
        .address_space:  global
        .offset:         0
        .size:           8
        .value_kind:     global_buffer
      - .actual_access:  read_only
        .address_space:  global
        .offset:         8
        .size:           8
        .value_kind:     global_buffer
      - .actual_access:  write_only
        .address_space:  global
        .offset:         16
        .size:           8
        .value_kind:     global_buffer
      - .address_space:  global
        .offset:         24
        .size:           8
        .value_kind:     global_buffer
      - .offset:         32
        .size:           4
        .value_kind:     by_value
      - .offset:         36
        .size:           4
        .value_kind:     by_value
      - .offset:         40
        .size:           4
        .value_kind:     by_value
      - .offset:         44
        .size:           4
        .value_kind:     by_value
      - .offset:         48
        .size:           4
        .value_kind:     hidden_block_count_x
      - .offset:         52
        .size:           4
        .value_kind:     hidden_block_count_y
      - .offset:         56
        .size:           4
        .value_kind:     hidden_block_count_z
      - .offset:         60
        .size:           2
        .value_kind:     hidden_group_size_x
      - .offset:         62
        .size:           2
        .value_kind:     hidden_group_size_y
      - .offset:         64
        .size:           2
        .value_kind:     hidden_group_size_z
      - .offset:         66
        .size:           2
        .value_kind:     hidden_remainder_x
      - .offset:         68
        .size:           2
        .value_kind:     hidden_remainder_y
      - .offset:         70
        .size:           2
        .value_kind:     hidden_remainder_z
      - .offset:         88
        .size:           8
        .value_kind:     hidden_global_offset_x
      - .offset:         96
        .size:           8
        .value_kind:     hidden_global_offset_y
      - .offset:         104
        .size:           8
        .value_kind:     hidden_global_offset_z
      - .offset:         112
        .size:           2
        .value_kind:     hidden_grid_dims
    .group_segment_fixed_size: 0
    .kernarg_segment_align: 8
    .kernarg_segment_size: 304
    .language:       OpenCL C
    .language_version:
      - 2
      - 0
    .max_flat_workgroup_size: 1024
    .name:           _ZL9moe_vec_qIN3c108BFloat16ELi32ELi4E10block_q4_0Li2EXadL_ZL17vec_dot_q4_0_q8_1PKvPK10block_q8_1RKiEEEvS4_S4_PT_PS8_iiii
    .private_segment_fixed_size: 0
    .sgpr_count:     22
    .sgpr_spill_count: 0
    .symbol:         _ZL9moe_vec_qIN3c108BFloat16ELi32ELi4E10block_q4_0Li2EXadL_ZL17vec_dot_q4_0_q8_1PKvPK10block_q8_1RKiEEEvS4_S4_PT_PS8_iiii.kd
    .uniform_work_group_size: 1
    .uses_dynamic_stack: false
    .vgpr_count:     16
    .vgpr_spill_count: 0
    .wavefront_size: 32
    .workgroup_processor_mode: 1
  - .args:
      - .actual_access:  read_only
        .address_space:  global
        .offset:         0
        .size:           8
        .value_kind:     global_buffer
      - .actual_access:  read_only
        .address_space:  global
        .offset:         8
        .size:           8
        .value_kind:     global_buffer
      - .actual_access:  write_only
        .address_space:  global
        .offset:         16
        .size:           8
        .value_kind:     global_buffer
      - .address_space:  global
        .offset:         24
        .size:           8
        .value_kind:     global_buffer
      - .offset:         32
        .size:           4
        .value_kind:     by_value
      - .offset:         36
        .size:           4
        .value_kind:     by_value
      - .offset:         40
        .size:           4
        .value_kind:     by_value
      - .offset:         44
        .size:           4
        .value_kind:     by_value
      - .offset:         48
        .size:           4
        .value_kind:     hidden_block_count_x
      - .offset:         52
        .size:           4
        .value_kind:     hidden_block_count_y
      - .offset:         56
        .size:           4
        .value_kind:     hidden_block_count_z
      - .offset:         60
        .size:           2
        .value_kind:     hidden_group_size_x
      - .offset:         62
        .size:           2
        .value_kind:     hidden_group_size_y
      - .offset:         64
        .size:           2
        .value_kind:     hidden_group_size_z
      - .offset:         66
        .size:           2
        .value_kind:     hidden_remainder_x
      - .offset:         68
        .size:           2
        .value_kind:     hidden_remainder_y
      - .offset:         70
        .size:           2
        .value_kind:     hidden_remainder_z
      - .offset:         88
        .size:           8
        .value_kind:     hidden_global_offset_x
      - .offset:         96
        .size:           8
        .value_kind:     hidden_global_offset_y
      - .offset:         104
        .size:           8
        .value_kind:     hidden_global_offset_z
      - .offset:         112
        .size:           2
        .value_kind:     hidden_grid_dims
    .group_segment_fixed_size: 0
    .kernarg_segment_align: 8
    .kernarg_segment_size: 304
    .language:       OpenCL C
    .language_version:
      - 2
      - 0
    .max_flat_workgroup_size: 1024
    .name:           _ZL9moe_vec_qIN3c108BFloat16ELi32ELi4E10block_q4_1Li2EXadL_ZL17vec_dot_q4_1_q8_1PKvPK10block_q8_1RKiEEEvS4_S4_PT_PS8_iiii
    .private_segment_fixed_size: 0
    .sgpr_count:     22
    .sgpr_spill_count: 0
    .symbol:         _ZL9moe_vec_qIN3c108BFloat16ELi32ELi4E10block_q4_1Li2EXadL_ZL17vec_dot_q4_1_q8_1PKvPK10block_q8_1RKiEEEvS4_S4_PT_PS8_iiii.kd
    .uniform_work_group_size: 1
    .uses_dynamic_stack: false
    .vgpr_count:     16
    .vgpr_spill_count: 0
    .wavefront_size: 32
    .workgroup_processor_mode: 1
  - .args:
      - .actual_access:  read_only
        .address_space:  global
        .offset:         0
        .size:           8
        .value_kind:     global_buffer
      - .actual_access:  read_only
        .address_space:  global
        .offset:         8
        .size:           8
        .value_kind:     global_buffer
      - .actual_access:  write_only
        .address_space:  global
        .offset:         16
        .size:           8
        .value_kind:     global_buffer
      - .address_space:  global
        .offset:         24
        .size:           8
        .value_kind:     global_buffer
      - .offset:         32
        .size:           4
        .value_kind:     by_value
      - .offset:         36
        .size:           4
        .value_kind:     by_value
      - .offset:         40
        .size:           4
        .value_kind:     by_value
      - .offset:         44
        .size:           4
        .value_kind:     by_value
      - .offset:         48
        .size:           4
        .value_kind:     hidden_block_count_x
      - .offset:         52
        .size:           4
        .value_kind:     hidden_block_count_y
      - .offset:         56
        .size:           4
        .value_kind:     hidden_block_count_z
      - .offset:         60
        .size:           2
        .value_kind:     hidden_group_size_x
      - .offset:         62
        .size:           2
        .value_kind:     hidden_group_size_y
      - .offset:         64
        .size:           2
        .value_kind:     hidden_group_size_z
      - .offset:         66
        .size:           2
        .value_kind:     hidden_remainder_x
      - .offset:         68
        .size:           2
        .value_kind:     hidden_remainder_y
      - .offset:         70
        .size:           2
        .value_kind:     hidden_remainder_z
      - .offset:         88
        .size:           8
        .value_kind:     hidden_global_offset_x
      - .offset:         96
        .size:           8
        .value_kind:     hidden_global_offset_y
      - .offset:         104
        .size:           8
        .value_kind:     hidden_global_offset_z
      - .offset:         112
        .size:           2
        .value_kind:     hidden_grid_dims
    .group_segment_fixed_size: 0
    .kernarg_segment_align: 8
    .kernarg_segment_size: 304
    .language:       OpenCL C
    .language_version:
      - 2
      - 0
    .max_flat_workgroup_size: 1024
    .name:           _ZL9moe_vec_qIN3c108BFloat16ELi32ELi4E10block_q5_0Li2EXadL_ZL17vec_dot_q5_0_q8_1PKvPK10block_q8_1RKiEEEvS4_S4_PT_PS8_iiii
    .private_segment_fixed_size: 0
    .sgpr_count:     22
    .sgpr_spill_count: 0
    .symbol:         _ZL9moe_vec_qIN3c108BFloat16ELi32ELi4E10block_q5_0Li2EXadL_ZL17vec_dot_q5_0_q8_1PKvPK10block_q8_1RKiEEEvS4_S4_PT_PS8_iiii.kd
    .uniform_work_group_size: 1
    .uses_dynamic_stack: false
    .vgpr_count:     34
    .vgpr_spill_count: 0
    .wavefront_size: 32
    .workgroup_processor_mode: 1
  - .args:
      - .actual_access:  read_only
        .address_space:  global
        .offset:         0
        .size:           8
        .value_kind:     global_buffer
      - .actual_access:  read_only
        .address_space:  global
        .offset:         8
        .size:           8
        .value_kind:     global_buffer
      - .actual_access:  write_only
        .address_space:  global
        .offset:         16
        .size:           8
        .value_kind:     global_buffer
      - .address_space:  global
        .offset:         24
        .size:           8
        .value_kind:     global_buffer
      - .offset:         32
        .size:           4
        .value_kind:     by_value
      - .offset:         36
        .size:           4
        .value_kind:     by_value
      - .offset:         40
        .size:           4
        .value_kind:     by_value
      - .offset:         44
        .size:           4
        .value_kind:     by_value
      - .offset:         48
        .size:           4
        .value_kind:     hidden_block_count_x
      - .offset:         52
        .size:           4
        .value_kind:     hidden_block_count_y
      - .offset:         56
        .size:           4
        .value_kind:     hidden_block_count_z
      - .offset:         60
        .size:           2
        .value_kind:     hidden_group_size_x
      - .offset:         62
        .size:           2
        .value_kind:     hidden_group_size_y
      - .offset:         64
        .size:           2
        .value_kind:     hidden_group_size_z
      - .offset:         66
        .size:           2
        .value_kind:     hidden_remainder_x
      - .offset:         68
        .size:           2
        .value_kind:     hidden_remainder_y
      - .offset:         70
        .size:           2
        .value_kind:     hidden_remainder_z
      - .offset:         88
        .size:           8
        .value_kind:     hidden_global_offset_x
      - .offset:         96
        .size:           8
        .value_kind:     hidden_global_offset_y
      - .offset:         104
        .size:           8
        .value_kind:     hidden_global_offset_z
      - .offset:         112
        .size:           2
        .value_kind:     hidden_grid_dims
    .group_segment_fixed_size: 0
    .kernarg_segment_align: 8
    .kernarg_segment_size: 304
    .language:       OpenCL C
    .language_version:
      - 2
      - 0
    .max_flat_workgroup_size: 1024
    .name:           _ZL9moe_vec_qIN3c108BFloat16ELi32ELi4E10block_q5_1Li2EXadL_ZL17vec_dot_q5_1_q8_1PKvPK10block_q8_1RKiEEEvS4_S4_PT_PS8_iiii
    .private_segment_fixed_size: 0
    .sgpr_count:     22
    .sgpr_spill_count: 0
    .symbol:         _ZL9moe_vec_qIN3c108BFloat16ELi32ELi4E10block_q5_1Li2EXadL_ZL17vec_dot_q5_1_q8_1PKvPK10block_q8_1RKiEEEvS4_S4_PT_PS8_iiii.kd
    .uniform_work_group_size: 1
    .uses_dynamic_stack: false
    .vgpr_count:     34
    .vgpr_spill_count: 0
    .wavefront_size: 32
    .workgroup_processor_mode: 1
  - .args:
      - .actual_access:  read_only
        .address_space:  global
        .offset:         0
        .size:           8
        .value_kind:     global_buffer
      - .actual_access:  read_only
        .address_space:  global
        .offset:         8
        .size:           8
        .value_kind:     global_buffer
      - .actual_access:  write_only
        .address_space:  global
        .offset:         16
        .size:           8
        .value_kind:     global_buffer
      - .address_space:  global
        .offset:         24
        .size:           8
        .value_kind:     global_buffer
      - .offset:         32
        .size:           4
        .value_kind:     by_value
      - .offset:         36
        .size:           4
        .value_kind:     by_value
      - .offset:         40
        .size:           4
        .value_kind:     by_value
      - .offset:         44
        .size:           4
        .value_kind:     by_value
      - .offset:         48
        .size:           4
        .value_kind:     hidden_block_count_x
      - .offset:         52
        .size:           4
        .value_kind:     hidden_block_count_y
      - .offset:         56
        .size:           4
        .value_kind:     hidden_block_count_z
      - .offset:         60
        .size:           2
        .value_kind:     hidden_group_size_x
      - .offset:         62
        .size:           2
        .value_kind:     hidden_group_size_y
      - .offset:         64
        .size:           2
        .value_kind:     hidden_group_size_z
      - .offset:         66
        .size:           2
        .value_kind:     hidden_remainder_x
      - .offset:         68
        .size:           2
        .value_kind:     hidden_remainder_y
      - .offset:         70
        .size:           2
        .value_kind:     hidden_remainder_z
      - .offset:         88
        .size:           8
        .value_kind:     hidden_global_offset_x
      - .offset:         96
        .size:           8
        .value_kind:     hidden_global_offset_y
      - .offset:         104
        .size:           8
        .value_kind:     hidden_global_offset_z
      - .offset:         112
        .size:           2
        .value_kind:     hidden_grid_dims
    .group_segment_fixed_size: 0
    .kernarg_segment_align: 8
    .kernarg_segment_size: 304
    .language:       OpenCL C
    .language_version:
      - 2
      - 0
    .max_flat_workgroup_size: 1024
    .name:           _ZL9moe_vec_qIN3c108BFloat16ELi32ELi8E10block_q8_0Li2EXadL_ZL17vec_dot_q8_0_q8_1PKvPK10block_q8_1RKiEEEvS4_S4_PT_PS8_iiii
    .private_segment_fixed_size: 0
    .sgpr_count:     22
    .sgpr_spill_count: 0
    .symbol:         _ZL9moe_vec_qIN3c108BFloat16ELi32ELi8E10block_q8_0Li2EXadL_ZL17vec_dot_q8_0_q8_1PKvPK10block_q8_1RKiEEEvS4_S4_PT_PS8_iiii.kd
    .uniform_work_group_size: 1
    .uses_dynamic_stack: false
    .vgpr_count:     14
    .vgpr_spill_count: 0
    .wavefront_size: 32
    .workgroup_processor_mode: 1
  - .args:
      - .actual_access:  read_only
        .address_space:  global
        .offset:         0
        .size:           8
        .value_kind:     global_buffer
      - .actual_access:  read_only
        .address_space:  global
        .offset:         8
        .size:           8
        .value_kind:     global_buffer
      - .actual_access:  write_only
        .address_space:  global
        .offset:         16
        .size:           8
        .value_kind:     global_buffer
      - .address_space:  global
        .offset:         24
        .size:           8
        .value_kind:     global_buffer
      - .offset:         32
        .size:           4
        .value_kind:     by_value
      - .offset:         36
        .size:           4
        .value_kind:     by_value
      - .offset:         40
        .size:           4
        .value_kind:     by_value
      - .offset:         44
        .size:           4
        .value_kind:     by_value
      - .offset:         48
        .size:           4
        .value_kind:     hidden_block_count_x
      - .offset:         52
        .size:           4
        .value_kind:     hidden_block_count_y
      - .offset:         56
        .size:           4
        .value_kind:     hidden_block_count_z
      - .offset:         60
        .size:           2
        .value_kind:     hidden_group_size_x
      - .offset:         62
        .size:           2
        .value_kind:     hidden_group_size_y
      - .offset:         64
        .size:           2
        .value_kind:     hidden_group_size_z
      - .offset:         66
        .size:           2
        .value_kind:     hidden_remainder_x
      - .offset:         68
        .size:           2
        .value_kind:     hidden_remainder_y
      - .offset:         70
        .size:           2
        .value_kind:     hidden_remainder_z
      - .offset:         88
        .size:           8
        .value_kind:     hidden_global_offset_x
      - .offset:         96
        .size:           8
        .value_kind:     hidden_global_offset_y
      - .offset:         104
        .size:           8
        .value_kind:     hidden_global_offset_z
      - .offset:         112
        .size:           2
        .value_kind:     hidden_grid_dims
    .group_segment_fixed_size: 0
    .kernarg_segment_align: 8
    .kernarg_segment_size: 304
    .language:       OpenCL C
    .language_version:
      - 2
      - 0
    .max_flat_workgroup_size: 1024
    .name:           _ZL9moe_vec_qIN3c108BFloat16ELi256ELi16E10block_q2_KLi1EXadL_ZL17vec_dot_q2_K_q8_1PKvPK10block_q8_1RKiEEEvS4_S4_PT_PS8_iiii
    .private_segment_fixed_size: 0
    .sgpr_count:     19
    .sgpr_spill_count: 0
    .symbol:         _ZL9moe_vec_qIN3c108BFloat16ELi256ELi16E10block_q2_KLi1EXadL_ZL17vec_dot_q2_K_q8_1PKvPK10block_q8_1RKiEEEvS4_S4_PT_PS8_iiii.kd
    .uniform_work_group_size: 1
    .uses_dynamic_stack: false
    .vgpr_count:     42
    .vgpr_spill_count: 0
    .wavefront_size: 32
    .workgroup_processor_mode: 1
  - .args:
      - .actual_access:  read_only
        .address_space:  global
        .offset:         0
        .size:           8
        .value_kind:     global_buffer
      - .actual_access:  read_only
        .address_space:  global
        .offset:         8
        .size:           8
        .value_kind:     global_buffer
      - .actual_access:  write_only
        .address_space:  global
        .offset:         16
        .size:           8
        .value_kind:     global_buffer
      - .address_space:  global
        .offset:         24
        .size:           8
        .value_kind:     global_buffer
      - .offset:         32
        .size:           4
        .value_kind:     by_value
      - .offset:         36
        .size:           4
        .value_kind:     by_value
      - .offset:         40
        .size:           4
        .value_kind:     by_value
      - .offset:         44
        .size:           4
        .value_kind:     by_value
      - .offset:         48
        .size:           4
        .value_kind:     hidden_block_count_x
      - .offset:         52
        .size:           4
        .value_kind:     hidden_block_count_y
      - .offset:         56
        .size:           4
        .value_kind:     hidden_block_count_z
      - .offset:         60
        .size:           2
        .value_kind:     hidden_group_size_x
      - .offset:         62
        .size:           2
        .value_kind:     hidden_group_size_y
      - .offset:         64
        .size:           2
        .value_kind:     hidden_group_size_z
      - .offset:         66
        .size:           2
        .value_kind:     hidden_remainder_x
      - .offset:         68
        .size:           2
        .value_kind:     hidden_remainder_y
      - .offset:         70
        .size:           2
        .value_kind:     hidden_remainder_z
      - .offset:         88
        .size:           8
        .value_kind:     hidden_global_offset_x
      - .offset:         96
        .size:           8
        .value_kind:     hidden_global_offset_y
      - .offset:         104
        .size:           8
        .value_kind:     hidden_global_offset_z
      - .offset:         112
        .size:           2
        .value_kind:     hidden_grid_dims
    .group_segment_fixed_size: 0
    .kernarg_segment_align: 8
    .kernarg_segment_size: 304
    .language:       OpenCL C
    .language_version:
      - 2
      - 0
    .max_flat_workgroup_size: 1024
    .name:           _ZL9moe_vec_qIN3c108BFloat16ELi256ELi16E10block_q3_KLi1EXadL_ZL17vec_dot_q3_K_q8_1PKvPK10block_q8_1RKiEEEvS4_S4_PT_PS8_iiii
    .private_segment_fixed_size: 0
    .sgpr_count:     21
    .sgpr_spill_count: 0
    .symbol:         _ZL9moe_vec_qIN3c108BFloat16ELi256ELi16E10block_q3_KLi1EXadL_ZL17vec_dot_q3_K_q8_1PKvPK10block_q8_1RKiEEEvS4_S4_PT_PS8_iiii.kd
    .uniform_work_group_size: 1
    .uses_dynamic_stack: false
    .vgpr_count:     63
    .vgpr_spill_count: 0
    .wavefront_size: 32
    .workgroup_processor_mode: 1
  - .args:
      - .actual_access:  read_only
        .address_space:  global
        .offset:         0
        .size:           8
        .value_kind:     global_buffer
      - .actual_access:  read_only
        .address_space:  global
        .offset:         8
        .size:           8
        .value_kind:     global_buffer
      - .actual_access:  write_only
        .address_space:  global
        .offset:         16
        .size:           8
        .value_kind:     global_buffer
      - .address_space:  global
        .offset:         24
        .size:           8
        .value_kind:     global_buffer
      - .offset:         32
        .size:           4
        .value_kind:     by_value
      - .offset:         36
        .size:           4
        .value_kind:     by_value
      - .offset:         40
        .size:           4
        .value_kind:     by_value
      - .offset:         44
        .size:           4
        .value_kind:     by_value
      - .offset:         48
        .size:           4
        .value_kind:     hidden_block_count_x
      - .offset:         52
        .size:           4
        .value_kind:     hidden_block_count_y
      - .offset:         56
        .size:           4
        .value_kind:     hidden_block_count_z
      - .offset:         60
        .size:           2
        .value_kind:     hidden_group_size_x
      - .offset:         62
        .size:           2
        .value_kind:     hidden_group_size_y
      - .offset:         64
        .size:           2
        .value_kind:     hidden_group_size_z
      - .offset:         66
        .size:           2
        .value_kind:     hidden_remainder_x
      - .offset:         68
        .size:           2
        .value_kind:     hidden_remainder_y
      - .offset:         70
        .size:           2
        .value_kind:     hidden_remainder_z
      - .offset:         88
        .size:           8
        .value_kind:     hidden_global_offset_x
      - .offset:         96
        .size:           8
        .value_kind:     hidden_global_offset_y
      - .offset:         104
        .size:           8
        .value_kind:     hidden_global_offset_z
      - .offset:         112
        .size:           2
        .value_kind:     hidden_grid_dims
    .group_segment_fixed_size: 0
    .kernarg_segment_align: 8
    .kernarg_segment_size: 304
    .language:       OpenCL C
    .language_version:
      - 2
      - 0
    .max_flat_workgroup_size: 1024
    .name:           _ZL9moe_vec_qIN3c108BFloat16ELi256ELi32E10block_q4_KLi2EXadL_ZL17vec_dot_q4_K_q8_1PKvPK10block_q8_1RKiEEEvS4_S4_PT_PS8_iiii
    .private_segment_fixed_size: 0
    .sgpr_count:     20
    .sgpr_spill_count: 0
    .symbol:         _ZL9moe_vec_qIN3c108BFloat16ELi256ELi32E10block_q4_KLi2EXadL_ZL17vec_dot_q4_K_q8_1PKvPK10block_q8_1RKiEEEvS4_S4_PT_PS8_iiii.kd
    .uniform_work_group_size: 1
    .uses_dynamic_stack: false
    .vgpr_count:     32
    .vgpr_spill_count: 0
    .wavefront_size: 32
    .workgroup_processor_mode: 1
  - .args:
      - .actual_access:  read_only
        .address_space:  global
        .offset:         0
        .size:           8
        .value_kind:     global_buffer
      - .actual_access:  read_only
        .address_space:  global
        .offset:         8
        .size:           8
        .value_kind:     global_buffer
      - .actual_access:  write_only
        .address_space:  global
        .offset:         16
        .size:           8
        .value_kind:     global_buffer
      - .address_space:  global
        .offset:         24
        .size:           8
        .value_kind:     global_buffer
      - .offset:         32
        .size:           4
        .value_kind:     by_value
      - .offset:         36
        .size:           4
        .value_kind:     by_value
      - .offset:         40
        .size:           4
        .value_kind:     by_value
      - .offset:         44
        .size:           4
        .value_kind:     by_value
      - .offset:         48
        .size:           4
        .value_kind:     hidden_block_count_x
      - .offset:         52
        .size:           4
        .value_kind:     hidden_block_count_y
      - .offset:         56
        .size:           4
        .value_kind:     hidden_block_count_z
      - .offset:         60
        .size:           2
        .value_kind:     hidden_group_size_x
      - .offset:         62
        .size:           2
        .value_kind:     hidden_group_size_y
      - .offset:         64
        .size:           2
        .value_kind:     hidden_group_size_z
      - .offset:         66
        .size:           2
        .value_kind:     hidden_remainder_x
      - .offset:         68
        .size:           2
        .value_kind:     hidden_remainder_y
      - .offset:         70
        .size:           2
        .value_kind:     hidden_remainder_z
      - .offset:         88
        .size:           8
        .value_kind:     hidden_global_offset_x
      - .offset:         96
        .size:           8
        .value_kind:     hidden_global_offset_y
      - .offset:         104
        .size:           8
        .value_kind:     hidden_global_offset_z
      - .offset:         112
        .size:           2
        .value_kind:     hidden_grid_dims
    .group_segment_fixed_size: 0
    .kernarg_segment_align: 8
    .kernarg_segment_size: 304
    .language:       OpenCL C
    .language_version:
      - 2
      - 0
    .max_flat_workgroup_size: 1024
    .name:           _ZL9moe_vec_qIN3c108BFloat16ELi256ELi32E10block_q5_KLi2EXadL_ZL17vec_dot_q5_K_q8_1PKvPK10block_q8_1RKiEEEvS4_S4_PT_PS8_iiii
    .private_segment_fixed_size: 0
    .sgpr_count:     20
    .sgpr_spill_count: 0
    .symbol:         _ZL9moe_vec_qIN3c108BFloat16ELi256ELi32E10block_q5_KLi2EXadL_ZL17vec_dot_q5_K_q8_1PKvPK10block_q8_1RKiEEEvS4_S4_PT_PS8_iiii.kd
    .uniform_work_group_size: 1
    .uses_dynamic_stack: false
    .vgpr_count:     37
    .vgpr_spill_count: 0
    .wavefront_size: 32
    .workgroup_processor_mode: 1
  - .args:
      - .actual_access:  read_only
        .address_space:  global
        .offset:         0
        .size:           8
        .value_kind:     global_buffer
      - .actual_access:  read_only
        .address_space:  global
        .offset:         8
        .size:           8
        .value_kind:     global_buffer
      - .actual_access:  write_only
        .address_space:  global
        .offset:         16
        .size:           8
        .value_kind:     global_buffer
      - .address_space:  global
        .offset:         24
        .size:           8
        .value_kind:     global_buffer
      - .offset:         32
        .size:           4
        .value_kind:     by_value
      - .offset:         36
        .size:           4
        .value_kind:     by_value
      - .offset:         40
        .size:           4
        .value_kind:     by_value
      - .offset:         44
        .size:           4
        .value_kind:     by_value
      - .offset:         48
        .size:           4
        .value_kind:     hidden_block_count_x
      - .offset:         52
        .size:           4
        .value_kind:     hidden_block_count_y
      - .offset:         56
        .size:           4
        .value_kind:     hidden_block_count_z
      - .offset:         60
        .size:           2
        .value_kind:     hidden_group_size_x
      - .offset:         62
        .size:           2
        .value_kind:     hidden_group_size_y
      - .offset:         64
        .size:           2
        .value_kind:     hidden_group_size_z
      - .offset:         66
        .size:           2
        .value_kind:     hidden_remainder_x
      - .offset:         68
        .size:           2
        .value_kind:     hidden_remainder_y
      - .offset:         70
        .size:           2
        .value_kind:     hidden_remainder_z
      - .offset:         88
        .size:           8
        .value_kind:     hidden_global_offset_x
      - .offset:         96
        .size:           8
        .value_kind:     hidden_global_offset_y
      - .offset:         104
        .size:           8
        .value_kind:     hidden_global_offset_z
      - .offset:         112
        .size:           2
        .value_kind:     hidden_grid_dims
    .group_segment_fixed_size: 0
    .kernarg_segment_align: 8
    .kernarg_segment_size: 304
    .language:       OpenCL C
    .language_version:
      - 2
      - 0
    .max_flat_workgroup_size: 1024
    .name:           _ZL9moe_vec_qIN3c108BFloat16ELi256ELi32E10block_q6_KLi1EXadL_ZL17vec_dot_q6_K_q8_1PKvPK10block_q8_1RKiEEEvS4_S4_PT_PS8_iiii
    .private_segment_fixed_size: 0
    .sgpr_count:     20
    .sgpr_spill_count: 0
    .symbol:         _ZL9moe_vec_qIN3c108BFloat16ELi256ELi32E10block_q6_KLi1EXadL_ZL17vec_dot_q6_K_q8_1PKvPK10block_q8_1RKiEEEvS4_S4_PT_PS8_iiii.kd
    .uniform_work_group_size: 1
    .uses_dynamic_stack: false
    .vgpr_count:     28
    .vgpr_spill_count: 0
    .wavefront_size: 32
    .workgroup_processor_mode: 1
  - .args:
      - .actual_access:  read_only
        .address_space:  global
        .offset:         0
        .size:           8
        .value_kind:     global_buffer
      - .actual_access:  read_only
        .address_space:  global
        .offset:         8
        .size:           8
        .value_kind:     global_buffer
      - .actual_access:  write_only
        .address_space:  global
        .offset:         16
        .size:           8
        .value_kind:     global_buffer
      - .address_space:  global
        .offset:         24
        .size:           8
        .value_kind:     global_buffer
      - .offset:         32
        .size:           4
        .value_kind:     by_value
      - .offset:         36
        .size:           4
        .value_kind:     by_value
      - .offset:         40
        .size:           4
        .value_kind:     by_value
      - .offset:         44
        .size:           4
        .value_kind:     by_value
      - .offset:         48
        .size:           4
        .value_kind:     hidden_block_count_x
      - .offset:         52
        .size:           4
        .value_kind:     hidden_block_count_y
      - .offset:         56
        .size:           4
        .value_kind:     hidden_block_count_z
      - .offset:         60
        .size:           2
        .value_kind:     hidden_group_size_x
      - .offset:         62
        .size:           2
        .value_kind:     hidden_group_size_y
      - .offset:         64
        .size:           2
        .value_kind:     hidden_group_size_z
      - .offset:         66
        .size:           2
        .value_kind:     hidden_remainder_x
      - .offset:         68
        .size:           2
        .value_kind:     hidden_remainder_y
      - .offset:         70
        .size:           2
        .value_kind:     hidden_remainder_z
      - .offset:         88
        .size:           8
        .value_kind:     hidden_global_offset_x
      - .offset:         96
        .size:           8
        .value_kind:     hidden_global_offset_y
      - .offset:         104
        .size:           8
        .value_kind:     hidden_global_offset_z
      - .offset:         112
        .size:           2
        .value_kind:     hidden_grid_dims
    .group_segment_fixed_size: 0
    .kernarg_segment_align: 8
    .kernarg_segment_size: 304
    .language:       OpenCL C
    .language_version:
      - 2
      - 0
    .max_flat_workgroup_size: 1024
    .name:           _ZL9moe_vec_qIN3c108BFloat16ELi256ELi8E13block_iq2_xxsLi1EXadL_ZL20vec_dot_iq2_xxs_q8_1PKvPK10block_q8_1RKiEEEvS4_S4_PT_PS8_iiii
    .private_segment_fixed_size: 0
    .sgpr_count:     21
    .sgpr_spill_count: 0
    .symbol:         _ZL9moe_vec_qIN3c108BFloat16ELi256ELi8E13block_iq2_xxsLi1EXadL_ZL20vec_dot_iq2_xxs_q8_1PKvPK10block_q8_1RKiEEEvS4_S4_PT_PS8_iiii.kd
    .uniform_work_group_size: 1
    .uses_dynamic_stack: false
    .vgpr_count:     62
    .vgpr_spill_count: 0
    .wavefront_size: 32
    .workgroup_processor_mode: 1
  - .args:
      - .actual_access:  read_only
        .address_space:  global
        .offset:         0
        .size:           8
        .value_kind:     global_buffer
      - .actual_access:  read_only
        .address_space:  global
        .offset:         8
        .size:           8
        .value_kind:     global_buffer
      - .actual_access:  write_only
        .address_space:  global
        .offset:         16
        .size:           8
        .value_kind:     global_buffer
      - .address_space:  global
        .offset:         24
        .size:           8
        .value_kind:     global_buffer
      - .offset:         32
        .size:           4
        .value_kind:     by_value
      - .offset:         36
        .size:           4
        .value_kind:     by_value
      - .offset:         40
        .size:           4
        .value_kind:     by_value
      - .offset:         44
        .size:           4
        .value_kind:     by_value
      - .offset:         48
        .size:           4
        .value_kind:     hidden_block_count_x
      - .offset:         52
        .size:           4
        .value_kind:     hidden_block_count_y
      - .offset:         56
        .size:           4
        .value_kind:     hidden_block_count_z
      - .offset:         60
        .size:           2
        .value_kind:     hidden_group_size_x
      - .offset:         62
        .size:           2
        .value_kind:     hidden_group_size_y
      - .offset:         64
        .size:           2
        .value_kind:     hidden_group_size_z
      - .offset:         66
        .size:           2
        .value_kind:     hidden_remainder_x
      - .offset:         68
        .size:           2
        .value_kind:     hidden_remainder_y
      - .offset:         70
        .size:           2
        .value_kind:     hidden_remainder_z
      - .offset:         88
        .size:           8
        .value_kind:     hidden_global_offset_x
      - .offset:         96
        .size:           8
        .value_kind:     hidden_global_offset_y
      - .offset:         104
        .size:           8
        .value_kind:     hidden_global_offset_z
      - .offset:         112
        .size:           2
        .value_kind:     hidden_grid_dims
    .group_segment_fixed_size: 0
    .kernarg_segment_align: 8
    .kernarg_segment_size: 304
    .language:       OpenCL C
    .language_version:
      - 2
      - 0
    .max_flat_workgroup_size: 1024
    .name:           _ZL9moe_vec_qIN3c108BFloat16ELi256ELi8E12block_iq2_xsLi1EXadL_ZL19vec_dot_iq2_xs_q8_1PKvPK10block_q8_1RKiEEEvS4_S4_PT_PS8_iiii
    .private_segment_fixed_size: 0
    .sgpr_count:     38
    .sgpr_spill_count: 0
    .symbol:         _ZL9moe_vec_qIN3c108BFloat16ELi256ELi8E12block_iq2_xsLi1EXadL_ZL19vec_dot_iq2_xs_q8_1PKvPK10block_q8_1RKiEEEvS4_S4_PT_PS8_iiii.kd
    .uniform_work_group_size: 1
    .uses_dynamic_stack: false
    .vgpr_count:     70
    .vgpr_spill_count: 0
    .wavefront_size: 32
    .workgroup_processor_mode: 1
  - .args:
      - .actual_access:  read_only
        .address_space:  global
        .offset:         0
        .size:           8
        .value_kind:     global_buffer
      - .actual_access:  read_only
        .address_space:  global
        .offset:         8
        .size:           8
        .value_kind:     global_buffer
      - .actual_access:  write_only
        .address_space:  global
        .offset:         16
        .size:           8
        .value_kind:     global_buffer
      - .address_space:  global
        .offset:         24
        .size:           8
        .value_kind:     global_buffer
      - .offset:         32
        .size:           4
        .value_kind:     by_value
      - .offset:         36
        .size:           4
        .value_kind:     by_value
      - .offset:         40
        .size:           4
        .value_kind:     by_value
      - .offset:         44
        .size:           4
        .value_kind:     by_value
      - .offset:         48
        .size:           4
        .value_kind:     hidden_block_count_x
      - .offset:         52
        .size:           4
        .value_kind:     hidden_block_count_y
      - .offset:         56
        .size:           4
        .value_kind:     hidden_block_count_z
      - .offset:         60
        .size:           2
        .value_kind:     hidden_group_size_x
      - .offset:         62
        .size:           2
        .value_kind:     hidden_group_size_y
      - .offset:         64
        .size:           2
        .value_kind:     hidden_group_size_z
      - .offset:         66
        .size:           2
        .value_kind:     hidden_remainder_x
      - .offset:         68
        .size:           2
        .value_kind:     hidden_remainder_y
      - .offset:         70
        .size:           2
        .value_kind:     hidden_remainder_z
      - .offset:         88
        .size:           8
        .value_kind:     hidden_global_offset_x
      - .offset:         96
        .size:           8
        .value_kind:     hidden_global_offset_y
      - .offset:         104
        .size:           8
        .value_kind:     hidden_global_offset_z
      - .offset:         112
        .size:           2
        .value_kind:     hidden_grid_dims
    .group_segment_fixed_size: 0
    .kernarg_segment_align: 8
    .kernarg_segment_size: 304
    .language:       OpenCL C
    .language_version:
      - 2
      - 0
    .max_flat_workgroup_size: 1024
    .name:           _ZL9moe_vec_qIN3c108BFloat16ELi256ELi8E13block_iq3_xxsLi1EXadL_ZL20vec_dot_iq3_xxs_q8_1PKvPK10block_q8_1RKiEEEvS4_S4_PT_PS8_iiii
    .private_segment_fixed_size: 0
    .sgpr_count:     19
    .sgpr_spill_count: 0
    .symbol:         _ZL9moe_vec_qIN3c108BFloat16ELi256ELi8E13block_iq3_xxsLi1EXadL_ZL20vec_dot_iq3_xxs_q8_1PKvPK10block_q8_1RKiEEEvS4_S4_PT_PS8_iiii.kd
    .uniform_work_group_size: 1
    .uses_dynamic_stack: false
    .vgpr_count:     62
    .vgpr_spill_count: 0
    .wavefront_size: 32
    .workgroup_processor_mode: 1
  - .args:
      - .actual_access:  read_only
        .address_space:  global
        .offset:         0
        .size:           8
        .value_kind:     global_buffer
      - .actual_access:  read_only
        .address_space:  global
        .offset:         8
        .size:           8
        .value_kind:     global_buffer
      - .actual_access:  write_only
        .address_space:  global
        .offset:         16
        .size:           8
        .value_kind:     global_buffer
      - .address_space:  global
        .offset:         24
        .size:           8
        .value_kind:     global_buffer
      - .offset:         32
        .size:           4
        .value_kind:     by_value
      - .offset:         36
        .size:           4
        .value_kind:     by_value
      - .offset:         40
        .size:           4
        .value_kind:     by_value
      - .offset:         44
        .size:           4
        .value_kind:     by_value
      - .offset:         48
        .size:           4
        .value_kind:     hidden_block_count_x
      - .offset:         52
        .size:           4
        .value_kind:     hidden_block_count_y
      - .offset:         56
        .size:           4
        .value_kind:     hidden_block_count_z
      - .offset:         60
        .size:           2
        .value_kind:     hidden_group_size_x
      - .offset:         62
        .size:           2
        .value_kind:     hidden_group_size_y
      - .offset:         64
        .size:           2
        .value_kind:     hidden_group_size_z
      - .offset:         66
        .size:           2
        .value_kind:     hidden_remainder_x
      - .offset:         68
        .size:           2
        .value_kind:     hidden_remainder_y
      - .offset:         70
        .size:           2
        .value_kind:     hidden_remainder_z
      - .offset:         88
        .size:           8
        .value_kind:     hidden_global_offset_x
      - .offset:         96
        .size:           8
        .value_kind:     hidden_global_offset_y
      - .offset:         104
        .size:           8
        .value_kind:     hidden_global_offset_z
      - .offset:         112
        .size:           2
        .value_kind:     hidden_grid_dims
    .group_segment_fixed_size: 0
    .kernarg_segment_align: 8
    .kernarg_segment_size: 304
    .language:       OpenCL C
    .language_version:
      - 2
      - 0
    .max_flat_workgroup_size: 1024
    .name:           _ZL9moe_vec_qIN3c108BFloat16ELi256ELi8E11block_iq1_sLi1EXadL_ZL18vec_dot_iq1_s_q8_1PKvPK10block_q8_1RKiEEEvS4_S4_PT_PS8_iiii
    .private_segment_fixed_size: 0
    .sgpr_count:     19
    .sgpr_spill_count: 0
    .symbol:         _ZL9moe_vec_qIN3c108BFloat16ELi256ELi8E11block_iq1_sLi1EXadL_ZL18vec_dot_iq1_s_q8_1PKvPK10block_q8_1RKiEEEvS4_S4_PT_PS8_iiii.kd
    .uniform_work_group_size: 1
    .uses_dynamic_stack: false
    .vgpr_count:     27
    .vgpr_spill_count: 0
    .wavefront_size: 32
    .workgroup_processor_mode: 1
  - .args:
      - .actual_access:  read_only
        .address_space:  global
        .offset:         0
        .size:           8
        .value_kind:     global_buffer
      - .actual_access:  read_only
        .address_space:  global
        .offset:         8
        .size:           8
        .value_kind:     global_buffer
      - .actual_access:  write_only
        .address_space:  global
        .offset:         16
        .size:           8
        .value_kind:     global_buffer
      - .address_space:  global
        .offset:         24
        .size:           8
        .value_kind:     global_buffer
      - .offset:         32
        .size:           4
        .value_kind:     by_value
      - .offset:         36
        .size:           4
        .value_kind:     by_value
      - .offset:         40
        .size:           4
        .value_kind:     by_value
      - .offset:         44
        .size:           4
        .value_kind:     by_value
      - .offset:         48
        .size:           4
        .value_kind:     hidden_block_count_x
      - .offset:         52
        .size:           4
        .value_kind:     hidden_block_count_y
      - .offset:         56
        .size:           4
        .value_kind:     hidden_block_count_z
      - .offset:         60
        .size:           2
        .value_kind:     hidden_group_size_x
      - .offset:         62
        .size:           2
        .value_kind:     hidden_group_size_y
      - .offset:         64
        .size:           2
        .value_kind:     hidden_group_size_z
      - .offset:         66
        .size:           2
        .value_kind:     hidden_remainder_x
      - .offset:         68
        .size:           2
        .value_kind:     hidden_remainder_y
      - .offset:         70
        .size:           2
        .value_kind:     hidden_remainder_z
      - .offset:         88
        .size:           8
        .value_kind:     hidden_global_offset_x
      - .offset:         96
        .size:           8
        .value_kind:     hidden_global_offset_y
      - .offset:         104
        .size:           8
        .value_kind:     hidden_global_offset_z
      - .offset:         112
        .size:           2
        .value_kind:     hidden_grid_dims
    .group_segment_fixed_size: 0
    .kernarg_segment_align: 8
    .kernarg_segment_size: 304
    .language:       OpenCL C
    .language_version:
      - 2
      - 0
    .max_flat_workgroup_size: 1024
    .name:           _ZL9moe_vec_qIN3c108BFloat16ELi32ELi4E12block_iq4_nlLi2EXadL_ZL19vec_dot_iq4_nl_q8_1PKvPK10block_q8_1RKiEEEvS4_S4_PT_PS8_iiii
    .private_segment_fixed_size: 0
    .sgpr_count:     22
    .sgpr_spill_count: 0
    .symbol:         _ZL9moe_vec_qIN3c108BFloat16ELi32ELi4E12block_iq4_nlLi2EXadL_ZL19vec_dot_iq4_nl_q8_1PKvPK10block_q8_1RKiEEEvS4_S4_PT_PS8_iiii.kd
    .uniform_work_group_size: 1
    .uses_dynamic_stack: false
    .vgpr_count:     31
    .vgpr_spill_count: 0
    .wavefront_size: 32
    .workgroup_processor_mode: 1
  - .args:
      - .actual_access:  read_only
        .address_space:  global
        .offset:         0
        .size:           8
        .value_kind:     global_buffer
      - .actual_access:  read_only
        .address_space:  global
        .offset:         8
        .size:           8
        .value_kind:     global_buffer
      - .actual_access:  write_only
        .address_space:  global
        .offset:         16
        .size:           8
        .value_kind:     global_buffer
      - .address_space:  global
        .offset:         24
        .size:           8
        .value_kind:     global_buffer
      - .offset:         32
        .size:           4
        .value_kind:     by_value
      - .offset:         36
        .size:           4
        .value_kind:     by_value
      - .offset:         40
        .size:           4
        .value_kind:     by_value
      - .offset:         44
        .size:           4
        .value_kind:     by_value
      - .offset:         48
        .size:           4
        .value_kind:     hidden_block_count_x
      - .offset:         52
        .size:           4
        .value_kind:     hidden_block_count_y
      - .offset:         56
        .size:           4
        .value_kind:     hidden_block_count_z
      - .offset:         60
        .size:           2
        .value_kind:     hidden_group_size_x
      - .offset:         62
        .size:           2
        .value_kind:     hidden_group_size_y
      - .offset:         64
        .size:           2
        .value_kind:     hidden_group_size_z
      - .offset:         66
        .size:           2
        .value_kind:     hidden_remainder_x
      - .offset:         68
        .size:           2
        .value_kind:     hidden_remainder_y
      - .offset:         70
        .size:           2
        .value_kind:     hidden_remainder_z
      - .offset:         88
        .size:           8
        .value_kind:     hidden_global_offset_x
      - .offset:         96
        .size:           8
        .value_kind:     hidden_global_offset_y
      - .offset:         104
        .size:           8
        .value_kind:     hidden_global_offset_z
      - .offset:         112
        .size:           2
        .value_kind:     hidden_grid_dims
    .group_segment_fixed_size: 0
    .kernarg_segment_align: 8
    .kernarg_segment_size: 304
    .language:       OpenCL C
    .language_version:
      - 2
      - 0
    .max_flat_workgroup_size: 1024
    .name:           _ZL9moe_vec_qIN3c108BFloat16ELi256ELi8E11block_iq3_sLi1EXadL_ZL18vec_dot_iq3_s_q8_1PKvPK10block_q8_1RKiEEEvS4_S4_PT_PS8_iiii
    .private_segment_fixed_size: 0
    .sgpr_count:     20
    .sgpr_spill_count: 0
    .symbol:         _ZL9moe_vec_qIN3c108BFloat16ELi256ELi8E11block_iq3_sLi1EXadL_ZL18vec_dot_iq3_s_q8_1PKvPK10block_q8_1RKiEEEvS4_S4_PT_PS8_iiii.kd
    .uniform_work_group_size: 1
    .uses_dynamic_stack: false
    .vgpr_count:     42
    .vgpr_spill_count: 0
    .wavefront_size: 32
    .workgroup_processor_mode: 1
  - .args:
      - .actual_access:  read_only
        .address_space:  global
        .offset:         0
        .size:           8
        .value_kind:     global_buffer
      - .actual_access:  read_only
        .address_space:  global
        .offset:         8
        .size:           8
        .value_kind:     global_buffer
      - .actual_access:  write_only
        .address_space:  global
        .offset:         16
        .size:           8
        .value_kind:     global_buffer
      - .address_space:  global
        .offset:         24
        .size:           8
        .value_kind:     global_buffer
      - .offset:         32
        .size:           4
        .value_kind:     by_value
      - .offset:         36
        .size:           4
        .value_kind:     by_value
      - .offset:         40
        .size:           4
        .value_kind:     by_value
      - .offset:         44
        .size:           4
        .value_kind:     by_value
      - .offset:         48
        .size:           4
        .value_kind:     hidden_block_count_x
      - .offset:         52
        .size:           4
        .value_kind:     hidden_block_count_y
      - .offset:         56
        .size:           4
        .value_kind:     hidden_block_count_z
      - .offset:         60
        .size:           2
        .value_kind:     hidden_group_size_x
      - .offset:         62
        .size:           2
        .value_kind:     hidden_group_size_y
      - .offset:         64
        .size:           2
        .value_kind:     hidden_group_size_z
      - .offset:         66
        .size:           2
        .value_kind:     hidden_remainder_x
      - .offset:         68
        .size:           2
        .value_kind:     hidden_remainder_y
      - .offset:         70
        .size:           2
        .value_kind:     hidden_remainder_z
      - .offset:         88
        .size:           8
        .value_kind:     hidden_global_offset_x
      - .offset:         96
        .size:           8
        .value_kind:     hidden_global_offset_y
      - .offset:         104
        .size:           8
        .value_kind:     hidden_global_offset_z
      - .offset:         112
        .size:           2
        .value_kind:     hidden_grid_dims
    .group_segment_fixed_size: 0
    .kernarg_segment_align: 8
    .kernarg_segment_size: 304
    .language:       OpenCL C
    .language_version:
      - 2
      - 0
    .max_flat_workgroup_size: 1024
    .name:           _ZL9moe_vec_qIN3c108BFloat16ELi256ELi8E11block_iq2_sLi1EXadL_ZL18vec_dot_iq2_s_q8_1PKvPK10block_q8_1RKiEEEvS4_S4_PT_PS8_iiii
    .private_segment_fixed_size: 0
    .sgpr_count:     19
    .sgpr_spill_count: 0
    .symbol:         _ZL9moe_vec_qIN3c108BFloat16ELi256ELi8E11block_iq2_sLi1EXadL_ZL18vec_dot_iq2_s_q8_1PKvPK10block_q8_1RKiEEEvS4_S4_PT_PS8_iiii.kd
    .uniform_work_group_size: 1
    .uses_dynamic_stack: false
    .vgpr_count:     64
    .vgpr_spill_count: 0
    .wavefront_size: 32
    .workgroup_processor_mode: 1
  - .args:
      - .actual_access:  read_only
        .address_space:  global
        .offset:         0
        .size:           8
        .value_kind:     global_buffer
      - .actual_access:  read_only
        .address_space:  global
        .offset:         8
        .size:           8
        .value_kind:     global_buffer
      - .actual_access:  write_only
        .address_space:  global
        .offset:         16
        .size:           8
        .value_kind:     global_buffer
      - .address_space:  global
        .offset:         24
        .size:           8
        .value_kind:     global_buffer
      - .offset:         32
        .size:           4
        .value_kind:     by_value
      - .offset:         36
        .size:           4
        .value_kind:     by_value
      - .offset:         40
        .size:           4
        .value_kind:     by_value
      - .offset:         44
        .size:           4
        .value_kind:     by_value
      - .offset:         48
        .size:           4
        .value_kind:     hidden_block_count_x
      - .offset:         52
        .size:           4
        .value_kind:     hidden_block_count_y
      - .offset:         56
        .size:           4
        .value_kind:     hidden_block_count_z
      - .offset:         60
        .size:           2
        .value_kind:     hidden_group_size_x
      - .offset:         62
        .size:           2
        .value_kind:     hidden_group_size_y
      - .offset:         64
        .size:           2
        .value_kind:     hidden_group_size_z
      - .offset:         66
        .size:           2
        .value_kind:     hidden_remainder_x
      - .offset:         68
        .size:           2
        .value_kind:     hidden_remainder_y
      - .offset:         70
        .size:           2
        .value_kind:     hidden_remainder_z
      - .offset:         88
        .size:           8
        .value_kind:     hidden_global_offset_x
      - .offset:         96
        .size:           8
        .value_kind:     hidden_global_offset_y
      - .offset:         104
        .size:           8
        .value_kind:     hidden_global_offset_z
      - .offset:         112
        .size:           2
        .value_kind:     hidden_grid_dims
    .group_segment_fixed_size: 0
    .kernarg_segment_align: 8
    .kernarg_segment_size: 304
    .language:       OpenCL C
    .language_version:
      - 2
      - 0
    .max_flat_workgroup_size: 1024
    .name:           _ZL9moe_vec_qIN3c108BFloat16ELi256ELi8E12block_iq4_xsLi1EXadL_ZL19vec_dot_iq4_xs_q8_1PKvPK10block_q8_1RKiEEEvS4_S4_PT_PS8_iiii
    .private_segment_fixed_size: 0
    .sgpr_count:     19
    .sgpr_spill_count: 0
    .symbol:         _ZL9moe_vec_qIN3c108BFloat16ELi256ELi8E12block_iq4_xsLi1EXadL_ZL19vec_dot_iq4_xs_q8_1PKvPK10block_q8_1RKiEEEvS4_S4_PT_PS8_iiii.kd
    .uniform_work_group_size: 1
    .uses_dynamic_stack: false
    .vgpr_count:     58
    .vgpr_spill_count: 0
    .wavefront_size: 32
    .workgroup_processor_mode: 1
  - .args:
      - .actual_access:  read_only
        .address_space:  global
        .offset:         0
        .size:           8
        .value_kind:     global_buffer
      - .actual_access:  read_only
        .address_space:  global
        .offset:         8
        .size:           8
        .value_kind:     global_buffer
      - .actual_access:  write_only
        .address_space:  global
        .offset:         16
        .size:           8
        .value_kind:     global_buffer
      - .address_space:  global
        .offset:         24
        .size:           8
        .value_kind:     global_buffer
      - .offset:         32
        .size:           4
        .value_kind:     by_value
      - .offset:         36
        .size:           4
        .value_kind:     by_value
      - .offset:         40
        .size:           4
        .value_kind:     by_value
      - .offset:         44
        .size:           4
        .value_kind:     by_value
      - .offset:         48
        .size:           4
        .value_kind:     hidden_block_count_x
      - .offset:         52
        .size:           4
        .value_kind:     hidden_block_count_y
      - .offset:         56
        .size:           4
        .value_kind:     hidden_block_count_z
      - .offset:         60
        .size:           2
        .value_kind:     hidden_group_size_x
      - .offset:         62
        .size:           2
        .value_kind:     hidden_group_size_y
      - .offset:         64
        .size:           2
        .value_kind:     hidden_group_size_z
      - .offset:         66
        .size:           2
        .value_kind:     hidden_remainder_x
      - .offset:         68
        .size:           2
        .value_kind:     hidden_remainder_y
      - .offset:         70
        .size:           2
        .value_kind:     hidden_remainder_z
      - .offset:         88
        .size:           8
        .value_kind:     hidden_global_offset_x
      - .offset:         96
        .size:           8
        .value_kind:     hidden_global_offset_y
      - .offset:         104
        .size:           8
        .value_kind:     hidden_global_offset_z
      - .offset:         112
        .size:           2
        .value_kind:     hidden_grid_dims
    .group_segment_fixed_size: 0
    .kernarg_segment_align: 8
    .kernarg_segment_size: 304
    .language:       OpenCL C
    .language_version:
      - 2
      - 0
    .max_flat_workgroup_size: 1024
    .name:           _ZL9moe_vec_qIN3c108BFloat16ELi256ELi8E11block_iq1_mLi1EXadL_ZL18vec_dot_iq1_m_q8_1PKvPK10block_q8_1RKiEEEvS4_S4_PT_PS8_iiii
    .private_segment_fixed_size: 0
    .sgpr_count:     19
    .sgpr_spill_count: 0
    .symbol:         _ZL9moe_vec_qIN3c108BFloat16ELi256ELi8E11block_iq1_mLi1EXadL_ZL18vec_dot_iq1_m_q8_1PKvPK10block_q8_1RKiEEEvS4_S4_PT_PS8_iiii.kd
    .uniform_work_group_size: 1
    .uses_dynamic_stack: false
    .vgpr_count:     43
    .vgpr_spill_count: 0
    .wavefront_size: 32
    .workgroup_processor_mode: 1
amdhsa.target:   amdgcn-amd-amdhsa--gfx1030
amdhsa.version:
  - 1
  - 2
...

	.end_amdgpu_metadata
